;; amdgpu-corpus repo=ROCm/hipCUB kind=compiled arch=gfx942 opt=O3
	.text
	.amdgcn_target "amdgcn-amd-amdhsa--gfx942"
	.amdhsa_code_object_version 6
	.section	.text._Z16sort_keys_kernelIiLj64ELj1EN10test_utils4lessELj10EEvPKT_PS2_T2_,"axG",@progbits,_Z16sort_keys_kernelIiLj64ELj1EN10test_utils4lessELj10EEvPKT_PS2_T2_,comdat
	.protected	_Z16sort_keys_kernelIiLj64ELj1EN10test_utils4lessELj10EEvPKT_PS2_T2_ ; -- Begin function _Z16sort_keys_kernelIiLj64ELj1EN10test_utils4lessELj10EEvPKT_PS2_T2_
	.globl	_Z16sort_keys_kernelIiLj64ELj1EN10test_utils4lessELj10EEvPKT_PS2_T2_
	.p2align	8
	.type	_Z16sort_keys_kernelIiLj64ELj1EN10test_utils4lessELj10EEvPKT_PS2_T2_,@function
_Z16sort_keys_kernelIiLj64ELj1EN10test_utils4lessELj10EEvPKT_PS2_T2_: ; @_Z16sort_keys_kernelIiLj64ELj1EN10test_utils4lessELj10EEvPKT_PS2_T2_
; %bb.0:
	s_load_dwordx4 s[16:19], s[0:1], 0x0
	s_lshl_b32 s20, s2, 6
	s_mov_b32 s21, 0
	s_lshl_b64 s[22:23], s[20:21], 2
	v_lshlrev_b32_e32 v1, 2, v0
	s_waitcnt lgkmcnt(0)
	s_add_u32 s0, s16, s22
	s_addc_u32 s1, s17, s23
	global_load_dword v46, v1, s[0:1]
	v_and_b32_e32 v13, 60, v0
	v_and_b32_e32 v21, 56, v0
	;; [unrolled: 1-line block ×5, first 2 shown]
	v_or_b32_e32 v17, 2, v13
	v_add_u32_e32 v11, 4, v13
	v_or_b32_e32 v25, 4, v21
	v_add_u32_e32 v19, 8, v21
	;; [unrolled: 2-line block ×4, first 2 shown]
	v_and_b32_e32 v2, 1, v0
	v_or_b32_e32 v3, 1, v5
	v_and_b32_e32 v10, 3, v0
	v_sub_u32_e32 v15, v11, v17
	v_and_b32_e32 v18, 7, v0
	v_sub_u32_e32 v23, v19, v25
	;; [unrolled: 2-line block ×4, first 2 shown]
	v_sub_u32_e32 v4, v3, v5
	v_add_u32_e32 v7, -1, v2
	v_cmp_lt_i32_e32 vcc, 0, v2
	v_sub_u32_e32 v12, v17, v13
	v_sub_u32_e32 v16, v10, v15
	v_cmp_ge_i32_e64 s[0:1], v10, v15
	v_sub_u32_e32 v20, v25, v21
	v_sub_u32_e32 v24, v18, v23
	v_cmp_ge_i32_e64 s[2:3], v18, v23
	;; [unrolled: 3-line block ×4, first 2 shown]
	v_cndmask_b32_e32 v7, 0, v7, vcc
	v_min_i32_e32 v8, v2, v4
	v_cndmask_b32_e64 v15, 0, v16, s[0:1]
	v_min_i32_e32 v16, v10, v12
	v_cndmask_b32_e64 v23, 0, v24, s[2:3]
	;; [unrolled: 2-line block ×4, first 2 shown]
	v_min_i32_e32 v40, v34, v36
	v_sub_u32_e64 v43, v0, 32 clamp
	v_min_i32_e32 v44, 32, v0
	v_lshlrev_b32_e32 v5, 2, v5
	v_lshlrev_b32_e32 v6, 2, v3
	v_cmp_lt_i32_e32 vcc, v7, v8
	v_add_u32_e32 v9, v3, v2
	v_lshlrev_b32_e32 v13, 2, v13
	v_lshlrev_b32_e32 v14, 2, v17
	v_cmp_lt_i32_e64 s[0:1], v15, v16
	v_add_u32_e32 v17, v17, v10
	v_lshlrev_b32_e32 v21, 2, v21
	v_lshlrev_b32_e32 v22, 2, v25
	v_cmp_lt_i32_e64 s[2:3], v23, v24
	;; [unrolled: 4-line block ×4, first 2 shown]
	v_add_u32_e32 v41, v41, v34
	v_mov_b32_e32 v42, 0x80
	v_cmp_lt_i32_e64 s[8:9], v43, v44
	v_add_u32_e32 v45, 32, v0
	s_branch .LBB0_2
.LBB0_1:                                ;   in Loop: Header=BB0_2 Depth=1
	s_or_b64 exec, exec, s[12:13]
	v_sub_u32_e32 v47, v45, v46
	v_lshlrev_b32_e32 v48, 2, v46
	v_lshlrev_b32_e32 v49, 2, v47
	ds_read_b32 v48, v48
	ds_read_b32 v49, v49
	v_cmp_le_i32_e64 s[10:11], 32, v46
	v_cmp_gt_i32_e64 s[12:13], 64, v47
	s_add_i32 s21, s21, 1
	s_waitcnt lgkmcnt(0)
	v_cmp_lt_i32_e64 s[14:15], v49, v48
	s_or_b64 s[10:11], s[10:11], s[14:15]
	s_and_b64 s[10:11], s[12:13], s[10:11]
	s_cmp_eq_u32 s21, 10
	v_cndmask_b32_e64 v46, v48, v49, s[10:11]
	s_cbranch_scc1 .LBB0_26
.LBB0_2:                                ; =>This Loop Header: Depth=1
                                        ;     Child Loop BB0_4 Depth 2
                                        ;     Child Loop BB0_8 Depth 2
	;; [unrolled: 1-line block ×6, first 2 shown]
	s_waitcnt lgkmcnt(0)
	; wave barrier
	s_waitcnt vmcnt(0)
	ds_write_b32 v1, v46
	v_mov_b32_e32 v46, v7
	s_waitcnt lgkmcnt(0)
	; wave barrier
	s_waitcnt lgkmcnt(0)
	s_and_saveexec_b64 s[12:13], vcc
	s_cbranch_execz .LBB0_6
; %bb.3:                                ;   in Loop: Header=BB0_2 Depth=1
	s_mov_b64 s[14:15], 0
	v_mov_b32_e32 v46, v7
	v_mov_b32_e32 v47, v8
.LBB0_4:                                ;   Parent Loop BB0_2 Depth=1
                                        ; =>  This Inner Loop Header: Depth=2
	v_sub_u32_e32 v48, v47, v46
	v_lshrrev_b32_e32 v49, 31, v48
	v_add_u32_e32 v48, v48, v49
	v_ashrrev_i32_e32 v48, 1, v48
	v_add_u32_e32 v48, v48, v46
	v_xad_u32 v50, v48, -1, v2
	v_lshl_add_u32 v49, v48, 2, v5
	v_lshl_add_u32 v50, v50, 2, v6
	ds_read_b32 v49, v49
	ds_read_b32 v50, v50
	v_add_u32_e32 v51, 1, v48
	s_waitcnt lgkmcnt(0)
	v_cmp_lt_i32_e64 s[10:11], v50, v49
	s_nop 1
	v_cndmask_b32_e64 v47, v47, v48, s[10:11]
	v_cndmask_b32_e64 v46, v51, v46, s[10:11]
	v_cmp_ge_i32_e64 s[10:11], v46, v47
	s_or_b64 s[14:15], s[10:11], s[14:15]
	s_andn2_b64 exec, exec, s[14:15]
	s_cbranch_execnz .LBB0_4
; %bb.5:                                ;   in Loop: Header=BB0_2 Depth=1
	s_or_b64 exec, exec, s[14:15]
.LBB0_6:                                ;   in Loop: Header=BB0_2 Depth=1
	s_or_b64 exec, exec, s[12:13]
	v_sub_u32_e32 v47, v9, v46
	v_lshl_add_u32 v48, v46, 2, v5
	v_lshlrev_b32_e32 v49, 2, v47
	ds_read_b32 v48, v48
	ds_read_b32 v49, v49
	v_cmp_ge_i32_e64 s[10:11], v46, v4
	v_cmp_ge_i32_e64 s[12:13], v3, v47
	s_waitcnt lgkmcnt(0)
	; wave barrier
	s_waitcnt lgkmcnt(0)
	v_cmp_lt_i32_e64 s[14:15], v49, v48
	s_or_b64 s[10:11], s[10:11], s[14:15]
	s_and_b64 s[10:11], s[12:13], s[10:11]
	v_cndmask_b32_e64 v46, v48, v49, s[10:11]
	ds_write_b32 v1, v46
	v_mov_b32_e32 v46, v15
	s_waitcnt lgkmcnt(0)
	; wave barrier
	s_waitcnt lgkmcnt(0)
	s_and_saveexec_b64 s[12:13], s[0:1]
	s_cbranch_execz .LBB0_10
; %bb.7:                                ;   in Loop: Header=BB0_2 Depth=1
	s_mov_b64 s[14:15], 0
	v_mov_b32_e32 v46, v15
	v_mov_b32_e32 v47, v16
.LBB0_8:                                ;   Parent Loop BB0_2 Depth=1
                                        ; =>  This Inner Loop Header: Depth=2
	v_sub_u32_e32 v48, v47, v46
	v_lshrrev_b32_e32 v49, 31, v48
	v_add_u32_e32 v48, v48, v49
	v_ashrrev_i32_e32 v48, 1, v48
	v_add_u32_e32 v48, v48, v46
	v_xad_u32 v50, v48, -1, v10
	v_lshl_add_u32 v49, v48, 2, v13
	v_lshl_add_u32 v50, v50, 2, v14
	ds_read_b32 v49, v49
	ds_read_b32 v50, v50
	v_add_u32_e32 v51, 1, v48
	s_waitcnt lgkmcnt(0)
	v_cmp_lt_i32_e64 s[10:11], v50, v49
	s_nop 1
	v_cndmask_b32_e64 v47, v47, v48, s[10:11]
	v_cndmask_b32_e64 v46, v51, v46, s[10:11]
	v_cmp_ge_i32_e64 s[10:11], v46, v47
	s_or_b64 s[14:15], s[10:11], s[14:15]
	s_andn2_b64 exec, exec, s[14:15]
	s_cbranch_execnz .LBB0_8
; %bb.9:                                ;   in Loop: Header=BB0_2 Depth=1
	s_or_b64 exec, exec, s[14:15]
.LBB0_10:                               ;   in Loop: Header=BB0_2 Depth=1
	s_or_b64 exec, exec, s[12:13]
	v_sub_u32_e32 v47, v17, v46
	v_lshl_add_u32 v48, v46, 2, v13
	v_lshlrev_b32_e32 v49, 2, v47
	ds_read_b32 v48, v48
	ds_read_b32 v49, v49
	v_cmp_ge_i32_e64 s[10:11], v46, v12
	v_cmp_gt_i32_e64 s[12:13], v11, v47
	s_waitcnt lgkmcnt(0)
	; wave barrier
	s_waitcnt lgkmcnt(0)
	v_cmp_lt_i32_e64 s[14:15], v49, v48
	s_or_b64 s[10:11], s[10:11], s[14:15]
	s_and_b64 s[10:11], s[12:13], s[10:11]
	v_cndmask_b32_e64 v46, v48, v49, s[10:11]
	ds_write_b32 v1, v46
	v_mov_b32_e32 v46, v23
	s_waitcnt lgkmcnt(0)
	; wave barrier
	s_waitcnt lgkmcnt(0)
	s_and_saveexec_b64 s[12:13], s[2:3]
	s_cbranch_execz .LBB0_14
; %bb.11:                               ;   in Loop: Header=BB0_2 Depth=1
	s_mov_b64 s[14:15], 0
	v_mov_b32_e32 v46, v23
	v_mov_b32_e32 v47, v24
.LBB0_12:                               ;   Parent Loop BB0_2 Depth=1
                                        ; =>  This Inner Loop Header: Depth=2
	v_sub_u32_e32 v48, v47, v46
	v_lshrrev_b32_e32 v49, 31, v48
	v_add_u32_e32 v48, v48, v49
	v_ashrrev_i32_e32 v48, 1, v48
	v_add_u32_e32 v48, v48, v46
	v_xad_u32 v50, v48, -1, v18
	v_lshl_add_u32 v49, v48, 2, v21
	v_lshl_add_u32 v50, v50, 2, v22
	ds_read_b32 v49, v49
	ds_read_b32 v50, v50
	v_add_u32_e32 v51, 1, v48
	s_waitcnt lgkmcnt(0)
	v_cmp_lt_i32_e64 s[10:11], v50, v49
	s_nop 1
	v_cndmask_b32_e64 v47, v47, v48, s[10:11]
	v_cndmask_b32_e64 v46, v51, v46, s[10:11]
	v_cmp_ge_i32_e64 s[10:11], v46, v47
	s_or_b64 s[14:15], s[10:11], s[14:15]
	s_andn2_b64 exec, exec, s[14:15]
	s_cbranch_execnz .LBB0_12
; %bb.13:                               ;   in Loop: Header=BB0_2 Depth=1
	s_or_b64 exec, exec, s[14:15]
.LBB0_14:                               ;   in Loop: Header=BB0_2 Depth=1
	s_or_b64 exec, exec, s[12:13]
	v_sub_u32_e32 v47, v25, v46
	v_lshl_add_u32 v48, v46, 2, v21
	v_lshlrev_b32_e32 v49, 2, v47
	ds_read_b32 v48, v48
	ds_read_b32 v49, v49
	v_cmp_ge_i32_e64 s[10:11], v46, v20
	v_cmp_gt_i32_e64 s[12:13], v19, v47
	s_waitcnt lgkmcnt(0)
	; wave barrier
	s_waitcnt lgkmcnt(0)
	v_cmp_lt_i32_e64 s[14:15], v49, v48
	s_or_b64 s[10:11], s[10:11], s[14:15]
	s_and_b64 s[10:11], s[12:13], s[10:11]
	v_cndmask_b32_e64 v46, v48, v49, s[10:11]
	ds_write_b32 v1, v46
	v_mov_b32_e32 v46, v31
	s_waitcnt lgkmcnt(0)
	; wave barrier
	s_waitcnt lgkmcnt(0)
	s_and_saveexec_b64 s[12:13], s[4:5]
	s_cbranch_execz .LBB0_18
; %bb.15:                               ;   in Loop: Header=BB0_2 Depth=1
	s_mov_b64 s[14:15], 0
	v_mov_b32_e32 v46, v31
	v_mov_b32_e32 v47, v32
.LBB0_16:                               ;   Parent Loop BB0_2 Depth=1
                                        ; =>  This Inner Loop Header: Depth=2
	v_sub_u32_e32 v48, v47, v46
	v_lshrrev_b32_e32 v49, 31, v48
	v_add_u32_e32 v48, v48, v49
	v_ashrrev_i32_e32 v48, 1, v48
	v_add_u32_e32 v48, v48, v46
	v_xad_u32 v50, v48, -1, v26
	v_lshl_add_u32 v49, v48, 2, v29
	v_lshl_add_u32 v50, v50, 2, v30
	ds_read_b32 v49, v49
	ds_read_b32 v50, v50
	v_add_u32_e32 v51, 1, v48
	s_waitcnt lgkmcnt(0)
	v_cmp_lt_i32_e64 s[10:11], v50, v49
	s_nop 1
	v_cndmask_b32_e64 v47, v47, v48, s[10:11]
	v_cndmask_b32_e64 v46, v51, v46, s[10:11]
	v_cmp_ge_i32_e64 s[10:11], v46, v47
	s_or_b64 s[14:15], s[10:11], s[14:15]
	s_andn2_b64 exec, exec, s[14:15]
	s_cbranch_execnz .LBB0_16
; %bb.17:                               ;   in Loop: Header=BB0_2 Depth=1
	s_or_b64 exec, exec, s[14:15]
.LBB0_18:                               ;   in Loop: Header=BB0_2 Depth=1
	;; [unrolled: 51-line block ×3, first 2 shown]
	s_or_b64 exec, exec, s[12:13]
	v_sub_u32_e32 v47, v41, v46
	v_lshl_add_u32 v48, v46, 2, v37
	v_lshlrev_b32_e32 v49, 2, v47
	ds_read_b32 v48, v48
	ds_read_b32 v49, v49
	v_cmp_ge_i32_e64 s[10:11], v46, v36
	v_cmp_gt_i32_e64 s[12:13], v35, v47
	s_waitcnt lgkmcnt(0)
	; wave barrier
	s_waitcnt lgkmcnt(0)
	v_cmp_lt_i32_e64 s[14:15], v49, v48
	s_or_b64 s[10:11], s[10:11], s[14:15]
	s_and_b64 s[10:11], s[12:13], s[10:11]
	v_cndmask_b32_e64 v46, v48, v49, s[10:11]
	ds_write_b32 v1, v46
	v_mov_b32_e32 v46, v43
	s_waitcnt lgkmcnt(0)
	; wave barrier
	s_waitcnt lgkmcnt(0)
	s_and_saveexec_b64 s[12:13], s[8:9]
	s_cbranch_execz .LBB0_1
; %bb.23:                               ;   in Loop: Header=BB0_2 Depth=1
	s_mov_b64 s[14:15], 0
	v_mov_b32_e32 v46, v43
	v_mov_b32_e32 v47, v44
.LBB0_24:                               ;   Parent Loop BB0_2 Depth=1
                                        ; =>  This Inner Loop Header: Depth=2
	v_sub_u32_e32 v48, v47, v46
	v_lshrrev_b32_e32 v49, 31, v48
	v_add_u32_e32 v48, v48, v49
	v_ashrrev_i32_e32 v48, 1, v48
	v_add_u32_e32 v48, v48, v46
	v_xad_u32 v50, v48, -1, v0
	v_lshlrev_b32_e32 v49, 2, v48
	v_lshl_add_u32 v50, v50, 2, v42
	ds_read_b32 v49, v49
	ds_read_b32 v50, v50
	v_add_u32_e32 v51, 1, v48
	s_waitcnt lgkmcnt(0)
	v_cmp_lt_i32_e64 s[10:11], v50, v49
	s_nop 1
	v_cndmask_b32_e64 v47, v47, v48, s[10:11]
	v_cndmask_b32_e64 v46, v51, v46, s[10:11]
	v_cmp_ge_i32_e64 s[10:11], v46, v47
	s_or_b64 s[14:15], s[10:11], s[14:15]
	s_andn2_b64 exec, exec, s[14:15]
	s_cbranch_execnz .LBB0_24
; %bb.25:                               ;   in Loop: Header=BB0_2 Depth=1
	s_or_b64 exec, exec, s[14:15]
	s_branch .LBB0_1
.LBB0_26:
	s_add_u32 s0, s18, s22
	s_addc_u32 s1, s19, s23
	v_lshlrev_b32_e32 v0, 2, v0
	global_store_dword v0, v46, s[0:1]
	s_endpgm
	.section	.rodata,"a",@progbits
	.p2align	6, 0x0
	.amdhsa_kernel _Z16sort_keys_kernelIiLj64ELj1EN10test_utils4lessELj10EEvPKT_PS2_T2_
		.amdhsa_group_segment_fixed_size 260
		.amdhsa_private_segment_fixed_size 0
		.amdhsa_kernarg_size 20
		.amdhsa_user_sgpr_count 2
		.amdhsa_user_sgpr_dispatch_ptr 0
		.amdhsa_user_sgpr_queue_ptr 0
		.amdhsa_user_sgpr_kernarg_segment_ptr 1
		.amdhsa_user_sgpr_dispatch_id 0
		.amdhsa_user_sgpr_kernarg_preload_length 0
		.amdhsa_user_sgpr_kernarg_preload_offset 0
		.amdhsa_user_sgpr_private_segment_size 0
		.amdhsa_uses_dynamic_stack 0
		.amdhsa_enable_private_segment 0
		.amdhsa_system_sgpr_workgroup_id_x 1
		.amdhsa_system_sgpr_workgroup_id_y 0
		.amdhsa_system_sgpr_workgroup_id_z 0
		.amdhsa_system_sgpr_workgroup_info 0
		.amdhsa_system_vgpr_workitem_id 0
		.amdhsa_next_free_vgpr 52
		.amdhsa_next_free_sgpr 24
		.amdhsa_accum_offset 52
		.amdhsa_reserve_vcc 1
		.amdhsa_float_round_mode_32 0
		.amdhsa_float_round_mode_16_64 0
		.amdhsa_float_denorm_mode_32 3
		.amdhsa_float_denorm_mode_16_64 3
		.amdhsa_dx10_clamp 1
		.amdhsa_ieee_mode 1
		.amdhsa_fp16_overflow 0
		.amdhsa_tg_split 0
		.amdhsa_exception_fp_ieee_invalid_op 0
		.amdhsa_exception_fp_denorm_src 0
		.amdhsa_exception_fp_ieee_div_zero 0
		.amdhsa_exception_fp_ieee_overflow 0
		.amdhsa_exception_fp_ieee_underflow 0
		.amdhsa_exception_fp_ieee_inexact 0
		.amdhsa_exception_int_div_zero 0
	.end_amdhsa_kernel
	.section	.text._Z16sort_keys_kernelIiLj64ELj1EN10test_utils4lessELj10EEvPKT_PS2_T2_,"axG",@progbits,_Z16sort_keys_kernelIiLj64ELj1EN10test_utils4lessELj10EEvPKT_PS2_T2_,comdat
.Lfunc_end0:
	.size	_Z16sort_keys_kernelIiLj64ELj1EN10test_utils4lessELj10EEvPKT_PS2_T2_, .Lfunc_end0-_Z16sort_keys_kernelIiLj64ELj1EN10test_utils4lessELj10EEvPKT_PS2_T2_
                                        ; -- End function
	.section	.AMDGPU.csdata,"",@progbits
; Kernel info:
; codeLenInByte = 1900
; NumSgprs: 30
; NumVgprs: 52
; NumAgprs: 0
; TotalNumVgprs: 52
; ScratchSize: 0
; MemoryBound: 0
; FloatMode: 240
; IeeeMode: 1
; LDSByteSize: 260 bytes/workgroup (compile time only)
; SGPRBlocks: 3
; VGPRBlocks: 6
; NumSGPRsForWavesPerEU: 30
; NumVGPRsForWavesPerEU: 52
; AccumOffset: 52
; Occupancy: 8
; WaveLimiterHint : 0
; COMPUTE_PGM_RSRC2:SCRATCH_EN: 0
; COMPUTE_PGM_RSRC2:USER_SGPR: 2
; COMPUTE_PGM_RSRC2:TRAP_HANDLER: 0
; COMPUTE_PGM_RSRC2:TGID_X_EN: 1
; COMPUTE_PGM_RSRC2:TGID_Y_EN: 0
; COMPUTE_PGM_RSRC2:TGID_Z_EN: 0
; COMPUTE_PGM_RSRC2:TIDIG_COMP_CNT: 0
; COMPUTE_PGM_RSRC3_GFX90A:ACCUM_OFFSET: 12
; COMPUTE_PGM_RSRC3_GFX90A:TG_SPLIT: 0
	.section	.text._Z17sort_pairs_kernelIiLj64ELj1EN10test_utils4lessELj10EEvPKT_PS2_T2_,"axG",@progbits,_Z17sort_pairs_kernelIiLj64ELj1EN10test_utils4lessELj10EEvPKT_PS2_T2_,comdat
	.protected	_Z17sort_pairs_kernelIiLj64ELj1EN10test_utils4lessELj10EEvPKT_PS2_T2_ ; -- Begin function _Z17sort_pairs_kernelIiLj64ELj1EN10test_utils4lessELj10EEvPKT_PS2_T2_
	.globl	_Z17sort_pairs_kernelIiLj64ELj1EN10test_utils4lessELj10EEvPKT_PS2_T2_
	.p2align	8
	.type	_Z17sort_pairs_kernelIiLj64ELj1EN10test_utils4lessELj10EEvPKT_PS2_T2_,@function
_Z17sort_pairs_kernelIiLj64ELj1EN10test_utils4lessELj10EEvPKT_PS2_T2_: ; @_Z17sort_pairs_kernelIiLj64ELj1EN10test_utils4lessELj10EEvPKT_PS2_T2_
; %bb.0:
	s_load_dwordx4 s[16:19], s[0:1], 0x0
	s_lshl_b32 s20, s2, 6
	s_mov_b32 s21, 0
	s_lshl_b64 s[22:23], s[20:21], 2
	v_lshlrev_b32_e32 v1, 2, v0
	s_waitcnt lgkmcnt(0)
	s_add_u32 s0, s16, s22
	s_addc_u32 s1, s17, s23
	global_load_dword v50, v1, s[0:1]
	v_and_b32_e32 v5, 60, v0
	v_and_b32_e32 v7, 56, v0
	v_or_b32_e32 v17, 2, v5
	v_add_u32_e32 v18, 4, v5
	v_and_b32_e32 v6, 3, v0
	v_and_b32_e32 v9, 48, v0
	v_or_b32_e32 v20, 4, v7
	v_add_u32_e32 v21, 8, v7
	v_sub_u32_e32 v45, v18, v17
	v_and_b32_e32 v8, 7, v0
	v_and_b32_e32 v11, 32, v0
	v_or_b32_e32 v23, 8, v9
	v_add_u32_e32 v24, 16, v9
	v_sub_u32_e32 v46, v21, v20
	v_sub_u32_e32 v49, v6, v45
	v_cmp_ge_i32_e64 s[2:3], v6, v45
	v_and_b32_e32 v3, 62, v0
	v_and_b32_e32 v10, 15, v0
	v_or_b32_e32 v26, 16, v11
	v_add_u32_e32 v27, 32, v11
	v_sub_u32_e32 v47, v24, v23
	v_sub_u32_e32 v51, v8, v46
	v_cndmask_b32_e64 v45, 0, v49, s[2:3]
	v_cmp_ge_i32_e64 s[2:3], v8, v46
	v_and_b32_e32 v4, 1, v0
	v_and_b32_e32 v12, 31, v0
	v_or_b32_e32 v15, 1, v3
	v_sub_u32_e32 v48, v27, v26
	v_sub_u32_e32 v52, v10, v47
	v_cndmask_b32_e64 v46, 0, v51, s[2:3]
	v_cmp_ge_i32_e64 s[2:3], v10, v47
	v_add_u32_e32 v30, -1, v4
	v_sub_u32_e32 v40, v15, v3
	v_cmp_lt_i32_e64 s[0:1], 0, v4
	v_sub_u32_e32 v41, v17, v5
	v_sub_u32_e32 v42, v20, v7
	;; [unrolled: 1-line block ×5, first 2 shown]
	v_cndmask_b32_e64 v47, 0, v52, s[2:3]
	v_cmp_ge_i32_e64 s[2:3], v12, v48
	v_sub_u32_e64 v13, v0, 32 clamp
	v_min_i32_e32 v14, 32, v0
	v_cndmask_b32_e64 v30, 0, v30, s[0:1]
	v_min_i32_e32 v40, v4, v40
	v_min_i32_e32 v41, v6, v41
	;; [unrolled: 1-line block ×5, first 2 shown]
	v_cndmask_b32_e64 v48, 0, v53, s[2:3]
	v_mov_b32_e32 v2, 0x80
	v_lshlrev_b32_e32 v16, 2, v3
	v_lshlrev_b32_e32 v19, 2, v5
	;; [unrolled: 1-line block ×5, first 2 shown]
	v_cmp_lt_i32_e32 vcc, v13, v14
	v_lshlrev_b32_e32 v29, 2, v15
	v_add_u32_e32 v31, v15, v4
	v_lshlrev_b32_e32 v32, 2, v17
	v_add_u32_e32 v33, v17, v6
	;; [unrolled: 2-line block ×5, first 2 shown]
	v_cmp_lt_i32_e64 s[0:1], v30, v40
	v_cmp_lt_i32_e64 s[2:3], v45, v41
	;; [unrolled: 1-line block ×5, first 2 shown]
	v_add_u32_e32 v49, 32, v0
	s_waitcnt vmcnt(0)
	v_add_u32_e32 v51, 1, v50
	s_branch .LBB1_2
.LBB1_1:                                ;   in Loop: Header=BB1_2 Depth=1
	s_or_b64 exec, exec, s[12:13]
	v_sub_u32_e32 v53, v49, v52
	v_lshlrev_b32_e32 v50, 2, v52
	v_lshlrev_b32_e32 v54, 2, v53
	ds_read_b32 v50, v50
	ds_read_b32 v54, v54
	v_cmp_le_i32_e64 s[10:11], 32, v52
	v_cmp_gt_i32_e64 s[12:13], 64, v53
	s_waitcnt lgkmcnt(0)
	; wave barrier
	s_waitcnt lgkmcnt(0)
	v_cmp_lt_i32_e64 s[14:15], v54, v50
	s_or_b64 s[10:11], s[10:11], s[14:15]
	s_and_b64 s[10:11], s[12:13], s[10:11]
	v_cndmask_b32_e64 v52, v52, v53, s[10:11]
	ds_write_b32 v1, v51
	v_lshlrev_b32_e32 v51, 2, v52
	s_waitcnt lgkmcnt(0)
	; wave barrier
	s_waitcnt lgkmcnt(0)
	ds_read_b32 v51, v51
	s_add_i32 s21, s21, 1
	v_cndmask_b32_e64 v50, v50, v54, s[10:11]
	s_cmp_lg_u32 s21, 10
	s_cbranch_scc0 .LBB1_26
.LBB1_2:                                ; =>This Loop Header: Depth=1
                                        ;     Child Loop BB1_4 Depth 2
                                        ;     Child Loop BB1_8 Depth 2
	;; [unrolled: 1-line block ×6, first 2 shown]
	s_waitcnt lgkmcnt(0)
	; wave barrier
	ds_write_b32 v1, v50
	v_mov_b32_e32 v50, v30
	s_waitcnt lgkmcnt(0)
	; wave barrier
	s_waitcnt lgkmcnt(0)
	s_and_saveexec_b64 s[12:13], s[0:1]
	s_cbranch_execz .LBB1_6
; %bb.3:                                ;   in Loop: Header=BB1_2 Depth=1
	s_mov_b64 s[14:15], 0
	v_mov_b32_e32 v50, v30
	v_mov_b32_e32 v52, v40
.LBB1_4:                                ;   Parent Loop BB1_2 Depth=1
                                        ; =>  This Inner Loop Header: Depth=2
	v_sub_u32_e32 v53, v52, v50
	v_lshrrev_b32_e32 v54, 31, v53
	v_add_u32_e32 v53, v53, v54
	v_ashrrev_i32_e32 v53, 1, v53
	v_add_u32_e32 v53, v53, v50
	v_xad_u32 v55, v53, -1, v4
	v_lshl_add_u32 v54, v53, 2, v16
	v_lshl_add_u32 v55, v55, 2, v29
	ds_read_b32 v54, v54
	ds_read_b32 v55, v55
	v_add_u32_e32 v56, 1, v53
	s_waitcnt lgkmcnt(0)
	v_cmp_lt_i32_e64 s[10:11], v55, v54
	s_nop 1
	v_cndmask_b32_e64 v52, v52, v53, s[10:11]
	v_cndmask_b32_e64 v50, v56, v50, s[10:11]
	v_cmp_ge_i32_e64 s[10:11], v50, v52
	s_or_b64 s[14:15], s[10:11], s[14:15]
	s_andn2_b64 exec, exec, s[14:15]
	s_cbranch_execnz .LBB1_4
; %bb.5:                                ;   in Loop: Header=BB1_2 Depth=1
	s_or_b64 exec, exec, s[14:15]
.LBB1_6:                                ;   in Loop: Header=BB1_2 Depth=1
	s_or_b64 exec, exec, s[12:13]
	v_sub_u32_e32 v52, v31, v50
	v_lshl_add_u32 v53, v50, 2, v16
	v_lshlrev_b32_e32 v54, 2, v52
	ds_read_b32 v53, v53
	ds_read_b32 v54, v54
	v_add_u32_e32 v50, v50, v3
	v_cmp_le_i32_e64 s[12:13], v15, v50
	v_cmp_ge_i32_e64 s[10:11], v15, v52
	s_waitcnt lgkmcnt(0)
	v_cmp_lt_i32_e64 s[14:15], v54, v53
	s_or_b64 s[12:13], s[12:13], s[14:15]
	s_and_b64 s[10:11], s[10:11], s[12:13]
	v_cndmask_b32_e64 v50, v50, v52, s[10:11]
	v_lshlrev_b32_e32 v50, 2, v50
	; wave barrier
	ds_write_b32 v1, v51
	s_waitcnt lgkmcnt(0)
	; wave barrier
	s_waitcnt lgkmcnt(0)
	ds_read_b32 v50, v50
	v_cndmask_b32_e64 v53, v53, v54, s[10:11]
	v_mov_b32_e32 v51, v45
	s_waitcnt lgkmcnt(0)
	; wave barrier
	s_waitcnt lgkmcnt(0)
	ds_write_b32 v1, v53
	s_waitcnt lgkmcnt(0)
	; wave barrier
	s_waitcnt lgkmcnt(0)
	s_and_saveexec_b64 s[12:13], s[2:3]
	s_cbranch_execz .LBB1_10
; %bb.7:                                ;   in Loop: Header=BB1_2 Depth=1
	s_mov_b64 s[14:15], 0
	v_mov_b32_e32 v51, v45
	v_mov_b32_e32 v52, v41
.LBB1_8:                                ;   Parent Loop BB1_2 Depth=1
                                        ; =>  This Inner Loop Header: Depth=2
	v_sub_u32_e32 v53, v52, v51
	v_lshrrev_b32_e32 v54, 31, v53
	v_add_u32_e32 v53, v53, v54
	v_ashrrev_i32_e32 v53, 1, v53
	v_add_u32_e32 v53, v53, v51
	v_xad_u32 v55, v53, -1, v6
	v_lshl_add_u32 v54, v53, 2, v19
	v_lshl_add_u32 v55, v55, 2, v32
	ds_read_b32 v54, v54
	ds_read_b32 v55, v55
	v_add_u32_e32 v56, 1, v53
	s_waitcnt lgkmcnt(0)
	v_cmp_lt_i32_e64 s[10:11], v55, v54
	s_nop 1
	v_cndmask_b32_e64 v52, v52, v53, s[10:11]
	v_cndmask_b32_e64 v51, v56, v51, s[10:11]
	v_cmp_ge_i32_e64 s[10:11], v51, v52
	s_or_b64 s[14:15], s[10:11], s[14:15]
	s_andn2_b64 exec, exec, s[14:15]
	s_cbranch_execnz .LBB1_8
; %bb.9:                                ;   in Loop: Header=BB1_2 Depth=1
	s_or_b64 exec, exec, s[14:15]
.LBB1_10:                               ;   in Loop: Header=BB1_2 Depth=1
	s_or_b64 exec, exec, s[12:13]
	v_sub_u32_e32 v52, v33, v51
	v_lshl_add_u32 v53, v51, 2, v19
	v_lshlrev_b32_e32 v54, 2, v52
	ds_read_b32 v53, v53
	ds_read_b32 v54, v54
	v_add_u32_e32 v51, v51, v5
	v_cmp_le_i32_e64 s[12:13], v17, v51
	v_cmp_gt_i32_e64 s[10:11], v18, v52
	s_waitcnt lgkmcnt(0)
	v_cmp_lt_i32_e64 s[14:15], v54, v53
	s_or_b64 s[12:13], s[12:13], s[14:15]
	s_and_b64 s[10:11], s[10:11], s[12:13]
	v_cndmask_b32_e64 v51, v51, v52, s[10:11]
	; wave barrier
	ds_write_b32 v1, v50
	v_lshlrev_b32_e32 v50, 2, v51
	s_waitcnt lgkmcnt(0)
	; wave barrier
	s_waitcnt lgkmcnt(0)
	ds_read_b32 v50, v50
	v_cndmask_b32_e64 v53, v53, v54, s[10:11]
	v_mov_b32_e32 v51, v46
	s_waitcnt lgkmcnt(0)
	; wave barrier
	s_waitcnt lgkmcnt(0)
	ds_write_b32 v1, v53
	s_waitcnt lgkmcnt(0)
	; wave barrier
	s_waitcnt lgkmcnt(0)
	s_and_saveexec_b64 s[12:13], s[4:5]
	s_cbranch_execz .LBB1_14
; %bb.11:                               ;   in Loop: Header=BB1_2 Depth=1
	s_mov_b64 s[14:15], 0
	v_mov_b32_e32 v51, v46
	v_mov_b32_e32 v52, v42
.LBB1_12:                               ;   Parent Loop BB1_2 Depth=1
                                        ; =>  This Inner Loop Header: Depth=2
	v_sub_u32_e32 v53, v52, v51
	v_lshrrev_b32_e32 v54, 31, v53
	v_add_u32_e32 v53, v53, v54
	v_ashrrev_i32_e32 v53, 1, v53
	v_add_u32_e32 v53, v53, v51
	v_xad_u32 v55, v53, -1, v8
	v_lshl_add_u32 v54, v53, 2, v22
	v_lshl_add_u32 v55, v55, 2, v34
	ds_read_b32 v54, v54
	ds_read_b32 v55, v55
	v_add_u32_e32 v56, 1, v53
	s_waitcnt lgkmcnt(0)
	v_cmp_lt_i32_e64 s[10:11], v55, v54
	s_nop 1
	v_cndmask_b32_e64 v52, v52, v53, s[10:11]
	v_cndmask_b32_e64 v51, v56, v51, s[10:11]
	v_cmp_ge_i32_e64 s[10:11], v51, v52
	s_or_b64 s[14:15], s[10:11], s[14:15]
	s_andn2_b64 exec, exec, s[14:15]
	s_cbranch_execnz .LBB1_12
; %bb.13:                               ;   in Loop: Header=BB1_2 Depth=1
	s_or_b64 exec, exec, s[14:15]
.LBB1_14:                               ;   in Loop: Header=BB1_2 Depth=1
	s_or_b64 exec, exec, s[12:13]
	v_sub_u32_e32 v52, v35, v51
	v_lshl_add_u32 v53, v51, 2, v22
	v_lshlrev_b32_e32 v54, 2, v52
	ds_read_b32 v53, v53
	ds_read_b32 v54, v54
	v_add_u32_e32 v51, v51, v7
	v_cmp_le_i32_e64 s[12:13], v20, v51
	v_cmp_gt_i32_e64 s[10:11], v21, v52
	s_waitcnt lgkmcnt(0)
	v_cmp_lt_i32_e64 s[14:15], v54, v53
	s_or_b64 s[12:13], s[12:13], s[14:15]
	s_and_b64 s[10:11], s[10:11], s[12:13]
	v_cndmask_b32_e64 v51, v51, v52, s[10:11]
	; wave barrier
	ds_write_b32 v1, v50
	v_lshlrev_b32_e32 v50, 2, v51
	s_waitcnt lgkmcnt(0)
	; wave barrier
	s_waitcnt lgkmcnt(0)
	ds_read_b32 v50, v50
	v_cndmask_b32_e64 v53, v53, v54, s[10:11]
	v_mov_b32_e32 v51, v47
	s_waitcnt lgkmcnt(0)
	; wave barrier
	s_waitcnt lgkmcnt(0)
	ds_write_b32 v1, v53
	s_waitcnt lgkmcnt(0)
	; wave barrier
	s_waitcnt lgkmcnt(0)
	s_and_saveexec_b64 s[12:13], s[6:7]
	s_cbranch_execz .LBB1_18
; %bb.15:                               ;   in Loop: Header=BB1_2 Depth=1
	s_mov_b64 s[14:15], 0
	v_mov_b32_e32 v51, v47
	v_mov_b32_e32 v52, v43
.LBB1_16:                               ;   Parent Loop BB1_2 Depth=1
                                        ; =>  This Inner Loop Header: Depth=2
	v_sub_u32_e32 v53, v52, v51
	v_lshrrev_b32_e32 v54, 31, v53
	v_add_u32_e32 v53, v53, v54
	v_ashrrev_i32_e32 v53, 1, v53
	v_add_u32_e32 v53, v53, v51
	v_xad_u32 v55, v53, -1, v10
	v_lshl_add_u32 v54, v53, 2, v25
	v_lshl_add_u32 v55, v55, 2, v36
	ds_read_b32 v54, v54
	ds_read_b32 v55, v55
	v_add_u32_e32 v56, 1, v53
	s_waitcnt lgkmcnt(0)
	v_cmp_lt_i32_e64 s[10:11], v55, v54
	s_nop 1
	v_cndmask_b32_e64 v52, v52, v53, s[10:11]
	v_cndmask_b32_e64 v51, v56, v51, s[10:11]
	v_cmp_ge_i32_e64 s[10:11], v51, v52
	s_or_b64 s[14:15], s[10:11], s[14:15]
	s_andn2_b64 exec, exec, s[14:15]
	s_cbranch_execnz .LBB1_16
; %bb.17:                               ;   in Loop: Header=BB1_2 Depth=1
	s_or_b64 exec, exec, s[14:15]
.LBB1_18:                               ;   in Loop: Header=BB1_2 Depth=1
	;; [unrolled: 61-line block ×3, first 2 shown]
	s_or_b64 exec, exec, s[12:13]
	v_sub_u32_e32 v52, v39, v51
	v_lshl_add_u32 v53, v51, 2, v28
	v_lshlrev_b32_e32 v54, 2, v52
	ds_read_b32 v53, v53
	ds_read_b32 v54, v54
	v_add_u32_e32 v51, v51, v11
	v_cmp_le_i32_e64 s[12:13], v26, v51
	v_cmp_gt_i32_e64 s[10:11], v27, v52
	s_waitcnt lgkmcnt(0)
	v_cmp_lt_i32_e64 s[14:15], v54, v53
	s_or_b64 s[12:13], s[12:13], s[14:15]
	s_and_b64 s[10:11], s[10:11], s[12:13]
	v_cndmask_b32_e64 v51, v51, v52, s[10:11]
	; wave barrier
	ds_write_b32 v1, v50
	v_lshlrev_b32_e32 v50, 2, v51
	s_waitcnt lgkmcnt(0)
	; wave barrier
	s_waitcnt lgkmcnt(0)
	ds_read_b32 v51, v50
	v_cndmask_b32_e64 v53, v53, v54, s[10:11]
	v_mov_b32_e32 v52, v13
	s_waitcnt lgkmcnt(0)
	; wave barrier
	s_waitcnt lgkmcnt(0)
	ds_write_b32 v1, v53
	s_waitcnt lgkmcnt(0)
	; wave barrier
	s_waitcnt lgkmcnt(0)
	s_and_saveexec_b64 s[12:13], vcc
	s_cbranch_execz .LBB1_1
; %bb.23:                               ;   in Loop: Header=BB1_2 Depth=1
	s_mov_b64 s[14:15], 0
	v_mov_b32_e32 v52, v13
	v_mov_b32_e32 v50, v14
.LBB1_24:                               ;   Parent Loop BB1_2 Depth=1
                                        ; =>  This Inner Loop Header: Depth=2
	v_sub_u32_e32 v53, v50, v52
	v_lshrrev_b32_e32 v54, 31, v53
	v_add_u32_e32 v53, v53, v54
	v_ashrrev_i32_e32 v53, 1, v53
	v_add_u32_e32 v53, v53, v52
	v_xad_u32 v55, v53, -1, v0
	v_lshlrev_b32_e32 v54, 2, v53
	v_lshl_add_u32 v55, v55, 2, v2
	ds_read_b32 v54, v54
	ds_read_b32 v55, v55
	v_add_u32_e32 v56, 1, v53
	s_waitcnt lgkmcnt(0)
	v_cmp_lt_i32_e64 s[10:11], v55, v54
	s_nop 1
	v_cndmask_b32_e64 v50, v50, v53, s[10:11]
	v_cndmask_b32_e64 v52, v56, v52, s[10:11]
	v_cmp_ge_i32_e64 s[10:11], v52, v50
	s_or_b64 s[14:15], s[10:11], s[14:15]
	s_andn2_b64 exec, exec, s[14:15]
	s_cbranch_execnz .LBB1_24
; %bb.25:                               ;   in Loop: Header=BB1_2 Depth=1
	s_or_b64 exec, exec, s[14:15]
	s_branch .LBB1_1
.LBB1_26:
	s_add_u32 s0, s18, s22
	s_waitcnt lgkmcnt(0)
	v_add_u32_e32 v1, v50, v51
	s_addc_u32 s1, s19, s23
	v_lshlrev_b32_e32 v0, 2, v0
	global_store_dword v0, v1, s[0:1]
	s_endpgm
	.section	.rodata,"a",@progbits
	.p2align	6, 0x0
	.amdhsa_kernel _Z17sort_pairs_kernelIiLj64ELj1EN10test_utils4lessELj10EEvPKT_PS2_T2_
		.amdhsa_group_segment_fixed_size 260
		.amdhsa_private_segment_fixed_size 0
		.amdhsa_kernarg_size 20
		.amdhsa_user_sgpr_count 2
		.amdhsa_user_sgpr_dispatch_ptr 0
		.amdhsa_user_sgpr_queue_ptr 0
		.amdhsa_user_sgpr_kernarg_segment_ptr 1
		.amdhsa_user_sgpr_dispatch_id 0
		.amdhsa_user_sgpr_kernarg_preload_length 0
		.amdhsa_user_sgpr_kernarg_preload_offset 0
		.amdhsa_user_sgpr_private_segment_size 0
		.amdhsa_uses_dynamic_stack 0
		.amdhsa_enable_private_segment 0
		.amdhsa_system_sgpr_workgroup_id_x 1
		.amdhsa_system_sgpr_workgroup_id_y 0
		.amdhsa_system_sgpr_workgroup_id_z 0
		.amdhsa_system_sgpr_workgroup_info 0
		.amdhsa_system_vgpr_workitem_id 0
		.amdhsa_next_free_vgpr 57
		.amdhsa_next_free_sgpr 24
		.amdhsa_accum_offset 60
		.amdhsa_reserve_vcc 1
		.amdhsa_float_round_mode_32 0
		.amdhsa_float_round_mode_16_64 0
		.amdhsa_float_denorm_mode_32 3
		.amdhsa_float_denorm_mode_16_64 3
		.amdhsa_dx10_clamp 1
		.amdhsa_ieee_mode 1
		.amdhsa_fp16_overflow 0
		.amdhsa_tg_split 0
		.amdhsa_exception_fp_ieee_invalid_op 0
		.amdhsa_exception_fp_denorm_src 0
		.amdhsa_exception_fp_ieee_div_zero 0
		.amdhsa_exception_fp_ieee_overflow 0
		.amdhsa_exception_fp_ieee_underflow 0
		.amdhsa_exception_fp_ieee_inexact 0
		.amdhsa_exception_int_div_zero 0
	.end_amdhsa_kernel
	.section	.text._Z17sort_pairs_kernelIiLj64ELj1EN10test_utils4lessELj10EEvPKT_PS2_T2_,"axG",@progbits,_Z17sort_pairs_kernelIiLj64ELj1EN10test_utils4lessELj10EEvPKT_PS2_T2_,comdat
.Lfunc_end1:
	.size	_Z17sort_pairs_kernelIiLj64ELj1EN10test_utils4lessELj10EEvPKT_PS2_T2_, .Lfunc_end1-_Z17sort_pairs_kernelIiLj64ELj1EN10test_utils4lessELj10EEvPKT_PS2_T2_
                                        ; -- End function
	.section	.AMDGPU.csdata,"",@progbits
; Kernel info:
; codeLenInByte = 2180
; NumSgprs: 30
; NumVgprs: 57
; NumAgprs: 0
; TotalNumVgprs: 57
; ScratchSize: 0
; MemoryBound: 0
; FloatMode: 240
; IeeeMode: 1
; LDSByteSize: 260 bytes/workgroup (compile time only)
; SGPRBlocks: 3
; VGPRBlocks: 7
; NumSGPRsForWavesPerEU: 30
; NumVGPRsForWavesPerEU: 57
; AccumOffset: 60
; Occupancy: 8
; WaveLimiterHint : 0
; COMPUTE_PGM_RSRC2:SCRATCH_EN: 0
; COMPUTE_PGM_RSRC2:USER_SGPR: 2
; COMPUTE_PGM_RSRC2:TRAP_HANDLER: 0
; COMPUTE_PGM_RSRC2:TGID_X_EN: 1
; COMPUTE_PGM_RSRC2:TGID_Y_EN: 0
; COMPUTE_PGM_RSRC2:TGID_Z_EN: 0
; COMPUTE_PGM_RSRC2:TIDIG_COMP_CNT: 0
; COMPUTE_PGM_RSRC3_GFX90A:ACCUM_OFFSET: 14
; COMPUTE_PGM_RSRC3_GFX90A:TG_SPLIT: 0
	.section	.text._Z16sort_keys_kernelIiLj64ELj2EN10test_utils4lessELj10EEvPKT_PS2_T2_,"axG",@progbits,_Z16sort_keys_kernelIiLj64ELj2EN10test_utils4lessELj10EEvPKT_PS2_T2_,comdat
	.protected	_Z16sort_keys_kernelIiLj64ELj2EN10test_utils4lessELj10EEvPKT_PS2_T2_ ; -- Begin function _Z16sort_keys_kernelIiLj64ELj2EN10test_utils4lessELj10EEvPKT_PS2_T2_
	.globl	_Z16sort_keys_kernelIiLj64ELj2EN10test_utils4lessELj10EEvPKT_PS2_T2_
	.p2align	8
	.type	_Z16sort_keys_kernelIiLj64ELj2EN10test_utils4lessELj10EEvPKT_PS2_T2_,@function
_Z16sort_keys_kernelIiLj64ELj2EN10test_utils4lessELj10EEvPKT_PS2_T2_: ; @_Z16sort_keys_kernelIiLj64ELj2EN10test_utils4lessELj10EEvPKT_PS2_T2_
; %bb.0:
	s_load_dwordx4 s[16:19], s[0:1], 0x0
	s_lshl_b32 s20, s2, 7
	s_mov_b32 s21, 0
	s_lshl_b64 s[22:23], s[20:21], 2
	v_lshlrev_b32_e32 v1, 2, v0
	s_waitcnt lgkmcnt(0)
	s_add_u32 s0, s16, s22
	s_addc_u32 s1, s17, s23
	global_load_dword v52, v1, s[0:1]
	global_load_dword v53, v1, s[0:1] offset:256
	v_lshlrev_b32_e32 v1, 1, v0
	v_and_b32_e32 v3, 0x7c, v1
	v_and_b32_e32 v12, 0x78, v1
	;; [unrolled: 1-line block ×5, first 2 shown]
	v_or_b32_e32 v5, 2, v3
	v_add_u32_e32 v6, 4, v3
	v_or_b32_e32 v14, 4, v12
	v_add_u32_e32 v15, 8, v12
	;; [unrolled: 2-line block ×5, first 2 shown]
	v_and_b32_e32 v4, 2, v1
	v_sub_u32_e32 v9, v6, v5
	v_and_b32_e32 v13, 6, v1
	v_sub_u32_e32 v18, v15, v14
	;; [unrolled: 2-line block ×5, first 2 shown]
	v_sub_u32_e32 v10, v5, v3
	v_sub_u32_e32 v11, v4, v9
	v_cmp_ge_i32_e32 vcc, v4, v9
	v_sub_u32_e32 v19, v14, v12
	v_sub_u32_e32 v20, v13, v18
	v_cmp_ge_i32_e64 s[0:1], v13, v18
	v_sub_u32_e32 v28, v23, v21
	v_sub_u32_e32 v29, v22, v27
	v_cmp_ge_i32_e64 s[2:3], v22, v27
	;; [unrolled: 3-line block ×4, first 2 shown]
	v_cndmask_b32_e32 v9, 0, v11, vcc
	v_min_i32_e32 v10, v4, v10
	v_cndmask_b32_e64 v18, 0, v20, s[0:1]
	v_min_i32_e32 v19, v13, v19
	v_cndmask_b32_e64 v27, 0, v29, s[2:3]
	;; [unrolled: 2-line block ×4, first 2 shown]
	v_min_i32_e32 v46, v40, v46
	v_sub_u32_e64 v49, v1, 64 clamp
	v_min_i32_e32 v50, 64, v1
	v_lshlrev_b32_e32 v2, 3, v0
	v_lshlrev_b32_e32 v7, 2, v3
	;; [unrolled: 1-line block ×3, first 2 shown]
	v_cmp_lt_i32_e32 vcc, v9, v10
	v_add_u32_e32 v11, v5, v4
	v_lshlrev_b32_e32 v16, 2, v12
	v_lshlrev_b32_e32 v17, 2, v14
	v_cmp_lt_i32_e64 s[0:1], v18, v19
	v_add_u32_e32 v20, v14, v13
	v_lshlrev_b32_e32 v25, 2, v21
	v_lshlrev_b32_e32 v26, 2, v23
	v_cmp_lt_i32_e64 s[2:3], v27, v28
	;; [unrolled: 4-line block ×4, first 2 shown]
	v_add_u32_e32 v47, v41, v40
	v_mov_b32_e32 v48, 0x100
	v_cmp_lt_i32_e64 s[8:9], v49, v50
	v_add_u32_e32 v51, 64, v1
	s_movk_i32 s16, 0x80
	s_branch .LBB2_2
.LBB2_1:                                ;   in Loop: Header=BB2_2 Depth=1
	s_or_b64 exec, exec, s[12:13]
	v_cmp_le_i32_e64 s[12:13], 64, v53
	s_waitcnt lgkmcnt(0)
	v_cmp_lt_i32_e64 s[14:15], v56, v57
	v_cndmask_b32_e64 v52, v52, v55, s[10:11]
	v_cmp_gt_i32_e64 s[10:11], s16, v54
	s_or_b64 s[12:13], s[12:13], s[14:15]
	s_add_i32 s21, s21, 1
	s_and_b64 s[10:11], s[10:11], s[12:13]
	s_cmp_eq_u32 s21, 10
	v_cndmask_b32_e64 v53, v57, v56, s[10:11]
	s_cbranch_scc1 .LBB2_50
.LBB2_2:                                ; =>This Loop Header: Depth=1
                                        ;     Child Loop BB2_4 Depth 2
                                        ;     Child Loop BB2_12 Depth 2
	;; [unrolled: 1-line block ×6, first 2 shown]
	s_waitcnt vmcnt(0)
	v_cmp_lt_i32_e64 s[10:11], v53, v52
	s_waitcnt lgkmcnt(0)
	; wave barrier
	s_nop 0
	v_cndmask_b32_e64 v54, v53, v52, s[10:11]
	v_cndmask_b32_e64 v52, v52, v53, s[10:11]
	v_mov_b32_e32 v53, v9
	ds_write2_b32 v2, v52, v54 offset1:1
	s_waitcnt lgkmcnt(0)
	; wave barrier
	s_waitcnt lgkmcnt(0)
	s_and_saveexec_b64 s[12:13], vcc
	s_cbranch_execz .LBB2_6
; %bb.3:                                ;   in Loop: Header=BB2_2 Depth=1
	s_mov_b64 s[14:15], 0
	v_mov_b32_e32 v53, v9
	v_mov_b32_e32 v52, v10
.LBB2_4:                                ;   Parent Loop BB2_2 Depth=1
                                        ; =>  This Inner Loop Header: Depth=2
	v_sub_u32_e32 v54, v52, v53
	v_lshrrev_b32_e32 v55, 31, v54
	v_add_u32_e32 v54, v54, v55
	v_ashrrev_i32_e32 v54, 1, v54
	v_add_u32_e32 v54, v54, v53
	v_xad_u32 v56, v54, -1, v4
	v_lshl_add_u32 v55, v54, 2, v7
	v_lshl_add_u32 v56, v56, 2, v8
	ds_read_b32 v55, v55
	ds_read_b32 v56, v56
	v_add_u32_e32 v57, 1, v54
	s_waitcnt lgkmcnt(0)
	v_cmp_lt_i32_e64 s[10:11], v56, v55
	s_nop 1
	v_cndmask_b32_e64 v52, v52, v54, s[10:11]
	v_cndmask_b32_e64 v53, v57, v53, s[10:11]
	v_cmp_ge_i32_e64 s[10:11], v53, v52
	s_or_b64 s[14:15], s[10:11], s[14:15]
	s_andn2_b64 exec, exec, s[14:15]
	s_cbranch_execnz .LBB2_4
; %bb.5:                                ;   in Loop: Header=BB2_2 Depth=1
	s_or_b64 exec, exec, s[14:15]
.LBB2_6:                                ;   in Loop: Header=BB2_2 Depth=1
	s_or_b64 exec, exec, s[12:13]
	v_sub_u32_e32 v52, v11, v53
	v_lshl_add_u32 v59, v53, 2, v7
	v_lshlrev_b32_e32 v58, 2, v52
	ds_read_b32 v54, v59
	ds_read_b32 v55, v58
	v_add_u32_e32 v53, v53, v3
	v_cmp_le_i32_e64 s[12:13], v5, v53
	v_cmp_gt_i32_e64 s[10:11], v6, v52
                                        ; implicit-def: $vgpr56
                                        ; implicit-def: $vgpr57
	s_waitcnt lgkmcnt(0)
	v_cmp_lt_i32_e64 s[14:15], v55, v54
	s_or_b64 s[12:13], s[12:13], s[14:15]
	s_and_b64 s[10:11], s[10:11], s[12:13]
	s_xor_b64 s[12:13], s[10:11], -1
	s_and_saveexec_b64 s[14:15], s[12:13]
	s_xor_b64 s[12:13], exec, s[14:15]
	s_cbranch_execz .LBB2_8
; %bb.7:                                ;   in Loop: Header=BB2_2 Depth=1
	ds_read_b32 v57, v59 offset:4
	v_mov_b32_e32 v56, v55
                                        ; implicit-def: $vgpr58
.LBB2_8:                                ;   in Loop: Header=BB2_2 Depth=1
	s_andn2_saveexec_b64 s[12:13], s[12:13]
	s_cbranch_execz .LBB2_10
; %bb.9:                                ;   in Loop: Header=BB2_2 Depth=1
	ds_read_b32 v56, v58 offset:4
	s_waitcnt lgkmcnt(1)
	v_mov_b32_e32 v57, v54
.LBB2_10:                               ;   in Loop: Header=BB2_2 Depth=1
	s_or_b64 exec, exec, s[12:13]
	v_add_u32_e32 v58, 1, v53
	v_cndmask_b32_e64 v54, v54, v55, s[10:11]
	v_add_u32_e32 v55, 1, v52
	v_cndmask_b32_e64 v53, v58, v53, s[10:11]
	v_cndmask_b32_e64 v52, v52, v55, s[10:11]
	v_cmp_ge_i32_e64 s[12:13], v53, v5
	s_waitcnt lgkmcnt(0)
	v_cmp_lt_i32_e64 s[14:15], v56, v57
	v_cmp_lt_i32_e64 s[10:11], v52, v6
	s_or_b64 s[12:13], s[12:13], s[14:15]
	s_and_b64 s[10:11], s[10:11], s[12:13]
	v_cndmask_b32_e64 v52, v57, v56, s[10:11]
	s_waitcnt lgkmcnt(0)
	; wave barrier
	ds_write2_b32 v2, v54, v52 offset1:1
	v_mov_b32_e32 v52, v18
	s_waitcnt lgkmcnt(0)
	; wave barrier
	s_waitcnt lgkmcnt(0)
	s_and_saveexec_b64 s[12:13], s[0:1]
	s_cbranch_execz .LBB2_14
; %bb.11:                               ;   in Loop: Header=BB2_2 Depth=1
	s_mov_b64 s[14:15], 0
	v_mov_b32_e32 v52, v18
	v_mov_b32_e32 v53, v19
.LBB2_12:                               ;   Parent Loop BB2_2 Depth=1
                                        ; =>  This Inner Loop Header: Depth=2
	v_sub_u32_e32 v54, v53, v52
	v_lshrrev_b32_e32 v55, 31, v54
	v_add_u32_e32 v54, v54, v55
	v_ashrrev_i32_e32 v54, 1, v54
	v_add_u32_e32 v54, v54, v52
	v_xad_u32 v56, v54, -1, v13
	v_lshl_add_u32 v55, v54, 2, v16
	v_lshl_add_u32 v56, v56, 2, v17
	ds_read_b32 v55, v55
	ds_read_b32 v56, v56
	v_add_u32_e32 v57, 1, v54
	s_waitcnt lgkmcnt(0)
	v_cmp_lt_i32_e64 s[10:11], v56, v55
	s_nop 1
	v_cndmask_b32_e64 v53, v53, v54, s[10:11]
	v_cndmask_b32_e64 v52, v57, v52, s[10:11]
	v_cmp_ge_i32_e64 s[10:11], v52, v53
	s_or_b64 s[14:15], s[10:11], s[14:15]
	s_andn2_b64 exec, exec, s[14:15]
	s_cbranch_execnz .LBB2_12
; %bb.13:                               ;   in Loop: Header=BB2_2 Depth=1
	s_or_b64 exec, exec, s[14:15]
.LBB2_14:                               ;   in Loop: Header=BB2_2 Depth=1
	s_or_b64 exec, exec, s[12:13]
	v_sub_u32_e32 v53, v20, v52
	v_lshl_add_u32 v59, v52, 2, v16
	v_lshlrev_b32_e32 v58, 2, v53
	ds_read_b32 v54, v59
	ds_read_b32 v55, v58
	v_add_u32_e32 v52, v52, v12
	v_cmp_le_i32_e64 s[12:13], v14, v52
	v_cmp_gt_i32_e64 s[10:11], v15, v53
                                        ; implicit-def: $vgpr56
                                        ; implicit-def: $vgpr57
	s_waitcnt lgkmcnt(0)
	v_cmp_lt_i32_e64 s[14:15], v55, v54
	s_or_b64 s[12:13], s[12:13], s[14:15]
	s_and_b64 s[10:11], s[10:11], s[12:13]
	s_xor_b64 s[12:13], s[10:11], -1
	s_and_saveexec_b64 s[14:15], s[12:13]
	s_xor_b64 s[12:13], exec, s[14:15]
	s_cbranch_execz .LBB2_16
; %bb.15:                               ;   in Loop: Header=BB2_2 Depth=1
	ds_read_b32 v57, v59 offset:4
	v_mov_b32_e32 v56, v55
                                        ; implicit-def: $vgpr58
.LBB2_16:                               ;   in Loop: Header=BB2_2 Depth=1
	s_andn2_saveexec_b64 s[12:13], s[12:13]
	s_cbranch_execz .LBB2_18
; %bb.17:                               ;   in Loop: Header=BB2_2 Depth=1
	ds_read_b32 v56, v58 offset:4
	s_waitcnt lgkmcnt(1)
	v_mov_b32_e32 v57, v54
.LBB2_18:                               ;   in Loop: Header=BB2_2 Depth=1
	s_or_b64 exec, exec, s[12:13]
	v_add_u32_e32 v58, 1, v52
	v_cndmask_b32_e64 v54, v54, v55, s[10:11]
	v_add_u32_e32 v55, 1, v53
	v_cndmask_b32_e64 v52, v58, v52, s[10:11]
	v_cndmask_b32_e64 v53, v53, v55, s[10:11]
	v_cmp_ge_i32_e64 s[12:13], v52, v14
	s_waitcnt lgkmcnt(0)
	v_cmp_lt_i32_e64 s[14:15], v56, v57
	v_cmp_lt_i32_e64 s[10:11], v53, v15
	s_or_b64 s[12:13], s[12:13], s[14:15]
	s_and_b64 s[10:11], s[10:11], s[12:13]
	v_cndmask_b32_e64 v52, v57, v56, s[10:11]
	s_waitcnt lgkmcnt(0)
	; wave barrier
	ds_write2_b32 v2, v54, v52 offset1:1
	v_mov_b32_e32 v52, v27
	s_waitcnt lgkmcnt(0)
	; wave barrier
	s_waitcnt lgkmcnt(0)
	s_and_saveexec_b64 s[12:13], s[2:3]
	s_cbranch_execz .LBB2_22
; %bb.19:                               ;   in Loop: Header=BB2_2 Depth=1
	s_mov_b64 s[14:15], 0
	v_mov_b32_e32 v52, v27
	v_mov_b32_e32 v53, v28
.LBB2_20:                               ;   Parent Loop BB2_2 Depth=1
                                        ; =>  This Inner Loop Header: Depth=2
	v_sub_u32_e32 v54, v53, v52
	v_lshrrev_b32_e32 v55, 31, v54
	v_add_u32_e32 v54, v54, v55
	v_ashrrev_i32_e32 v54, 1, v54
	v_add_u32_e32 v54, v54, v52
	v_xad_u32 v56, v54, -1, v22
	v_lshl_add_u32 v55, v54, 2, v25
	v_lshl_add_u32 v56, v56, 2, v26
	ds_read_b32 v55, v55
	ds_read_b32 v56, v56
	v_add_u32_e32 v57, 1, v54
	s_waitcnt lgkmcnt(0)
	v_cmp_lt_i32_e64 s[10:11], v56, v55
	s_nop 1
	v_cndmask_b32_e64 v53, v53, v54, s[10:11]
	v_cndmask_b32_e64 v52, v57, v52, s[10:11]
	v_cmp_ge_i32_e64 s[10:11], v52, v53
	s_or_b64 s[14:15], s[10:11], s[14:15]
	s_andn2_b64 exec, exec, s[14:15]
	s_cbranch_execnz .LBB2_20
; %bb.21:                               ;   in Loop: Header=BB2_2 Depth=1
	s_or_b64 exec, exec, s[14:15]
.LBB2_22:                               ;   in Loop: Header=BB2_2 Depth=1
	s_or_b64 exec, exec, s[12:13]
	v_sub_u32_e32 v53, v29, v52
	v_lshl_add_u32 v59, v52, 2, v25
	v_lshlrev_b32_e32 v58, 2, v53
	ds_read_b32 v54, v59
	ds_read_b32 v55, v58
	v_add_u32_e32 v52, v52, v21
	v_cmp_le_i32_e64 s[12:13], v23, v52
	v_cmp_gt_i32_e64 s[10:11], v24, v53
                                        ; implicit-def: $vgpr56
                                        ; implicit-def: $vgpr57
	s_waitcnt lgkmcnt(0)
	v_cmp_lt_i32_e64 s[14:15], v55, v54
	s_or_b64 s[12:13], s[12:13], s[14:15]
	s_and_b64 s[10:11], s[10:11], s[12:13]
	s_xor_b64 s[12:13], s[10:11], -1
	s_and_saveexec_b64 s[14:15], s[12:13]
	s_xor_b64 s[12:13], exec, s[14:15]
	s_cbranch_execz .LBB2_24
; %bb.23:                               ;   in Loop: Header=BB2_2 Depth=1
	ds_read_b32 v57, v59 offset:4
	v_mov_b32_e32 v56, v55
                                        ; implicit-def: $vgpr58
.LBB2_24:                               ;   in Loop: Header=BB2_2 Depth=1
	s_andn2_saveexec_b64 s[12:13], s[12:13]
	s_cbranch_execz .LBB2_26
; %bb.25:                               ;   in Loop: Header=BB2_2 Depth=1
	ds_read_b32 v56, v58 offset:4
	s_waitcnt lgkmcnt(1)
	v_mov_b32_e32 v57, v54
.LBB2_26:                               ;   in Loop: Header=BB2_2 Depth=1
	s_or_b64 exec, exec, s[12:13]
	v_add_u32_e32 v58, 1, v52
	v_cndmask_b32_e64 v54, v54, v55, s[10:11]
	v_add_u32_e32 v55, 1, v53
	v_cndmask_b32_e64 v52, v58, v52, s[10:11]
	v_cndmask_b32_e64 v53, v53, v55, s[10:11]
	v_cmp_ge_i32_e64 s[12:13], v52, v23
	s_waitcnt lgkmcnt(0)
	v_cmp_lt_i32_e64 s[14:15], v56, v57
	v_cmp_lt_i32_e64 s[10:11], v53, v24
	s_or_b64 s[12:13], s[12:13], s[14:15]
	s_and_b64 s[10:11], s[10:11], s[12:13]
	v_cndmask_b32_e64 v52, v57, v56, s[10:11]
	s_waitcnt lgkmcnt(0)
	; wave barrier
	ds_write2_b32 v2, v54, v52 offset1:1
	v_mov_b32_e32 v52, v36
	s_waitcnt lgkmcnt(0)
	; wave barrier
	s_waitcnt lgkmcnt(0)
	s_and_saveexec_b64 s[12:13], s[4:5]
	s_cbranch_execz .LBB2_30
; %bb.27:                               ;   in Loop: Header=BB2_2 Depth=1
	s_mov_b64 s[14:15], 0
	v_mov_b32_e32 v52, v36
	v_mov_b32_e32 v53, v37
.LBB2_28:                               ;   Parent Loop BB2_2 Depth=1
                                        ; =>  This Inner Loop Header: Depth=2
	v_sub_u32_e32 v54, v53, v52
	v_lshrrev_b32_e32 v55, 31, v54
	v_add_u32_e32 v54, v54, v55
	v_ashrrev_i32_e32 v54, 1, v54
	v_add_u32_e32 v54, v54, v52
	v_xad_u32 v56, v54, -1, v31
	v_lshl_add_u32 v55, v54, 2, v34
	v_lshl_add_u32 v56, v56, 2, v35
	ds_read_b32 v55, v55
	ds_read_b32 v56, v56
	v_add_u32_e32 v57, 1, v54
	s_waitcnt lgkmcnt(0)
	v_cmp_lt_i32_e64 s[10:11], v56, v55
	s_nop 1
	v_cndmask_b32_e64 v53, v53, v54, s[10:11]
	v_cndmask_b32_e64 v52, v57, v52, s[10:11]
	v_cmp_ge_i32_e64 s[10:11], v52, v53
	s_or_b64 s[14:15], s[10:11], s[14:15]
	s_andn2_b64 exec, exec, s[14:15]
	s_cbranch_execnz .LBB2_28
; %bb.29:                               ;   in Loop: Header=BB2_2 Depth=1
	s_or_b64 exec, exec, s[14:15]
.LBB2_30:                               ;   in Loop: Header=BB2_2 Depth=1
	s_or_b64 exec, exec, s[12:13]
	v_sub_u32_e32 v53, v38, v52
	v_lshl_add_u32 v59, v52, 2, v34
	v_lshlrev_b32_e32 v58, 2, v53
	ds_read_b32 v54, v59
	ds_read_b32 v55, v58
	v_add_u32_e32 v52, v52, v30
	v_cmp_le_i32_e64 s[12:13], v32, v52
	v_cmp_gt_i32_e64 s[10:11], v33, v53
                                        ; implicit-def: $vgpr56
                                        ; implicit-def: $vgpr57
	s_waitcnt lgkmcnt(0)
	v_cmp_lt_i32_e64 s[14:15], v55, v54
	s_or_b64 s[12:13], s[12:13], s[14:15]
	s_and_b64 s[10:11], s[10:11], s[12:13]
	s_xor_b64 s[12:13], s[10:11], -1
	s_and_saveexec_b64 s[14:15], s[12:13]
	s_xor_b64 s[12:13], exec, s[14:15]
	s_cbranch_execz .LBB2_32
; %bb.31:                               ;   in Loop: Header=BB2_2 Depth=1
	ds_read_b32 v57, v59 offset:4
	v_mov_b32_e32 v56, v55
                                        ; implicit-def: $vgpr58
.LBB2_32:                               ;   in Loop: Header=BB2_2 Depth=1
	s_andn2_saveexec_b64 s[12:13], s[12:13]
	s_cbranch_execz .LBB2_34
; %bb.33:                               ;   in Loop: Header=BB2_2 Depth=1
	ds_read_b32 v56, v58 offset:4
	s_waitcnt lgkmcnt(1)
	v_mov_b32_e32 v57, v54
.LBB2_34:                               ;   in Loop: Header=BB2_2 Depth=1
	s_or_b64 exec, exec, s[12:13]
	v_add_u32_e32 v58, 1, v52
	v_cndmask_b32_e64 v54, v54, v55, s[10:11]
	v_add_u32_e32 v55, 1, v53
	v_cndmask_b32_e64 v52, v58, v52, s[10:11]
	v_cndmask_b32_e64 v53, v53, v55, s[10:11]
	v_cmp_ge_i32_e64 s[12:13], v52, v32
	s_waitcnt lgkmcnt(0)
	v_cmp_lt_i32_e64 s[14:15], v56, v57
	v_cmp_lt_i32_e64 s[10:11], v53, v33
	s_or_b64 s[12:13], s[12:13], s[14:15]
	s_and_b64 s[10:11], s[10:11], s[12:13]
	v_cndmask_b32_e64 v52, v57, v56, s[10:11]
	s_waitcnt lgkmcnt(0)
	; wave barrier
	ds_write2_b32 v2, v54, v52 offset1:1
	v_mov_b32_e32 v52, v45
	s_waitcnt lgkmcnt(0)
	; wave barrier
	s_waitcnt lgkmcnt(0)
	s_and_saveexec_b64 s[12:13], s[6:7]
	s_cbranch_execz .LBB2_38
; %bb.35:                               ;   in Loop: Header=BB2_2 Depth=1
	s_mov_b64 s[14:15], 0
	v_mov_b32_e32 v52, v45
	v_mov_b32_e32 v53, v46
.LBB2_36:                               ;   Parent Loop BB2_2 Depth=1
                                        ; =>  This Inner Loop Header: Depth=2
	v_sub_u32_e32 v54, v53, v52
	v_lshrrev_b32_e32 v55, 31, v54
	v_add_u32_e32 v54, v54, v55
	v_ashrrev_i32_e32 v54, 1, v54
	v_add_u32_e32 v54, v54, v52
	v_xad_u32 v56, v54, -1, v40
	v_lshl_add_u32 v55, v54, 2, v43
	v_lshl_add_u32 v56, v56, 2, v44
	ds_read_b32 v55, v55
	ds_read_b32 v56, v56
	v_add_u32_e32 v57, 1, v54
	s_waitcnt lgkmcnt(0)
	v_cmp_lt_i32_e64 s[10:11], v56, v55
	s_nop 1
	v_cndmask_b32_e64 v53, v53, v54, s[10:11]
	v_cndmask_b32_e64 v52, v57, v52, s[10:11]
	v_cmp_ge_i32_e64 s[10:11], v52, v53
	s_or_b64 s[14:15], s[10:11], s[14:15]
	s_andn2_b64 exec, exec, s[14:15]
	s_cbranch_execnz .LBB2_36
; %bb.37:                               ;   in Loop: Header=BB2_2 Depth=1
	s_or_b64 exec, exec, s[14:15]
.LBB2_38:                               ;   in Loop: Header=BB2_2 Depth=1
	s_or_b64 exec, exec, s[12:13]
	v_sub_u32_e32 v53, v47, v52
	v_lshl_add_u32 v59, v52, 2, v43
	v_lshlrev_b32_e32 v58, 2, v53
	ds_read_b32 v54, v59
	ds_read_b32 v55, v58
	v_add_u32_e32 v52, v52, v39
	v_cmp_le_i32_e64 s[12:13], v41, v52
	v_cmp_gt_i32_e64 s[10:11], v42, v53
                                        ; implicit-def: $vgpr56
                                        ; implicit-def: $vgpr57
	s_waitcnt lgkmcnt(0)
	v_cmp_lt_i32_e64 s[14:15], v55, v54
	s_or_b64 s[12:13], s[12:13], s[14:15]
	s_and_b64 s[10:11], s[10:11], s[12:13]
	s_xor_b64 s[12:13], s[10:11], -1
	s_and_saveexec_b64 s[14:15], s[12:13]
	s_xor_b64 s[12:13], exec, s[14:15]
	s_cbranch_execz .LBB2_40
; %bb.39:                               ;   in Loop: Header=BB2_2 Depth=1
	ds_read_b32 v57, v59 offset:4
	v_mov_b32_e32 v56, v55
                                        ; implicit-def: $vgpr58
.LBB2_40:                               ;   in Loop: Header=BB2_2 Depth=1
	s_andn2_saveexec_b64 s[12:13], s[12:13]
	s_cbranch_execz .LBB2_42
; %bb.41:                               ;   in Loop: Header=BB2_2 Depth=1
	ds_read_b32 v56, v58 offset:4
	s_waitcnt lgkmcnt(1)
	v_mov_b32_e32 v57, v54
.LBB2_42:                               ;   in Loop: Header=BB2_2 Depth=1
	s_or_b64 exec, exec, s[12:13]
	v_add_u32_e32 v58, 1, v52
	v_cndmask_b32_e64 v54, v54, v55, s[10:11]
	v_add_u32_e32 v55, 1, v53
	v_cndmask_b32_e64 v52, v58, v52, s[10:11]
	v_cndmask_b32_e64 v53, v53, v55, s[10:11]
	v_cmp_ge_i32_e64 s[12:13], v52, v41
	s_waitcnt lgkmcnt(0)
	v_cmp_lt_i32_e64 s[14:15], v56, v57
	v_cmp_lt_i32_e64 s[10:11], v53, v42
	s_or_b64 s[12:13], s[12:13], s[14:15]
	s_and_b64 s[10:11], s[10:11], s[12:13]
	v_cndmask_b32_e64 v52, v57, v56, s[10:11]
	v_mov_b32_e32 v53, v49
	s_waitcnt lgkmcnt(0)
	; wave barrier
	ds_write2_b32 v2, v54, v52 offset1:1
	s_waitcnt lgkmcnt(0)
	; wave barrier
	s_waitcnt lgkmcnt(0)
	s_and_saveexec_b64 s[12:13], s[8:9]
	s_cbranch_execz .LBB2_46
; %bb.43:                               ;   in Loop: Header=BB2_2 Depth=1
	s_mov_b64 s[14:15], 0
	v_mov_b32_e32 v53, v49
	v_mov_b32_e32 v52, v50
.LBB2_44:                               ;   Parent Loop BB2_2 Depth=1
                                        ; =>  This Inner Loop Header: Depth=2
	v_sub_u32_e32 v54, v52, v53
	v_lshrrev_b32_e32 v55, 31, v54
	v_add_u32_e32 v54, v54, v55
	v_ashrrev_i32_e32 v54, 1, v54
	v_add_u32_e32 v54, v54, v53
	v_xad_u32 v56, v54, -1, v1
	v_lshlrev_b32_e32 v55, 2, v54
	v_lshl_add_u32 v56, v56, 2, v48
	ds_read_b32 v55, v55
	ds_read_b32 v56, v56
	v_add_u32_e32 v57, 1, v54
	s_waitcnt lgkmcnt(0)
	v_cmp_lt_i32_e64 s[10:11], v56, v55
	s_nop 1
	v_cndmask_b32_e64 v52, v52, v54, s[10:11]
	v_cndmask_b32_e64 v53, v57, v53, s[10:11]
	v_cmp_ge_i32_e64 s[10:11], v53, v52
	s_or_b64 s[14:15], s[10:11], s[14:15]
	s_andn2_b64 exec, exec, s[14:15]
	s_cbranch_execnz .LBB2_44
; %bb.45:                               ;   in Loop: Header=BB2_2 Depth=1
	s_or_b64 exec, exec, s[14:15]
.LBB2_46:                               ;   in Loop: Header=BB2_2 Depth=1
	s_or_b64 exec, exec, s[12:13]
	v_sub_u32_e32 v54, v51, v53
	v_lshlrev_b32_e32 v59, 2, v53
	v_lshlrev_b32_e32 v58, 2, v54
	ds_read_b32 v52, v59
	ds_read_b32 v55, v58
	v_cmp_le_i32_e64 s[12:13], 64, v53
	v_cmp_gt_i32_e64 s[10:11], s16, v54
                                        ; implicit-def: $vgpr56
                                        ; implicit-def: $vgpr57
	s_waitcnt lgkmcnt(0)
	v_cmp_lt_i32_e64 s[14:15], v55, v52
	s_or_b64 s[12:13], s[12:13], s[14:15]
	s_and_b64 s[10:11], s[10:11], s[12:13]
	s_xor_b64 s[12:13], s[10:11], -1
	s_and_saveexec_b64 s[14:15], s[12:13]
	s_xor_b64 s[12:13], exec, s[14:15]
	s_cbranch_execz .LBB2_48
; %bb.47:                               ;   in Loop: Header=BB2_2 Depth=1
	ds_read_b32 v57, v59 offset:4
	v_add_u32_e32 v53, 1, v53
	v_mov_b32_e32 v56, v55
                                        ; implicit-def: $vgpr58
.LBB2_48:                               ;   in Loop: Header=BB2_2 Depth=1
	s_andn2_saveexec_b64 s[12:13], s[12:13]
	s_cbranch_execz .LBB2_1
; %bb.49:                               ;   in Loop: Header=BB2_2 Depth=1
	ds_read_b32 v56, v58 offset:4
	v_add_u32_e32 v54, 1, v54
	s_waitcnt lgkmcnt(1)
	v_mov_b32_e32 v57, v52
	s_branch .LBB2_1
.LBB2_50:
	s_add_u32 s0, s18, s22
	s_addc_u32 s1, s19, s23
	v_lshlrev_b32_e32 v0, 2, v0
	global_store_dword v0, v52, s[0:1]
	global_store_dword v0, v53, s[0:1] offset:256
	s_endpgm
	.section	.rodata,"a",@progbits
	.p2align	6, 0x0
	.amdhsa_kernel _Z16sort_keys_kernelIiLj64ELj2EN10test_utils4lessELj10EEvPKT_PS2_T2_
		.amdhsa_group_segment_fixed_size 516
		.amdhsa_private_segment_fixed_size 0
		.amdhsa_kernarg_size 20
		.amdhsa_user_sgpr_count 2
		.amdhsa_user_sgpr_dispatch_ptr 0
		.amdhsa_user_sgpr_queue_ptr 0
		.amdhsa_user_sgpr_kernarg_segment_ptr 1
		.amdhsa_user_sgpr_dispatch_id 0
		.amdhsa_user_sgpr_kernarg_preload_length 0
		.amdhsa_user_sgpr_kernarg_preload_offset 0
		.amdhsa_user_sgpr_private_segment_size 0
		.amdhsa_uses_dynamic_stack 0
		.amdhsa_enable_private_segment 0
		.amdhsa_system_sgpr_workgroup_id_x 1
		.amdhsa_system_sgpr_workgroup_id_y 0
		.amdhsa_system_sgpr_workgroup_id_z 0
		.amdhsa_system_sgpr_workgroup_info 0
		.amdhsa_system_vgpr_workitem_id 0
		.amdhsa_next_free_vgpr 60
		.amdhsa_next_free_sgpr 24
		.amdhsa_accum_offset 60
		.amdhsa_reserve_vcc 1
		.amdhsa_float_round_mode_32 0
		.amdhsa_float_round_mode_16_64 0
		.amdhsa_float_denorm_mode_32 3
		.amdhsa_float_denorm_mode_16_64 3
		.amdhsa_dx10_clamp 1
		.amdhsa_ieee_mode 1
		.amdhsa_fp16_overflow 0
		.amdhsa_tg_split 0
		.amdhsa_exception_fp_ieee_invalid_op 0
		.amdhsa_exception_fp_denorm_src 0
		.amdhsa_exception_fp_ieee_div_zero 0
		.amdhsa_exception_fp_ieee_overflow 0
		.amdhsa_exception_fp_ieee_underflow 0
		.amdhsa_exception_fp_ieee_inexact 0
		.amdhsa_exception_int_div_zero 0
	.end_amdhsa_kernel
	.section	.text._Z16sort_keys_kernelIiLj64ELj2EN10test_utils4lessELj10EEvPKT_PS2_T2_,"axG",@progbits,_Z16sort_keys_kernelIiLj64ELj2EN10test_utils4lessELj10EEvPKT_PS2_T2_,comdat
.Lfunc_end2:
	.size	_Z16sort_keys_kernelIiLj64ELj2EN10test_utils4lessELj10EEvPKT_PS2_T2_, .Lfunc_end2-_Z16sort_keys_kernelIiLj64ELj2EN10test_utils4lessELj10EEvPKT_PS2_T2_
                                        ; -- End function
	.section	.AMDGPU.csdata,"",@progbits
; Kernel info:
; codeLenInByte = 2728
; NumSgprs: 30
; NumVgprs: 60
; NumAgprs: 0
; TotalNumVgprs: 60
; ScratchSize: 0
; MemoryBound: 0
; FloatMode: 240
; IeeeMode: 1
; LDSByteSize: 516 bytes/workgroup (compile time only)
; SGPRBlocks: 3
; VGPRBlocks: 7
; NumSGPRsForWavesPerEU: 30
; NumVGPRsForWavesPerEU: 60
; AccumOffset: 60
; Occupancy: 8
; WaveLimiterHint : 1
; COMPUTE_PGM_RSRC2:SCRATCH_EN: 0
; COMPUTE_PGM_RSRC2:USER_SGPR: 2
; COMPUTE_PGM_RSRC2:TRAP_HANDLER: 0
; COMPUTE_PGM_RSRC2:TGID_X_EN: 1
; COMPUTE_PGM_RSRC2:TGID_Y_EN: 0
; COMPUTE_PGM_RSRC2:TGID_Z_EN: 0
; COMPUTE_PGM_RSRC2:TIDIG_COMP_CNT: 0
; COMPUTE_PGM_RSRC3_GFX90A:ACCUM_OFFSET: 14
; COMPUTE_PGM_RSRC3_GFX90A:TG_SPLIT: 0
	.section	.text._Z17sort_pairs_kernelIiLj64ELj2EN10test_utils4lessELj10EEvPKT_PS2_T2_,"axG",@progbits,_Z17sort_pairs_kernelIiLj64ELj2EN10test_utils4lessELj10EEvPKT_PS2_T2_,comdat
	.protected	_Z17sort_pairs_kernelIiLj64ELj2EN10test_utils4lessELj10EEvPKT_PS2_T2_ ; -- Begin function _Z17sort_pairs_kernelIiLj64ELj2EN10test_utils4lessELj10EEvPKT_PS2_T2_
	.globl	_Z17sort_pairs_kernelIiLj64ELj2EN10test_utils4lessELj10EEvPKT_PS2_T2_
	.p2align	8
	.type	_Z17sort_pairs_kernelIiLj64ELj2EN10test_utils4lessELj10EEvPKT_PS2_T2_,@function
_Z17sort_pairs_kernelIiLj64ELj2EN10test_utils4lessELj10EEvPKT_PS2_T2_: ; @_Z17sort_pairs_kernelIiLj64ELj2EN10test_utils4lessELj10EEvPKT_PS2_T2_
; %bb.0:
	s_load_dwordx4 s[16:19], s[0:1], 0x0
	s_lshl_b32 s22, s2, 7
	s_mov_b32 s23, 0
	s_lshl_b64 s[20:21], s[22:23], 2
	v_lshlrev_b32_e32 v1, 2, v0
	s_waitcnt lgkmcnt(0)
	s_add_u32 s0, s16, s20
	s_addc_u32 s1, s17, s21
	global_load_dword v2, v1, s[0:1]
	global_load_dword v3, v1, s[0:1] offset:256
	v_lshlrev_b32_e32 v5, 1, v0
	v_and_b32_e32 v7, 0x7c, v5
	v_and_b32_e32 v9, 0x78, v5
	v_or_b32_e32 v19, 2, v7
	v_add_u32_e32 v20, 4, v7
	v_and_b32_e32 v8, 2, v5
	v_and_b32_e32 v11, 0x70, v5
	v_or_b32_e32 v22, 4, v9
	v_add_u32_e32 v23, 8, v9
	v_sub_u32_e32 v49, v20, v19
	v_and_b32_e32 v10, 6, v5
	v_and_b32_e32 v13, 0x60, v5
	v_or_b32_e32 v25, 8, v11
	v_add_u32_e32 v26, 16, v11
	v_sub_u32_e32 v4, v19, v7
	v_sub_u32_e32 v50, v23, v22
	v_sub_u32_e32 v54, v8, v49
	v_cmp_ge_i32_e32 vcc, v8, v49
	v_and_b32_e32 v12, 14, v5
	v_and_b32_e32 v15, 64, v5
	v_or_b32_e32 v28, 16, v13
	v_add_u32_e32 v29, 32, v13
	v_sub_u32_e32 v51, v26, v25
	v_min_i32_e32 v44, v8, v4
	v_sub_u32_e32 v4, v10, v50
	v_cndmask_b32_e32 v49, 0, v54, vcc
	v_cmp_ge_i32_e32 vcc, v10, v50
	v_and_b32_e32 v14, 30, v5
	v_or_b32_e32 v31, 32, v15
	v_add_u32_e32 v32, 64, v15
	v_sub_u32_e32 v52, v29, v28
	v_sub_u32_e32 v55, v12, v51
	v_cndmask_b32_e32 v50, 0, v4, vcc
	v_cmp_ge_i32_e32 vcc, v12, v51
	v_and_b32_e32 v16, 62, v5
	v_sub_u32_e32 v53, v32, v31
	v_sub_u32_e32 v56, v14, v52
	v_cndmask_b32_e32 v51, 0, v55, vcc
	v_cmp_ge_i32_e32 vcc, v14, v52
	v_sub_u32_e32 v45, v22, v9
	v_sub_u32_e32 v46, v25, v11
	;; [unrolled: 1-line block ×5, first 2 shown]
	v_cndmask_b32_e32 v52, 0, v56, vcc
	v_cmp_ge_i32_e32 vcc, v16, v53
	v_sub_u32_e64 v17, v5, 64 clamp
	v_min_i32_e32 v18, 64, v5
	v_min_i32_e32 v45, v10, v45
	;; [unrolled: 1-line block ×5, first 2 shown]
	v_cndmask_b32_e32 v53, 0, v57, vcc
	v_mov_b32_e32 v1, 0x100
	v_lshlrev_b32_e32 v6, 3, v0
	v_lshlrev_b32_e32 v21, 2, v7
	v_lshlrev_b32_e32 v24, 2, v9
	v_lshlrev_b32_e32 v27, 2, v11
	v_lshlrev_b32_e32 v30, 2, v13
	v_lshlrev_b32_e32 v33, 2, v15
	v_lshlrev_b32_e32 v34, 2, v19
	v_add_u32_e32 v35, v19, v8
	v_lshlrev_b32_e32 v36, 2, v22
	v_add_u32_e32 v37, v22, v10
	v_lshlrev_b32_e32 v38, 2, v25
	;; [unrolled: 2-line block ×4, first 2 shown]
	v_add_u32_e32 v43, v31, v16
	v_cmp_lt_i32_e32 vcc, v49, v44
	v_cmp_lt_i32_e64 s[0:1], v50, v45
	v_cmp_lt_i32_e64 s[2:3], v51, v46
	;; [unrolled: 1-line block ×5, first 2 shown]
	v_add_u32_e32 v54, 64, v5
	s_movk_i32 s22, 0x80
	s_waitcnt vmcnt(1)
	v_add_u32_e32 v4, 1, v2
	s_waitcnt vmcnt(0)
	v_add_u32_e32 v55, 1, v3
	s_branch .LBB3_2
.LBB3_1:                                ;   in Loop: Header=BB3_2 Depth=1
	s_or_b64 exec, exec, s[12:13]
	v_cmp_le_i32_e64 s[14:15], 64, v59
	s_waitcnt lgkmcnt(0)
	v_cmp_lt_i32_e64 s[16:17], v60, v3
	v_cmp_gt_i32_e64 s[12:13], s22, v4
	s_or_b64 s[14:15], s[14:15], s[16:17]
	s_and_b64 s[12:13], s[12:13], s[14:15]
	v_cndmask_b32_e64 v4, v59, v4, s[12:13]
	s_waitcnt lgkmcnt(0)
	; wave barrier
	ds_write2_b32 v6, v55, v56 offset1:1
	v_lshlrev_b32_e32 v2, 2, v2
	v_lshlrev_b32_e32 v55, 2, v4
	s_waitcnt lgkmcnt(0)
	; wave barrier
	s_waitcnt lgkmcnt(0)
	ds_read_b32 v4, v2
	ds_read_b32 v55, v55
	s_add_i32 s23, s23, 1
	v_cndmask_b32_e64 v3, v3, v60, s[12:13]
	s_cmp_eq_u32 s23, 10
	v_cndmask_b32_e64 v2, v57, v58, s[10:11]
	s_cbranch_scc1 .LBB3_50
.LBB3_2:                                ; =>This Loop Header: Depth=1
                                        ;     Child Loop BB3_4 Depth 2
                                        ;     Child Loop BB3_12 Depth 2
	;; [unrolled: 1-line block ×6, first 2 shown]
	v_cmp_lt_i32_e64 s[10:11], v3, v2
	s_waitcnt lgkmcnt(0)
	; wave barrier
	s_nop 0
	v_cndmask_b32_e64 v56, v3, v2, s[10:11]
	v_cndmask_b32_e64 v2, v2, v3, s[10:11]
	v_mov_b32_e32 v3, v49
	ds_write2_b32 v6, v2, v56 offset1:1
	s_waitcnt lgkmcnt(0)
	; wave barrier
	s_waitcnt lgkmcnt(0)
	s_and_saveexec_b64 s[14:15], vcc
	s_cbranch_execz .LBB3_6
; %bb.3:                                ;   in Loop: Header=BB3_2 Depth=1
	s_mov_b64 s[16:17], 0
	v_mov_b32_e32 v3, v49
	v_mov_b32_e32 v2, v44
.LBB3_4:                                ;   Parent Loop BB3_2 Depth=1
                                        ; =>  This Inner Loop Header: Depth=2
	v_sub_u32_e32 v56, v2, v3
	v_lshrrev_b32_e32 v57, 31, v56
	v_add_u32_e32 v56, v56, v57
	v_ashrrev_i32_e32 v56, 1, v56
	v_add_u32_e32 v56, v56, v3
	v_xad_u32 v58, v56, -1, v8
	v_lshl_add_u32 v57, v56, 2, v21
	v_lshl_add_u32 v58, v58, 2, v34
	ds_read_b32 v57, v57
	ds_read_b32 v58, v58
	v_add_u32_e32 v59, 1, v56
	s_waitcnt lgkmcnt(0)
	v_cmp_lt_i32_e64 s[12:13], v58, v57
	s_nop 1
	v_cndmask_b32_e64 v2, v2, v56, s[12:13]
	v_cndmask_b32_e64 v3, v59, v3, s[12:13]
	v_cmp_ge_i32_e64 s[12:13], v3, v2
	s_or_b64 s[16:17], s[12:13], s[16:17]
	s_andn2_b64 exec, exec, s[16:17]
	s_cbranch_execnz .LBB3_4
; %bb.5:                                ;   in Loop: Header=BB3_2 Depth=1
	s_or_b64 exec, exec, s[16:17]
.LBB3_6:                                ;   in Loop: Header=BB3_2 Depth=1
	s_or_b64 exec, exec, s[14:15]
	v_sub_u32_e32 v2, v35, v3
	v_lshl_add_u32 v61, v3, 2, v21
	v_lshlrev_b32_e32 v60, 2, v2
	ds_read_b32 v56, v61
	ds_read_b32 v57, v60
	v_add_u32_e32 v3, v3, v7
	v_cmp_le_i32_e64 s[14:15], v19, v3
	v_cmp_gt_i32_e64 s[12:13], v20, v2
                                        ; implicit-def: $vgpr58
                                        ; implicit-def: $vgpr59
	s_waitcnt lgkmcnt(0)
	v_cmp_lt_i32_e64 s[16:17], v57, v56
	s_or_b64 s[14:15], s[14:15], s[16:17]
	s_and_b64 s[12:13], s[12:13], s[14:15]
	s_xor_b64 s[14:15], s[12:13], -1
	s_and_saveexec_b64 s[16:17], s[14:15]
	s_xor_b64 s[14:15], exec, s[16:17]
	s_cbranch_execz .LBB3_8
; %bb.7:                                ;   in Loop: Header=BB3_2 Depth=1
	ds_read_b32 v59, v61 offset:4
	v_mov_b32_e32 v58, v57
                                        ; implicit-def: $vgpr60
.LBB3_8:                                ;   in Loop: Header=BB3_2 Depth=1
	s_andn2_saveexec_b64 s[14:15], s[14:15]
	s_cbranch_execz .LBB3_10
; %bb.9:                                ;   in Loop: Header=BB3_2 Depth=1
	ds_read_b32 v58, v60 offset:4
	s_waitcnt lgkmcnt(1)
	v_mov_b32_e32 v59, v56
.LBB3_10:                               ;   in Loop: Header=BB3_2 Depth=1
	s_or_b64 exec, exec, s[14:15]
	v_add_u32_e32 v60, 1, v3
	v_cndmask_b32_e64 v56, v56, v57, s[12:13]
	v_add_u32_e32 v57, 1, v2
	v_cndmask_b32_e64 v60, v60, v3, s[12:13]
	v_cndmask_b32_e64 v57, v2, v57, s[12:13]
	;; [unrolled: 1-line block ×3, first 2 shown]
	v_cmp_ge_i32_e64 s[12:13], v60, v19
	s_waitcnt lgkmcnt(0)
	v_cmp_lt_i32_e64 s[14:15], v58, v59
	v_cndmask_b32_e64 v3, v55, v4, s[10:11]
	v_cndmask_b32_e64 v4, v4, v55, s[10:11]
	v_cmp_lt_i32_e64 s[10:11], v57, v20
	s_or_b64 s[12:13], s[12:13], s[14:15]
	s_and_b64 s[10:11], s[10:11], s[12:13]
	v_cndmask_b32_e64 v57, v60, v57, s[10:11]
	s_waitcnt lgkmcnt(0)
	; wave barrier
	ds_write2_b32 v6, v4, v3 offset1:1
	v_lshlrev_b32_e32 v2, 2, v2
	v_lshlrev_b32_e32 v3, 2, v57
	s_waitcnt lgkmcnt(0)
	; wave barrier
	s_waitcnt lgkmcnt(0)
	ds_read_b32 v2, v2
	ds_read_b32 v3, v3
	v_cndmask_b32_e64 v55, v59, v58, s[10:11]
	s_waitcnt lgkmcnt(0)
	; wave barrier
	s_waitcnt lgkmcnt(0)
	ds_write2_b32 v6, v56, v55 offset1:1
	v_mov_b32_e32 v55, v50
	s_waitcnt lgkmcnt(0)
	; wave barrier
	s_waitcnt lgkmcnt(0)
	s_and_saveexec_b64 s[12:13], s[0:1]
	s_cbranch_execz .LBB3_14
; %bb.11:                               ;   in Loop: Header=BB3_2 Depth=1
	s_mov_b64 s[14:15], 0
	v_mov_b32_e32 v55, v50
	v_mov_b32_e32 v4, v45
.LBB3_12:                               ;   Parent Loop BB3_2 Depth=1
                                        ; =>  This Inner Loop Header: Depth=2
	v_sub_u32_e32 v56, v4, v55
	v_lshrrev_b32_e32 v57, 31, v56
	v_add_u32_e32 v56, v56, v57
	v_ashrrev_i32_e32 v56, 1, v56
	v_add_u32_e32 v56, v56, v55
	v_xad_u32 v58, v56, -1, v10
	v_lshl_add_u32 v57, v56, 2, v24
	v_lshl_add_u32 v58, v58, 2, v36
	ds_read_b32 v57, v57
	ds_read_b32 v58, v58
	v_add_u32_e32 v59, 1, v56
	s_waitcnt lgkmcnt(0)
	v_cmp_lt_i32_e64 s[10:11], v58, v57
	s_nop 1
	v_cndmask_b32_e64 v4, v4, v56, s[10:11]
	v_cndmask_b32_e64 v55, v59, v55, s[10:11]
	v_cmp_ge_i32_e64 s[10:11], v55, v4
	s_or_b64 s[14:15], s[10:11], s[14:15]
	s_andn2_b64 exec, exec, s[14:15]
	s_cbranch_execnz .LBB3_12
; %bb.13:                               ;   in Loop: Header=BB3_2 Depth=1
	s_or_b64 exec, exec, s[14:15]
.LBB3_14:                               ;   in Loop: Header=BB3_2 Depth=1
	s_or_b64 exec, exec, s[12:13]
	v_sub_u32_e32 v4, v37, v55
	v_lshl_add_u32 v61, v55, 2, v24
	v_lshlrev_b32_e32 v60, 2, v4
	ds_read_b32 v56, v61
	ds_read_b32 v57, v60
	v_add_u32_e32 v55, v55, v9
	v_cmp_le_i32_e64 s[12:13], v22, v55
	v_cmp_gt_i32_e64 s[10:11], v23, v4
                                        ; implicit-def: $vgpr58
                                        ; implicit-def: $vgpr59
	s_waitcnt lgkmcnt(0)
	v_cmp_lt_i32_e64 s[14:15], v57, v56
	s_or_b64 s[12:13], s[12:13], s[14:15]
	s_and_b64 s[10:11], s[10:11], s[12:13]
	s_xor_b64 s[12:13], s[10:11], -1
	s_and_saveexec_b64 s[14:15], s[12:13]
	s_xor_b64 s[12:13], exec, s[14:15]
	s_cbranch_execz .LBB3_16
; %bb.15:                               ;   in Loop: Header=BB3_2 Depth=1
	ds_read_b32 v59, v61 offset:4
	v_mov_b32_e32 v58, v57
                                        ; implicit-def: $vgpr60
.LBB3_16:                               ;   in Loop: Header=BB3_2 Depth=1
	s_andn2_saveexec_b64 s[12:13], s[12:13]
	s_cbranch_execz .LBB3_18
; %bb.17:                               ;   in Loop: Header=BB3_2 Depth=1
	ds_read_b32 v58, v60 offset:4
	s_waitcnt lgkmcnt(1)
	v_mov_b32_e32 v59, v56
.LBB3_18:                               ;   in Loop: Header=BB3_2 Depth=1
	s_or_b64 exec, exec, s[12:13]
	v_add_u32_e32 v60, 1, v55
	v_cndmask_b32_e64 v56, v56, v57, s[10:11]
	v_add_u32_e32 v57, 1, v4
	v_cndmask_b32_e64 v60, v60, v55, s[10:11]
	v_cndmask_b32_e64 v57, v4, v57, s[10:11]
	v_cmp_ge_i32_e64 s[12:13], v60, v22
	s_waitcnt lgkmcnt(0)
	v_cmp_lt_i32_e64 s[14:15], v58, v59
	v_cndmask_b32_e64 v4, v55, v4, s[10:11]
	v_cmp_lt_i32_e64 s[10:11], v57, v23
	s_or_b64 s[12:13], s[12:13], s[14:15]
	s_and_b64 s[10:11], s[10:11], s[12:13]
	v_cndmask_b32_e64 v57, v60, v57, s[10:11]
	s_waitcnt lgkmcnt(0)
	; wave barrier
	ds_write2_b32 v6, v2, v3 offset1:1
	v_lshlrev_b32_e32 v2, 2, v4
	v_lshlrev_b32_e32 v3, 2, v57
	s_waitcnt lgkmcnt(0)
	; wave barrier
	s_waitcnt lgkmcnt(0)
	ds_read_b32 v2, v2
	ds_read_b32 v3, v3
	v_cndmask_b32_e64 v55, v59, v58, s[10:11]
	s_waitcnt lgkmcnt(0)
	; wave barrier
	s_waitcnt lgkmcnt(0)
	ds_write2_b32 v6, v56, v55 offset1:1
	v_mov_b32_e32 v55, v51
	s_waitcnt lgkmcnt(0)
	; wave barrier
	s_waitcnt lgkmcnt(0)
	s_and_saveexec_b64 s[12:13], s[2:3]
	s_cbranch_execz .LBB3_22
; %bb.19:                               ;   in Loop: Header=BB3_2 Depth=1
	s_mov_b64 s[14:15], 0
	v_mov_b32_e32 v55, v51
	v_mov_b32_e32 v4, v46
.LBB3_20:                               ;   Parent Loop BB3_2 Depth=1
                                        ; =>  This Inner Loop Header: Depth=2
	v_sub_u32_e32 v56, v4, v55
	v_lshrrev_b32_e32 v57, 31, v56
	v_add_u32_e32 v56, v56, v57
	v_ashrrev_i32_e32 v56, 1, v56
	v_add_u32_e32 v56, v56, v55
	v_xad_u32 v58, v56, -1, v12
	v_lshl_add_u32 v57, v56, 2, v27
	v_lshl_add_u32 v58, v58, 2, v38
	ds_read_b32 v57, v57
	ds_read_b32 v58, v58
	v_add_u32_e32 v59, 1, v56
	s_waitcnt lgkmcnt(0)
	v_cmp_lt_i32_e64 s[10:11], v58, v57
	s_nop 1
	v_cndmask_b32_e64 v4, v4, v56, s[10:11]
	v_cndmask_b32_e64 v55, v59, v55, s[10:11]
	v_cmp_ge_i32_e64 s[10:11], v55, v4
	s_or_b64 s[14:15], s[10:11], s[14:15]
	s_andn2_b64 exec, exec, s[14:15]
	s_cbranch_execnz .LBB3_20
; %bb.21:                               ;   in Loop: Header=BB3_2 Depth=1
	s_or_b64 exec, exec, s[14:15]
.LBB3_22:                               ;   in Loop: Header=BB3_2 Depth=1
	s_or_b64 exec, exec, s[12:13]
	v_sub_u32_e32 v4, v39, v55
	v_lshl_add_u32 v61, v55, 2, v27
	v_lshlrev_b32_e32 v60, 2, v4
	ds_read_b32 v56, v61
	ds_read_b32 v57, v60
	v_add_u32_e32 v55, v55, v11
	v_cmp_le_i32_e64 s[12:13], v25, v55
	v_cmp_gt_i32_e64 s[10:11], v26, v4
                                        ; implicit-def: $vgpr58
                                        ; implicit-def: $vgpr59
	s_waitcnt lgkmcnt(0)
	v_cmp_lt_i32_e64 s[14:15], v57, v56
	s_or_b64 s[12:13], s[12:13], s[14:15]
	s_and_b64 s[10:11], s[10:11], s[12:13]
	s_xor_b64 s[12:13], s[10:11], -1
	s_and_saveexec_b64 s[14:15], s[12:13]
	s_xor_b64 s[12:13], exec, s[14:15]
	s_cbranch_execz .LBB3_24
; %bb.23:                               ;   in Loop: Header=BB3_2 Depth=1
	ds_read_b32 v59, v61 offset:4
	v_mov_b32_e32 v58, v57
                                        ; implicit-def: $vgpr60
.LBB3_24:                               ;   in Loop: Header=BB3_2 Depth=1
	s_andn2_saveexec_b64 s[12:13], s[12:13]
	s_cbranch_execz .LBB3_26
; %bb.25:                               ;   in Loop: Header=BB3_2 Depth=1
	ds_read_b32 v58, v60 offset:4
	s_waitcnt lgkmcnt(1)
	v_mov_b32_e32 v59, v56
.LBB3_26:                               ;   in Loop: Header=BB3_2 Depth=1
	s_or_b64 exec, exec, s[12:13]
	v_add_u32_e32 v60, 1, v55
	v_cndmask_b32_e64 v56, v56, v57, s[10:11]
	v_add_u32_e32 v57, 1, v4
	v_cndmask_b32_e64 v60, v60, v55, s[10:11]
	v_cndmask_b32_e64 v57, v4, v57, s[10:11]
	v_cmp_ge_i32_e64 s[12:13], v60, v25
	s_waitcnt lgkmcnt(0)
	v_cmp_lt_i32_e64 s[14:15], v58, v59
	v_cndmask_b32_e64 v4, v55, v4, s[10:11]
	v_cmp_lt_i32_e64 s[10:11], v57, v26
	s_or_b64 s[12:13], s[12:13], s[14:15]
	s_and_b64 s[10:11], s[10:11], s[12:13]
	v_cndmask_b32_e64 v57, v60, v57, s[10:11]
	s_waitcnt lgkmcnt(0)
	; wave barrier
	ds_write2_b32 v6, v2, v3 offset1:1
	v_lshlrev_b32_e32 v2, 2, v4
	v_lshlrev_b32_e32 v3, 2, v57
	s_waitcnt lgkmcnt(0)
	; wave barrier
	s_waitcnt lgkmcnt(0)
	ds_read_b32 v2, v2
	ds_read_b32 v3, v3
	v_cndmask_b32_e64 v55, v59, v58, s[10:11]
	s_waitcnt lgkmcnt(0)
	; wave barrier
	s_waitcnt lgkmcnt(0)
	ds_write2_b32 v6, v56, v55 offset1:1
	v_mov_b32_e32 v55, v52
	s_waitcnt lgkmcnt(0)
	; wave barrier
	s_waitcnt lgkmcnt(0)
	s_and_saveexec_b64 s[12:13], s[4:5]
	s_cbranch_execz .LBB3_30
; %bb.27:                               ;   in Loop: Header=BB3_2 Depth=1
	s_mov_b64 s[14:15], 0
	v_mov_b32_e32 v55, v52
	v_mov_b32_e32 v4, v47
.LBB3_28:                               ;   Parent Loop BB3_2 Depth=1
                                        ; =>  This Inner Loop Header: Depth=2
	v_sub_u32_e32 v56, v4, v55
	v_lshrrev_b32_e32 v57, 31, v56
	v_add_u32_e32 v56, v56, v57
	v_ashrrev_i32_e32 v56, 1, v56
	v_add_u32_e32 v56, v56, v55
	v_xad_u32 v58, v56, -1, v14
	v_lshl_add_u32 v57, v56, 2, v30
	v_lshl_add_u32 v58, v58, 2, v40
	ds_read_b32 v57, v57
	ds_read_b32 v58, v58
	v_add_u32_e32 v59, 1, v56
	s_waitcnt lgkmcnt(0)
	v_cmp_lt_i32_e64 s[10:11], v58, v57
	s_nop 1
	v_cndmask_b32_e64 v4, v4, v56, s[10:11]
	v_cndmask_b32_e64 v55, v59, v55, s[10:11]
	v_cmp_ge_i32_e64 s[10:11], v55, v4
	s_or_b64 s[14:15], s[10:11], s[14:15]
	s_andn2_b64 exec, exec, s[14:15]
	s_cbranch_execnz .LBB3_28
; %bb.29:                               ;   in Loop: Header=BB3_2 Depth=1
	s_or_b64 exec, exec, s[14:15]
.LBB3_30:                               ;   in Loop: Header=BB3_2 Depth=1
	s_or_b64 exec, exec, s[12:13]
	v_sub_u32_e32 v4, v41, v55
	v_lshl_add_u32 v61, v55, 2, v30
	v_lshlrev_b32_e32 v60, 2, v4
	ds_read_b32 v56, v61
	ds_read_b32 v57, v60
	v_add_u32_e32 v55, v55, v13
	v_cmp_le_i32_e64 s[12:13], v28, v55
	v_cmp_gt_i32_e64 s[10:11], v29, v4
                                        ; implicit-def: $vgpr58
                                        ; implicit-def: $vgpr59
	s_waitcnt lgkmcnt(0)
	v_cmp_lt_i32_e64 s[14:15], v57, v56
	s_or_b64 s[12:13], s[12:13], s[14:15]
	s_and_b64 s[10:11], s[10:11], s[12:13]
	s_xor_b64 s[12:13], s[10:11], -1
	s_and_saveexec_b64 s[14:15], s[12:13]
	s_xor_b64 s[12:13], exec, s[14:15]
	s_cbranch_execz .LBB3_32
; %bb.31:                               ;   in Loop: Header=BB3_2 Depth=1
	ds_read_b32 v59, v61 offset:4
	v_mov_b32_e32 v58, v57
                                        ; implicit-def: $vgpr60
.LBB3_32:                               ;   in Loop: Header=BB3_2 Depth=1
	s_andn2_saveexec_b64 s[12:13], s[12:13]
	s_cbranch_execz .LBB3_34
; %bb.33:                               ;   in Loop: Header=BB3_2 Depth=1
	ds_read_b32 v58, v60 offset:4
	s_waitcnt lgkmcnt(1)
	v_mov_b32_e32 v59, v56
.LBB3_34:                               ;   in Loop: Header=BB3_2 Depth=1
	s_or_b64 exec, exec, s[12:13]
	v_add_u32_e32 v60, 1, v55
	v_cndmask_b32_e64 v56, v56, v57, s[10:11]
	v_add_u32_e32 v57, 1, v4
	v_cndmask_b32_e64 v60, v60, v55, s[10:11]
	v_cndmask_b32_e64 v57, v4, v57, s[10:11]
	v_cmp_ge_i32_e64 s[12:13], v60, v28
	s_waitcnt lgkmcnt(0)
	v_cmp_lt_i32_e64 s[14:15], v58, v59
	v_cndmask_b32_e64 v4, v55, v4, s[10:11]
	v_cmp_lt_i32_e64 s[10:11], v57, v29
	s_or_b64 s[12:13], s[12:13], s[14:15]
	s_and_b64 s[10:11], s[10:11], s[12:13]
	v_cndmask_b32_e64 v57, v60, v57, s[10:11]
	s_waitcnt lgkmcnt(0)
	; wave barrier
	ds_write2_b32 v6, v2, v3 offset1:1
	v_lshlrev_b32_e32 v2, 2, v4
	v_lshlrev_b32_e32 v3, 2, v57
	s_waitcnt lgkmcnt(0)
	; wave barrier
	s_waitcnt lgkmcnt(0)
	ds_read_b32 v2, v2
	ds_read_b32 v3, v3
	v_cndmask_b32_e64 v55, v59, v58, s[10:11]
	s_waitcnt lgkmcnt(0)
	; wave barrier
	s_waitcnt lgkmcnt(0)
	ds_write2_b32 v6, v56, v55 offset1:1
	v_mov_b32_e32 v55, v53
	s_waitcnt lgkmcnt(0)
	; wave barrier
	s_waitcnt lgkmcnt(0)
	s_and_saveexec_b64 s[12:13], s[6:7]
	s_cbranch_execz .LBB3_38
; %bb.35:                               ;   in Loop: Header=BB3_2 Depth=1
	s_mov_b64 s[14:15], 0
	v_mov_b32_e32 v55, v53
	v_mov_b32_e32 v4, v48
.LBB3_36:                               ;   Parent Loop BB3_2 Depth=1
                                        ; =>  This Inner Loop Header: Depth=2
	v_sub_u32_e32 v56, v4, v55
	v_lshrrev_b32_e32 v57, 31, v56
	v_add_u32_e32 v56, v56, v57
	v_ashrrev_i32_e32 v56, 1, v56
	v_add_u32_e32 v56, v56, v55
	v_xad_u32 v58, v56, -1, v16
	v_lshl_add_u32 v57, v56, 2, v33
	v_lshl_add_u32 v58, v58, 2, v42
	ds_read_b32 v57, v57
	ds_read_b32 v58, v58
	v_add_u32_e32 v59, 1, v56
	s_waitcnt lgkmcnt(0)
	v_cmp_lt_i32_e64 s[10:11], v58, v57
	s_nop 1
	v_cndmask_b32_e64 v4, v4, v56, s[10:11]
	v_cndmask_b32_e64 v55, v59, v55, s[10:11]
	v_cmp_ge_i32_e64 s[10:11], v55, v4
	s_or_b64 s[14:15], s[10:11], s[14:15]
	s_andn2_b64 exec, exec, s[14:15]
	s_cbranch_execnz .LBB3_36
; %bb.37:                               ;   in Loop: Header=BB3_2 Depth=1
	s_or_b64 exec, exec, s[14:15]
.LBB3_38:                               ;   in Loop: Header=BB3_2 Depth=1
	s_or_b64 exec, exec, s[12:13]
	v_sub_u32_e32 v4, v43, v55
	v_lshl_add_u32 v61, v55, 2, v33
	v_lshlrev_b32_e32 v60, 2, v4
	ds_read_b32 v56, v61
	ds_read_b32 v57, v60
	v_add_u32_e32 v55, v55, v15
	v_cmp_le_i32_e64 s[12:13], v31, v55
	v_cmp_gt_i32_e64 s[10:11], v32, v4
                                        ; implicit-def: $vgpr58
                                        ; implicit-def: $vgpr59
	s_waitcnt lgkmcnt(0)
	v_cmp_lt_i32_e64 s[14:15], v57, v56
	s_or_b64 s[12:13], s[12:13], s[14:15]
	s_and_b64 s[10:11], s[10:11], s[12:13]
	s_xor_b64 s[12:13], s[10:11], -1
	s_and_saveexec_b64 s[14:15], s[12:13]
	s_xor_b64 s[12:13], exec, s[14:15]
	s_cbranch_execz .LBB3_40
; %bb.39:                               ;   in Loop: Header=BB3_2 Depth=1
	ds_read_b32 v59, v61 offset:4
	v_mov_b32_e32 v58, v57
                                        ; implicit-def: $vgpr60
.LBB3_40:                               ;   in Loop: Header=BB3_2 Depth=1
	s_andn2_saveexec_b64 s[12:13], s[12:13]
	s_cbranch_execz .LBB3_42
; %bb.41:                               ;   in Loop: Header=BB3_2 Depth=1
	ds_read_b32 v58, v60 offset:4
	s_waitcnt lgkmcnt(1)
	v_mov_b32_e32 v59, v56
.LBB3_42:                               ;   in Loop: Header=BB3_2 Depth=1
	s_or_b64 exec, exec, s[12:13]
	v_add_u32_e32 v60, 1, v55
	v_cndmask_b32_e64 v57, v56, v57, s[10:11]
	v_add_u32_e32 v56, 1, v4
	v_cndmask_b32_e64 v60, v60, v55, s[10:11]
	v_cndmask_b32_e64 v56, v4, v56, s[10:11]
	v_cmp_ge_i32_e64 s[12:13], v60, v31
	s_waitcnt lgkmcnt(0)
	v_cmp_lt_i32_e64 s[14:15], v58, v59
	v_cndmask_b32_e64 v4, v55, v4, s[10:11]
	v_cmp_lt_i32_e64 s[10:11], v56, v32
	s_or_b64 s[12:13], s[12:13], s[14:15]
	s_and_b64 s[10:11], s[10:11], s[12:13]
	v_cndmask_b32_e64 v55, v60, v56, s[10:11]
	s_waitcnt lgkmcnt(0)
	; wave barrier
	ds_write2_b32 v6, v2, v3 offset1:1
	v_lshlrev_b32_e32 v2, 2, v4
	s_waitcnt lgkmcnt(0)
	; wave barrier
	s_waitcnt lgkmcnt(0)
	v_lshlrev_b32_e32 v3, 2, v55
	ds_read_b32 v55, v2
	ds_read_b32 v56, v3
	v_cndmask_b32_e64 v58, v59, v58, s[10:11]
	v_mov_b32_e32 v2, v17
	s_waitcnt lgkmcnt(0)
	; wave barrier
	s_waitcnt lgkmcnt(0)
	ds_write2_b32 v6, v57, v58 offset1:1
	s_waitcnt lgkmcnt(0)
	; wave barrier
	s_waitcnt lgkmcnt(0)
	s_and_saveexec_b64 s[12:13], s[8:9]
	s_cbranch_execz .LBB3_46
; %bb.43:                               ;   in Loop: Header=BB3_2 Depth=1
	s_mov_b64 s[14:15], 0
	v_mov_b32_e32 v2, v17
	v_mov_b32_e32 v3, v18
.LBB3_44:                               ;   Parent Loop BB3_2 Depth=1
                                        ; =>  This Inner Loop Header: Depth=2
	v_sub_u32_e32 v4, v3, v2
	v_lshrrev_b32_e32 v57, 31, v4
	v_add_u32_e32 v4, v4, v57
	v_ashrrev_i32_e32 v4, 1, v4
	v_add_u32_e32 v4, v4, v2
	v_xad_u32 v58, v4, -1, v5
	v_lshlrev_b32_e32 v57, 2, v4
	v_lshl_add_u32 v58, v58, 2, v1
	ds_read_b32 v57, v57
	ds_read_b32 v58, v58
	v_add_u32_e32 v59, 1, v4
	s_waitcnt lgkmcnt(0)
	v_cmp_lt_i32_e64 s[10:11], v58, v57
	s_nop 1
	v_cndmask_b32_e64 v3, v3, v4, s[10:11]
	v_cndmask_b32_e64 v2, v59, v2, s[10:11]
	v_cmp_ge_i32_e64 s[10:11], v2, v3
	s_or_b64 s[14:15], s[10:11], s[14:15]
	s_andn2_b64 exec, exec, s[14:15]
	s_cbranch_execnz .LBB3_44
; %bb.45:                               ;   in Loop: Header=BB3_2 Depth=1
	s_or_b64 exec, exec, s[14:15]
.LBB3_46:                               ;   in Loop: Header=BB3_2 Depth=1
	s_or_b64 exec, exec, s[12:13]
	v_sub_u32_e32 v4, v54, v2
	v_lshlrev_b32_e32 v62, 2, v2
	v_lshlrev_b32_e32 v61, 2, v4
	ds_read_b32 v57, v62
	ds_read_b32 v58, v61
	v_cmp_le_i32_e64 s[12:13], 64, v2
	v_cmp_gt_i32_e64 s[10:11], s22, v4
                                        ; implicit-def: $vgpr60
                                        ; implicit-def: $vgpr3
                                        ; implicit-def: $vgpr59
	s_waitcnt lgkmcnt(0)
	v_cmp_lt_i32_e64 s[14:15], v58, v57
	s_or_b64 s[12:13], s[12:13], s[14:15]
	s_and_b64 s[10:11], s[10:11], s[12:13]
	s_xor_b64 s[12:13], s[10:11], -1
	s_and_saveexec_b64 s[14:15], s[12:13]
	s_xor_b64 s[12:13], exec, s[14:15]
	s_cbranch_execz .LBB3_48
; %bb.47:                               ;   in Loop: Header=BB3_2 Depth=1
	ds_read_b32 v3, v62 offset:4
	v_add_u32_e32 v59, 1, v2
	v_mov_b32_e32 v60, v58
                                        ; implicit-def: $vgpr61
.LBB3_48:                               ;   in Loop: Header=BB3_2 Depth=1
	s_andn2_saveexec_b64 s[12:13], s[12:13]
	s_cbranch_execz .LBB3_1
; %bb.49:                               ;   in Loop: Header=BB3_2 Depth=1
	ds_read_b32 v60, v61 offset:4
	v_mov_b32_e32 v59, v2
	v_add_u32_e32 v61, 1, v4
	s_waitcnt lgkmcnt(1)
	v_mov_b64_e32 v[2:3], v[4:5]
	v_mov_b32_e32 v4, v61
	v_mov_b32_e32 v3, v57
	s_branch .LBB3_1
.LBB3_50:
	s_add_u32 s0, s18, s20
	s_waitcnt lgkmcnt(1)
	v_add_u32_e32 v1, v2, v4
	s_addc_u32 s1, s19, s21
	v_lshlrev_b32_e32 v0, 2, v0
	s_waitcnt lgkmcnt(0)
	v_add_u32_e32 v2, v3, v55
	global_store_dword v0, v1, s[0:1]
	global_store_dword v0, v2, s[0:1] offset:256
	s_endpgm
	.section	.rodata,"a",@progbits
	.p2align	6, 0x0
	.amdhsa_kernel _Z17sort_pairs_kernelIiLj64ELj2EN10test_utils4lessELj10EEvPKT_PS2_T2_
		.amdhsa_group_segment_fixed_size 516
		.amdhsa_private_segment_fixed_size 0
		.amdhsa_kernarg_size 20
		.amdhsa_user_sgpr_count 2
		.amdhsa_user_sgpr_dispatch_ptr 0
		.amdhsa_user_sgpr_queue_ptr 0
		.amdhsa_user_sgpr_kernarg_segment_ptr 1
		.amdhsa_user_sgpr_dispatch_id 0
		.amdhsa_user_sgpr_kernarg_preload_length 0
		.amdhsa_user_sgpr_kernarg_preload_offset 0
		.amdhsa_user_sgpr_private_segment_size 0
		.amdhsa_uses_dynamic_stack 0
		.amdhsa_enable_private_segment 0
		.amdhsa_system_sgpr_workgroup_id_x 1
		.amdhsa_system_sgpr_workgroup_id_y 0
		.amdhsa_system_sgpr_workgroup_id_z 0
		.amdhsa_system_sgpr_workgroup_info 0
		.amdhsa_system_vgpr_workitem_id 0
		.amdhsa_next_free_vgpr 63
		.amdhsa_next_free_sgpr 24
		.amdhsa_accum_offset 64
		.amdhsa_reserve_vcc 1
		.amdhsa_float_round_mode_32 0
		.amdhsa_float_round_mode_16_64 0
		.amdhsa_float_denorm_mode_32 3
		.amdhsa_float_denorm_mode_16_64 3
		.amdhsa_dx10_clamp 1
		.amdhsa_ieee_mode 1
		.amdhsa_fp16_overflow 0
		.amdhsa_tg_split 0
		.amdhsa_exception_fp_ieee_invalid_op 0
		.amdhsa_exception_fp_denorm_src 0
		.amdhsa_exception_fp_ieee_div_zero 0
		.amdhsa_exception_fp_ieee_overflow 0
		.amdhsa_exception_fp_ieee_underflow 0
		.amdhsa_exception_fp_ieee_inexact 0
		.amdhsa_exception_int_div_zero 0
	.end_amdhsa_kernel
	.section	.text._Z17sort_pairs_kernelIiLj64ELj2EN10test_utils4lessELj10EEvPKT_PS2_T2_,"axG",@progbits,_Z17sort_pairs_kernelIiLj64ELj2EN10test_utils4lessELj10EEvPKT_PS2_T2_,comdat
.Lfunc_end3:
	.size	_Z17sort_pairs_kernelIiLj64ELj2EN10test_utils4lessELj10EEvPKT_PS2_T2_, .Lfunc_end3-_Z17sort_pairs_kernelIiLj64ELj2EN10test_utils4lessELj10EEvPKT_PS2_T2_
                                        ; -- End function
	.section	.AMDGPU.csdata,"",@progbits
; Kernel info:
; codeLenInByte = 3124
; NumSgprs: 30
; NumVgprs: 63
; NumAgprs: 0
; TotalNumVgprs: 63
; ScratchSize: 0
; MemoryBound: 0
; FloatMode: 240
; IeeeMode: 1
; LDSByteSize: 516 bytes/workgroup (compile time only)
; SGPRBlocks: 3
; VGPRBlocks: 7
; NumSGPRsForWavesPerEU: 30
; NumVGPRsForWavesPerEU: 63
; AccumOffset: 64
; Occupancy: 8
; WaveLimiterHint : 1
; COMPUTE_PGM_RSRC2:SCRATCH_EN: 0
; COMPUTE_PGM_RSRC2:USER_SGPR: 2
; COMPUTE_PGM_RSRC2:TRAP_HANDLER: 0
; COMPUTE_PGM_RSRC2:TGID_X_EN: 1
; COMPUTE_PGM_RSRC2:TGID_Y_EN: 0
; COMPUTE_PGM_RSRC2:TGID_Z_EN: 0
; COMPUTE_PGM_RSRC2:TIDIG_COMP_CNT: 0
; COMPUTE_PGM_RSRC3_GFX90A:ACCUM_OFFSET: 15
; COMPUTE_PGM_RSRC3_GFX90A:TG_SPLIT: 0
	.section	.text._Z16sort_keys_kernelIiLj64ELj3EN10test_utils4lessELj10EEvPKT_PS2_T2_,"axG",@progbits,_Z16sort_keys_kernelIiLj64ELj3EN10test_utils4lessELj10EEvPKT_PS2_T2_,comdat
	.protected	_Z16sort_keys_kernelIiLj64ELj3EN10test_utils4lessELj10EEvPKT_PS2_T2_ ; -- Begin function _Z16sort_keys_kernelIiLj64ELj3EN10test_utils4lessELj10EEvPKT_PS2_T2_
	.globl	_Z16sort_keys_kernelIiLj64ELj3EN10test_utils4lessELj10EEvPKT_PS2_T2_
	.p2align	8
	.type	_Z16sort_keys_kernelIiLj64ELj3EN10test_utils4lessELj10EEvPKT_PS2_T2_,@function
_Z16sort_keys_kernelIiLj64ELj3EN10test_utils4lessELj10EEvPKT_PS2_T2_: ; @_Z16sort_keys_kernelIiLj64ELj3EN10test_utils4lessELj10EEvPKT_PS2_T2_
; %bb.0:
	s_load_dwordx4 s[16:19], s[0:1], 0x0
	s_mul_i32 s20, s2, 0xc0
	s_mov_b32 s21, 0
	s_lshl_b64 s[22:23], s[20:21], 2
	v_lshlrev_b32_e32 v1, 2, v0
	s_waitcnt lgkmcnt(0)
	s_add_u32 s0, s16, s22
	s_addc_u32 s1, s17, s23
	global_load_dword v53, v1, s[0:1]
	global_load_dword v54, v1, s[0:1] offset:256
	global_load_dword v55, v1, s[0:1] offset:512
	v_and_b32_e32 v11, 60, v0
	v_mul_u32_u24_e32 v14, 3, v11
	v_min_u32_e32 v12, 0xc0, v14
	v_min_u32_e32 v48, 0xba, v14
	;; [unrolled: 1-line block ×3, first 2 shown]
	v_and_b32_e32 v18, 3, v0
	v_add_u32_e32 v13, 6, v48
	v_add_u32_e32 v14, 12, v14
	v_mul_u32_u24_e32 v11, 3, v18
	v_sub_u32_e32 v16, v14, v13
	v_sub_u32_e32 v19, v11, v16
	v_cmp_ge_i32_e64 s[0:1], v11, v16
	v_and_b32_e32 v26, 7, v0
	v_and_b32_e32 v34, 15, v0
	v_cndmask_b32_e64 v16, 0, v19, s[0:1]
	v_and_b32_e32 v19, 56, v0
	v_mul_u32_u24_e32 v22, 3, v19
	v_min_u32_e32 v20, 0xc0, v22
	v_min_u32_e32 v49, 0xb4, v22
	;; [unrolled: 1-line block ×3, first 2 shown]
	v_add_u32_e32 v21, 12, v49
	v_add_u32_e32 v22, 24, v22
	v_mul_u32_u24_e32 v19, 3, v26
	v_sub_u32_e32 v24, v22, v21
	v_sub_u32_e32 v27, v19, v24
	v_cmp_ge_i32_e64 s[2:3], v19, v24
	v_and_b32_e32 v3, 62, v0
	v_mul_u32_u24_e32 v6, 3, v3
	v_cndmask_b32_e64 v24, 0, v27, s[2:3]
	v_and_b32_e32 v27, 48, v0
	v_mul_u32_u24_e32 v30, 3, v27
	v_min_u32_e32 v28, 0xc0, v30
	v_min_u32_e32 v50, 0xa8, v30
	;; [unrolled: 1-line block ×3, first 2 shown]
	v_add_u32_e32 v29, 24, v50
	v_add_u32_e32 v30, 48, v30
	v_mul_u32_u24_e32 v27, 3, v34
	v_sub_u32_e32 v32, v30, v29
	v_sub_u32_e32 v35, v27, v32
	v_cmp_ge_i32_e64 s[4:5], v27, v32
	v_and_b32_e32 v3, 1, v0
	v_min_u32_e32 v4, 0xc0, v6
	v_cndmask_b32_e64 v32, 0, v35, s[4:5]
	v_and_b32_e32 v35, 32, v0
	v_mul_u32_u24_e32 v39, 3, v35
	v_min_u32_e32 v47, 0xbd, v6
	v_min_u32_e32 v6, 0xba, v6
	;; [unrolled: 1-line block ×5, first 2 shown]
	v_cmp_eq_u32_e32 vcc, 1, v3
	v_add_u32_e32 v5, 3, v47
	v_add_u32_e32 v6, 6, v6
	v_and_b32_e32 v43, 31, v0
	v_add_u32_e32 v37, 48, v51
	v_add_u32_e32 v39, 0x60, v39
	v_cndmask_b32_e64 v3, 0, 3, vcc
	v_sub_u32_e32 v8, v6, v5
	v_mul_u32_u24_e32 v35, 3, v43
	v_sub_u32_e32 v41, v39, v37
	v_mul_u32_u24_e32 v1, 3, v0
	v_sub_u32_e32 v9, v5, v4
	v_sub_u32_e32 v10, v3, v8
	v_cmp_ge_i32_e32 vcc, v3, v8
	v_sub_u32_e32 v17, v13, v12
	v_sub_u32_e32 v25, v21, v20
	;; [unrolled: 1-line block ×3, first 2 shown]
	v_mov_b32_e32 v38, 0x60
	v_sub_u32_e32 v42, v37, v36
	v_sub_u32_e32 v44, v35, v41
	v_cmp_ge_i32_e64 s[6:7], v35, v41
	v_cndmask_b32_e32 v8, 0, v10, vcc
	v_min_i32_e32 v9, v3, v9
	v_min_i32_e32 v17, v11, v17
	;; [unrolled: 1-line block ×4, first 2 shown]
	v_cndmask_b32_e64 v41, 0, v44, s[6:7]
	v_min_i32_e32 v42, v35, v42
	v_sub_u32_e64 v44, v1, v38 clamp
	v_min_i32_e32 v45, 0x60, v1
	v_mov_b32_e32 v52, 0xc0
	s_movk_i32 s24, 0xc0
	v_lshlrev_b32_e32 v2, 2, v1
	v_lshlrev_b32_e32 v7, 2, v4
	v_cmp_lt_i32_e32 vcc, v8, v9
	v_add_u32_e32 v10, v5, v3
	v_lshlrev_b32_e32 v15, 2, v12
	v_cmp_lt_i32_e64 s[0:1], v16, v17
	v_mad_u32_u24 v18, v18, 3, v13
	v_lshlrev_b32_e32 v23, 2, v20
	v_cmp_lt_i32_e64 s[2:3], v24, v25
	v_mad_u32_u24 v26, v26, 3, v21
	;; [unrolled: 3-line block ×4, first 2 shown]
	v_cmp_lt_i32_e64 s[8:9], v44, v45
	v_mad_u32_u24 v46, v0, 3, v38
	v_lshl_add_u32 v47, v47, 2, 12
	v_lshl_add_u32 v48, v48, 2, 24
	v_lshl_add_u32 v49, v49, 2, 48
	v_lshl_add_u32 v50, v50, 2, v38
	v_lshl_add_u32 v51, v51, 2, v52
	v_mov_b32_e32 v52, 0x180
	s_branch .LBB4_2
.LBB4_1:                                ;   in Loop: Header=BB4_2 Depth=1
	s_or_b64 exec, exec, s[14:15]
	v_cndmask_b32_e64 v53, v53, v54, s[10:11]
	v_cndmask_b32_e64 v54, v57, v56, s[12:13]
	v_cmp_ge_i32_e64 s[12:13], v60, v38
	s_waitcnt lgkmcnt(0)
	v_cmp_lt_i32_e64 s[14:15], v61, v55
	v_cmp_gt_i32_e64 s[10:11], s24, v58
	s_or_b64 s[12:13], s[12:13], s[14:15]
	s_add_i32 s21, s21, 1
	s_and_b64 s[10:11], s[10:11], s[12:13]
	s_cmp_eq_u32 s21, 10
	v_cndmask_b32_e64 v55, v55, v61, s[10:11]
	s_cbranch_scc1 .LBB4_74
.LBB4_2:                                ; =>This Loop Header: Depth=1
                                        ;     Child Loop BB4_4 Depth 2
                                        ;     Child Loop BB4_16 Depth 2
	;; [unrolled: 1-line block ×6, first 2 shown]
	s_waitcnt vmcnt(1)
	v_cmp_lt_i32_e64 s[10:11], v54, v53
	v_min_i32_e32 v58, v54, v53
	s_nop 0
	v_cndmask_b32_e64 v56, v53, v54, s[10:11]
	v_cndmask_b32_e64 v57, v54, v53, s[10:11]
	v_max_i32_e32 v53, v54, v53
	s_waitcnt vmcnt(0)
	v_cmp_lt_i32_e64 s[10:11], v55, v53
	; wave barrier
	s_nop 1
	v_cndmask_b32_e64 v54, v55, v53, s[10:11]
	v_cndmask_b32_e64 v57, v57, v55, s[10:11]
	v_min_i32_e32 v53, v55, v53
	v_cmp_lt_i32_e64 s[10:11], v55, v58
	s_nop 1
	v_cndmask_b32_e64 v53, v56, v53, s[10:11]
	v_cndmask_b32_e64 v55, v57, v58, s[10:11]
	ds_write2_b32 v2, v53, v55 offset1:1
	ds_write_b32 v2, v54 offset:8
	v_mov_b32_e32 v55, v8
	s_waitcnt lgkmcnt(0)
	; wave barrier
	s_waitcnt lgkmcnt(0)
	s_and_saveexec_b64 s[12:13], vcc
	s_cbranch_execz .LBB4_6
; %bb.3:                                ;   in Loop: Header=BB4_2 Depth=1
	s_mov_b64 s[14:15], 0
	v_mov_b32_e32 v55, v8
	v_mov_b32_e32 v53, v9
.LBB4_4:                                ;   Parent Loop BB4_2 Depth=1
                                        ; =>  This Inner Loop Header: Depth=2
	v_sub_u32_e32 v54, v53, v55
	v_lshrrev_b32_e32 v56, 31, v54
	v_add_u32_e32 v54, v54, v56
	v_ashrrev_i32_e32 v54, 1, v54
	v_add_u32_e32 v54, v54, v55
	v_xad_u32 v57, v54, -1, v3
	v_lshl_add_u32 v56, v54, 2, v7
	v_lshl_add_u32 v57, v57, 2, v47
	ds_read_b32 v56, v56
	ds_read_b32 v57, v57
	v_add_u32_e32 v58, 1, v54
	s_waitcnt lgkmcnt(0)
	v_cmp_lt_i32_e64 s[10:11], v57, v56
	s_nop 1
	v_cndmask_b32_e64 v53, v53, v54, s[10:11]
	v_cndmask_b32_e64 v55, v58, v55, s[10:11]
	v_cmp_ge_i32_e64 s[10:11], v55, v53
	s_or_b64 s[14:15], s[10:11], s[14:15]
	s_andn2_b64 exec, exec, s[14:15]
	s_cbranch_execnz .LBB4_4
; %bb.5:                                ;   in Loop: Header=BB4_2 Depth=1
	s_or_b64 exec, exec, s[14:15]
.LBB4_6:                                ;   in Loop: Header=BB4_2 Depth=1
	s_or_b64 exec, exec, s[12:13]
	v_sub_u32_e32 v57, v10, v55
	v_lshl_add_u32 v60, v55, 2, v7
	v_lshlrev_b32_e32 v59, 2, v57
	ds_read_b32 v53, v60
	ds_read_b32 v54, v59
	v_add_u32_e32 v58, v55, v4
	v_cmp_le_i32_e64 s[12:13], v5, v58
	v_cmp_gt_i32_e64 s[10:11], v6, v57
                                        ; implicit-def: $vgpr55
                                        ; implicit-def: $vgpr56
	s_waitcnt lgkmcnt(0)
	v_cmp_lt_i32_e64 s[14:15], v54, v53
	s_or_b64 s[12:13], s[12:13], s[14:15]
	s_and_b64 s[10:11], s[10:11], s[12:13]
	s_xor_b64 s[12:13], s[10:11], -1
	s_and_saveexec_b64 s[14:15], s[12:13]
	s_xor_b64 s[12:13], exec, s[14:15]
	s_cbranch_execz .LBB4_8
; %bb.7:                                ;   in Loop: Header=BB4_2 Depth=1
	ds_read_b32 v56, v60 offset:4
	v_mov_b32_e32 v55, v54
                                        ; implicit-def: $vgpr59
.LBB4_8:                                ;   in Loop: Header=BB4_2 Depth=1
	s_andn2_saveexec_b64 s[12:13], s[12:13]
	s_cbranch_execz .LBB4_10
; %bb.9:                                ;   in Loop: Header=BB4_2 Depth=1
	ds_read_b32 v55, v59 offset:4
	s_waitcnt lgkmcnt(1)
	v_mov_b32_e32 v56, v53
.LBB4_10:                               ;   in Loop: Header=BB4_2 Depth=1
	s_or_b64 exec, exec, s[12:13]
	v_add_u32_e32 v60, 1, v58
	v_add_u32_e32 v59, 1, v57
	v_cndmask_b32_e64 v58, v60, v58, s[10:11]
	v_cndmask_b32_e64 v57, v57, v59, s[10:11]
	v_cmp_ge_i32_e64 s[14:15], v58, v5
	s_waitcnt lgkmcnt(0)
	v_cmp_lt_i32_e64 s[16:17], v55, v56
	v_cmp_lt_i32_e64 s[12:13], v57, v6
	s_or_b64 s[14:15], s[14:15], s[16:17]
	s_and_b64 s[12:13], s[12:13], s[14:15]
	s_xor_b64 s[14:15], s[12:13], -1
                                        ; implicit-def: $vgpr59
	s_and_saveexec_b64 s[16:17], s[14:15]
	s_xor_b64 s[14:15], exec, s[16:17]
	s_cbranch_execz .LBB4_12
; %bb.11:                               ;   in Loop: Header=BB4_2 Depth=1
	v_lshlrev_b32_e32 v59, 2, v58
	ds_read_b32 v59, v59 offset:4
.LBB4_12:                               ;   in Loop: Header=BB4_2 Depth=1
	s_or_saveexec_b64 s[14:15], s[14:15]
	v_mov_b32_e32 v60, v55
	s_xor_b64 exec, exec, s[14:15]
	s_cbranch_execz .LBB4_14
; %bb.13:                               ;   in Loop: Header=BB4_2 Depth=1
	s_waitcnt lgkmcnt(0)
	v_lshlrev_b32_e32 v59, 2, v57
	ds_read_b32 v60, v59 offset:4
	v_mov_b32_e32 v59, v56
.LBB4_14:                               ;   in Loop: Header=BB4_2 Depth=1
	s_or_b64 exec, exec, s[14:15]
	v_cndmask_b32_e64 v55, v56, v55, s[12:13]
	v_add_u32_e32 v56, 1, v57
	v_add_u32_e32 v61, 1, v58
	v_cndmask_b32_e64 v56, v57, v56, s[12:13]
	v_cndmask_b32_e64 v57, v61, v58, s[12:13]
	v_cmp_ge_i32_e64 s[12:13], v57, v5
	s_waitcnt lgkmcnt(0)
	v_cmp_lt_i32_e64 s[14:15], v60, v59
	v_cndmask_b32_e64 v53, v53, v54, s[10:11]
	v_cmp_lt_i32_e64 s[10:11], v56, v6
	s_or_b64 s[12:13], s[12:13], s[14:15]
	s_and_b64 s[10:11], s[10:11], s[12:13]
	v_cndmask_b32_e64 v54, v59, v60, s[10:11]
	s_waitcnt lgkmcnt(0)
	; wave barrier
	ds_write2_b32 v2, v53, v55 offset1:1
	ds_write_b32 v2, v54 offset:8
	v_mov_b32_e32 v55, v16
	s_waitcnt lgkmcnt(0)
	; wave barrier
	s_waitcnt lgkmcnt(0)
	s_and_saveexec_b64 s[12:13], s[0:1]
	s_cbranch_execz .LBB4_18
; %bb.15:                               ;   in Loop: Header=BB4_2 Depth=1
	s_mov_b64 s[14:15], 0
	v_mov_b32_e32 v55, v16
	v_mov_b32_e32 v53, v17
.LBB4_16:                               ;   Parent Loop BB4_2 Depth=1
                                        ; =>  This Inner Loop Header: Depth=2
	v_sub_u32_e32 v54, v53, v55
	v_lshrrev_b32_e32 v56, 31, v54
	v_add_u32_e32 v54, v54, v56
	v_ashrrev_i32_e32 v54, 1, v54
	v_add_u32_e32 v54, v54, v55
	v_xad_u32 v57, v54, -1, v11
	v_lshl_add_u32 v56, v54, 2, v15
	v_lshl_add_u32 v57, v57, 2, v48
	ds_read_b32 v56, v56
	ds_read_b32 v57, v57
	v_add_u32_e32 v58, 1, v54
	s_waitcnt lgkmcnt(0)
	v_cmp_lt_i32_e64 s[10:11], v57, v56
	s_nop 1
	v_cndmask_b32_e64 v53, v53, v54, s[10:11]
	v_cndmask_b32_e64 v55, v58, v55, s[10:11]
	v_cmp_ge_i32_e64 s[10:11], v55, v53
	s_or_b64 s[14:15], s[10:11], s[14:15]
	s_andn2_b64 exec, exec, s[14:15]
	s_cbranch_execnz .LBB4_16
; %bb.17:                               ;   in Loop: Header=BB4_2 Depth=1
	s_or_b64 exec, exec, s[14:15]
.LBB4_18:                               ;   in Loop: Header=BB4_2 Depth=1
	s_or_b64 exec, exec, s[12:13]
	v_sub_u32_e32 v57, v18, v55
	v_lshl_add_u32 v60, v55, 2, v15
	v_lshlrev_b32_e32 v59, 2, v57
	ds_read_b32 v53, v60
	ds_read_b32 v54, v59
	v_add_u32_e32 v58, v55, v12
	v_cmp_le_i32_e64 s[12:13], v13, v58
	v_cmp_gt_i32_e64 s[10:11], v14, v57
                                        ; implicit-def: $vgpr55
                                        ; implicit-def: $vgpr56
	s_waitcnt lgkmcnt(0)
	v_cmp_lt_i32_e64 s[14:15], v54, v53
	s_or_b64 s[12:13], s[12:13], s[14:15]
	s_and_b64 s[10:11], s[10:11], s[12:13]
	s_xor_b64 s[12:13], s[10:11], -1
	s_and_saveexec_b64 s[14:15], s[12:13]
	s_xor_b64 s[12:13], exec, s[14:15]
	s_cbranch_execz .LBB4_20
; %bb.19:                               ;   in Loop: Header=BB4_2 Depth=1
	ds_read_b32 v56, v60 offset:4
	v_mov_b32_e32 v55, v54
                                        ; implicit-def: $vgpr59
.LBB4_20:                               ;   in Loop: Header=BB4_2 Depth=1
	s_andn2_saveexec_b64 s[12:13], s[12:13]
	s_cbranch_execz .LBB4_22
; %bb.21:                               ;   in Loop: Header=BB4_2 Depth=1
	ds_read_b32 v55, v59 offset:4
	s_waitcnt lgkmcnt(1)
	v_mov_b32_e32 v56, v53
.LBB4_22:                               ;   in Loop: Header=BB4_2 Depth=1
	s_or_b64 exec, exec, s[12:13]
	v_add_u32_e32 v60, 1, v58
	v_add_u32_e32 v59, 1, v57
	v_cndmask_b32_e64 v58, v60, v58, s[10:11]
	v_cndmask_b32_e64 v57, v57, v59, s[10:11]
	v_cmp_ge_i32_e64 s[14:15], v58, v13
	s_waitcnt lgkmcnt(0)
	v_cmp_lt_i32_e64 s[16:17], v55, v56
	v_cmp_lt_i32_e64 s[12:13], v57, v14
	s_or_b64 s[14:15], s[14:15], s[16:17]
	s_and_b64 s[12:13], s[12:13], s[14:15]
	s_xor_b64 s[14:15], s[12:13], -1
                                        ; implicit-def: $vgpr59
	s_and_saveexec_b64 s[16:17], s[14:15]
	s_xor_b64 s[14:15], exec, s[16:17]
	s_cbranch_execz .LBB4_24
; %bb.23:                               ;   in Loop: Header=BB4_2 Depth=1
	v_lshlrev_b32_e32 v59, 2, v58
	ds_read_b32 v59, v59 offset:4
.LBB4_24:                               ;   in Loop: Header=BB4_2 Depth=1
	s_or_saveexec_b64 s[14:15], s[14:15]
	v_mov_b32_e32 v60, v55
	s_xor_b64 exec, exec, s[14:15]
	s_cbranch_execz .LBB4_26
; %bb.25:                               ;   in Loop: Header=BB4_2 Depth=1
	s_waitcnt lgkmcnt(0)
	v_lshlrev_b32_e32 v59, 2, v57
	ds_read_b32 v60, v59 offset:4
	v_mov_b32_e32 v59, v56
.LBB4_26:                               ;   in Loop: Header=BB4_2 Depth=1
	s_or_b64 exec, exec, s[14:15]
	v_cndmask_b32_e64 v55, v56, v55, s[12:13]
	v_add_u32_e32 v56, 1, v57
	v_add_u32_e32 v61, 1, v58
	v_cndmask_b32_e64 v56, v57, v56, s[12:13]
	v_cndmask_b32_e64 v57, v61, v58, s[12:13]
	v_cmp_ge_i32_e64 s[12:13], v57, v13
	s_waitcnt lgkmcnt(0)
	v_cmp_lt_i32_e64 s[14:15], v60, v59
	v_cndmask_b32_e64 v53, v53, v54, s[10:11]
	v_cmp_lt_i32_e64 s[10:11], v56, v14
	s_or_b64 s[12:13], s[12:13], s[14:15]
	s_and_b64 s[10:11], s[10:11], s[12:13]
	v_cndmask_b32_e64 v54, v59, v60, s[10:11]
	s_waitcnt lgkmcnt(0)
	; wave barrier
	ds_write2_b32 v2, v53, v55 offset1:1
	ds_write_b32 v2, v54 offset:8
	v_mov_b32_e32 v55, v24
	s_waitcnt lgkmcnt(0)
	; wave barrier
	s_waitcnt lgkmcnt(0)
	s_and_saveexec_b64 s[12:13], s[2:3]
	s_cbranch_execz .LBB4_30
; %bb.27:                               ;   in Loop: Header=BB4_2 Depth=1
	s_mov_b64 s[14:15], 0
	v_mov_b32_e32 v55, v24
	v_mov_b32_e32 v53, v25
.LBB4_28:                               ;   Parent Loop BB4_2 Depth=1
                                        ; =>  This Inner Loop Header: Depth=2
	v_sub_u32_e32 v54, v53, v55
	v_lshrrev_b32_e32 v56, 31, v54
	v_add_u32_e32 v54, v54, v56
	v_ashrrev_i32_e32 v54, 1, v54
	v_add_u32_e32 v54, v54, v55
	v_xad_u32 v57, v54, -1, v19
	v_lshl_add_u32 v56, v54, 2, v23
	v_lshl_add_u32 v57, v57, 2, v49
	ds_read_b32 v56, v56
	ds_read_b32 v57, v57
	v_add_u32_e32 v58, 1, v54
	s_waitcnt lgkmcnt(0)
	v_cmp_lt_i32_e64 s[10:11], v57, v56
	s_nop 1
	v_cndmask_b32_e64 v53, v53, v54, s[10:11]
	v_cndmask_b32_e64 v55, v58, v55, s[10:11]
	v_cmp_ge_i32_e64 s[10:11], v55, v53
	s_or_b64 s[14:15], s[10:11], s[14:15]
	s_andn2_b64 exec, exec, s[14:15]
	s_cbranch_execnz .LBB4_28
; %bb.29:                               ;   in Loop: Header=BB4_2 Depth=1
	s_or_b64 exec, exec, s[14:15]
.LBB4_30:                               ;   in Loop: Header=BB4_2 Depth=1
	s_or_b64 exec, exec, s[12:13]
	v_sub_u32_e32 v57, v26, v55
	v_lshl_add_u32 v60, v55, 2, v23
	v_lshlrev_b32_e32 v59, 2, v57
	ds_read_b32 v53, v60
	ds_read_b32 v54, v59
	v_add_u32_e32 v58, v55, v20
	v_cmp_le_i32_e64 s[12:13], v21, v58
	v_cmp_gt_i32_e64 s[10:11], v22, v57
                                        ; implicit-def: $vgpr55
                                        ; implicit-def: $vgpr56
	s_waitcnt lgkmcnt(0)
	v_cmp_lt_i32_e64 s[14:15], v54, v53
	s_or_b64 s[12:13], s[12:13], s[14:15]
	s_and_b64 s[10:11], s[10:11], s[12:13]
	s_xor_b64 s[12:13], s[10:11], -1
	s_and_saveexec_b64 s[14:15], s[12:13]
	s_xor_b64 s[12:13], exec, s[14:15]
	s_cbranch_execz .LBB4_32
; %bb.31:                               ;   in Loop: Header=BB4_2 Depth=1
	ds_read_b32 v56, v60 offset:4
	v_mov_b32_e32 v55, v54
                                        ; implicit-def: $vgpr59
.LBB4_32:                               ;   in Loop: Header=BB4_2 Depth=1
	s_andn2_saveexec_b64 s[12:13], s[12:13]
	s_cbranch_execz .LBB4_34
; %bb.33:                               ;   in Loop: Header=BB4_2 Depth=1
	ds_read_b32 v55, v59 offset:4
	s_waitcnt lgkmcnt(1)
	v_mov_b32_e32 v56, v53
.LBB4_34:                               ;   in Loop: Header=BB4_2 Depth=1
	s_or_b64 exec, exec, s[12:13]
	v_add_u32_e32 v60, 1, v58
	v_add_u32_e32 v59, 1, v57
	v_cndmask_b32_e64 v58, v60, v58, s[10:11]
	v_cndmask_b32_e64 v57, v57, v59, s[10:11]
	v_cmp_ge_i32_e64 s[14:15], v58, v21
	s_waitcnt lgkmcnt(0)
	v_cmp_lt_i32_e64 s[16:17], v55, v56
	v_cmp_lt_i32_e64 s[12:13], v57, v22
	s_or_b64 s[14:15], s[14:15], s[16:17]
	s_and_b64 s[12:13], s[12:13], s[14:15]
	s_xor_b64 s[14:15], s[12:13], -1
                                        ; implicit-def: $vgpr59
	s_and_saveexec_b64 s[16:17], s[14:15]
	s_xor_b64 s[14:15], exec, s[16:17]
	s_cbranch_execz .LBB4_36
; %bb.35:                               ;   in Loop: Header=BB4_2 Depth=1
	v_lshlrev_b32_e32 v59, 2, v58
	ds_read_b32 v59, v59 offset:4
.LBB4_36:                               ;   in Loop: Header=BB4_2 Depth=1
	s_or_saveexec_b64 s[14:15], s[14:15]
	v_mov_b32_e32 v60, v55
	s_xor_b64 exec, exec, s[14:15]
	s_cbranch_execz .LBB4_38
; %bb.37:                               ;   in Loop: Header=BB4_2 Depth=1
	s_waitcnt lgkmcnt(0)
	v_lshlrev_b32_e32 v59, 2, v57
	ds_read_b32 v60, v59 offset:4
	v_mov_b32_e32 v59, v56
.LBB4_38:                               ;   in Loop: Header=BB4_2 Depth=1
	s_or_b64 exec, exec, s[14:15]
	v_cndmask_b32_e64 v55, v56, v55, s[12:13]
	v_add_u32_e32 v56, 1, v57
	v_add_u32_e32 v61, 1, v58
	v_cndmask_b32_e64 v56, v57, v56, s[12:13]
	v_cndmask_b32_e64 v57, v61, v58, s[12:13]
	v_cmp_ge_i32_e64 s[12:13], v57, v21
	s_waitcnt lgkmcnt(0)
	v_cmp_lt_i32_e64 s[14:15], v60, v59
	v_cndmask_b32_e64 v53, v53, v54, s[10:11]
	v_cmp_lt_i32_e64 s[10:11], v56, v22
	s_or_b64 s[12:13], s[12:13], s[14:15]
	s_and_b64 s[10:11], s[10:11], s[12:13]
	v_cndmask_b32_e64 v54, v59, v60, s[10:11]
	s_waitcnt lgkmcnt(0)
	; wave barrier
	ds_write2_b32 v2, v53, v55 offset1:1
	ds_write_b32 v2, v54 offset:8
	v_mov_b32_e32 v55, v32
	s_waitcnt lgkmcnt(0)
	; wave barrier
	s_waitcnt lgkmcnt(0)
	s_and_saveexec_b64 s[12:13], s[4:5]
	s_cbranch_execz .LBB4_42
; %bb.39:                               ;   in Loop: Header=BB4_2 Depth=1
	s_mov_b64 s[14:15], 0
	v_mov_b32_e32 v55, v32
	v_mov_b32_e32 v53, v33
.LBB4_40:                               ;   Parent Loop BB4_2 Depth=1
                                        ; =>  This Inner Loop Header: Depth=2
	v_sub_u32_e32 v54, v53, v55
	v_lshrrev_b32_e32 v56, 31, v54
	v_add_u32_e32 v54, v54, v56
	v_ashrrev_i32_e32 v54, 1, v54
	v_add_u32_e32 v54, v54, v55
	v_xad_u32 v57, v54, -1, v27
	v_lshl_add_u32 v56, v54, 2, v31
	v_lshl_add_u32 v57, v57, 2, v50
	ds_read_b32 v56, v56
	ds_read_b32 v57, v57
	v_add_u32_e32 v58, 1, v54
	s_waitcnt lgkmcnt(0)
	v_cmp_lt_i32_e64 s[10:11], v57, v56
	s_nop 1
	v_cndmask_b32_e64 v53, v53, v54, s[10:11]
	v_cndmask_b32_e64 v55, v58, v55, s[10:11]
	v_cmp_ge_i32_e64 s[10:11], v55, v53
	s_or_b64 s[14:15], s[10:11], s[14:15]
	s_andn2_b64 exec, exec, s[14:15]
	s_cbranch_execnz .LBB4_40
; %bb.41:                               ;   in Loop: Header=BB4_2 Depth=1
	s_or_b64 exec, exec, s[14:15]
.LBB4_42:                               ;   in Loop: Header=BB4_2 Depth=1
	s_or_b64 exec, exec, s[12:13]
	v_sub_u32_e32 v57, v34, v55
	v_lshl_add_u32 v60, v55, 2, v31
	v_lshlrev_b32_e32 v59, 2, v57
	ds_read_b32 v53, v60
	ds_read_b32 v54, v59
	v_add_u32_e32 v58, v55, v28
	v_cmp_le_i32_e64 s[12:13], v29, v58
	v_cmp_gt_i32_e64 s[10:11], v30, v57
                                        ; implicit-def: $vgpr55
                                        ; implicit-def: $vgpr56
	s_waitcnt lgkmcnt(0)
	v_cmp_lt_i32_e64 s[14:15], v54, v53
	s_or_b64 s[12:13], s[12:13], s[14:15]
	s_and_b64 s[10:11], s[10:11], s[12:13]
	s_xor_b64 s[12:13], s[10:11], -1
	s_and_saveexec_b64 s[14:15], s[12:13]
	s_xor_b64 s[12:13], exec, s[14:15]
	s_cbranch_execz .LBB4_44
; %bb.43:                               ;   in Loop: Header=BB4_2 Depth=1
	ds_read_b32 v56, v60 offset:4
	v_mov_b32_e32 v55, v54
                                        ; implicit-def: $vgpr59
.LBB4_44:                               ;   in Loop: Header=BB4_2 Depth=1
	s_andn2_saveexec_b64 s[12:13], s[12:13]
	s_cbranch_execz .LBB4_46
; %bb.45:                               ;   in Loop: Header=BB4_2 Depth=1
	ds_read_b32 v55, v59 offset:4
	s_waitcnt lgkmcnt(1)
	v_mov_b32_e32 v56, v53
.LBB4_46:                               ;   in Loop: Header=BB4_2 Depth=1
	s_or_b64 exec, exec, s[12:13]
	v_add_u32_e32 v60, 1, v58
	v_add_u32_e32 v59, 1, v57
	v_cndmask_b32_e64 v58, v60, v58, s[10:11]
	v_cndmask_b32_e64 v57, v57, v59, s[10:11]
	v_cmp_ge_i32_e64 s[14:15], v58, v29
	s_waitcnt lgkmcnt(0)
	v_cmp_lt_i32_e64 s[16:17], v55, v56
	v_cmp_lt_i32_e64 s[12:13], v57, v30
	s_or_b64 s[14:15], s[14:15], s[16:17]
	s_and_b64 s[12:13], s[12:13], s[14:15]
	s_xor_b64 s[14:15], s[12:13], -1
                                        ; implicit-def: $vgpr59
	s_and_saveexec_b64 s[16:17], s[14:15]
	s_xor_b64 s[14:15], exec, s[16:17]
	s_cbranch_execz .LBB4_48
; %bb.47:                               ;   in Loop: Header=BB4_2 Depth=1
	v_lshlrev_b32_e32 v59, 2, v58
	ds_read_b32 v59, v59 offset:4
.LBB4_48:                               ;   in Loop: Header=BB4_2 Depth=1
	s_or_saveexec_b64 s[14:15], s[14:15]
	v_mov_b32_e32 v60, v55
	s_xor_b64 exec, exec, s[14:15]
	s_cbranch_execz .LBB4_50
; %bb.49:                               ;   in Loop: Header=BB4_2 Depth=1
	s_waitcnt lgkmcnt(0)
	v_lshlrev_b32_e32 v59, 2, v57
	ds_read_b32 v60, v59 offset:4
	v_mov_b32_e32 v59, v56
.LBB4_50:                               ;   in Loop: Header=BB4_2 Depth=1
	s_or_b64 exec, exec, s[14:15]
	v_cndmask_b32_e64 v55, v56, v55, s[12:13]
	v_add_u32_e32 v56, 1, v57
	v_add_u32_e32 v61, 1, v58
	v_cndmask_b32_e64 v56, v57, v56, s[12:13]
	v_cndmask_b32_e64 v57, v61, v58, s[12:13]
	v_cmp_ge_i32_e64 s[12:13], v57, v29
	s_waitcnt lgkmcnt(0)
	v_cmp_lt_i32_e64 s[14:15], v60, v59
	v_cndmask_b32_e64 v53, v53, v54, s[10:11]
	v_cmp_lt_i32_e64 s[10:11], v56, v30
	s_or_b64 s[12:13], s[12:13], s[14:15]
	s_and_b64 s[10:11], s[10:11], s[12:13]
	v_cndmask_b32_e64 v54, v59, v60, s[10:11]
	s_waitcnt lgkmcnt(0)
	; wave barrier
	ds_write2_b32 v2, v53, v55 offset1:1
	ds_write_b32 v2, v54 offset:8
	v_mov_b32_e32 v55, v41
	s_waitcnt lgkmcnt(0)
	; wave barrier
	s_waitcnt lgkmcnt(0)
	s_and_saveexec_b64 s[12:13], s[6:7]
	s_cbranch_execz .LBB4_54
; %bb.51:                               ;   in Loop: Header=BB4_2 Depth=1
	s_mov_b64 s[14:15], 0
	v_mov_b32_e32 v55, v41
	v_mov_b32_e32 v53, v42
.LBB4_52:                               ;   Parent Loop BB4_2 Depth=1
                                        ; =>  This Inner Loop Header: Depth=2
	v_sub_u32_e32 v54, v53, v55
	v_lshrrev_b32_e32 v56, 31, v54
	v_add_u32_e32 v54, v54, v56
	v_ashrrev_i32_e32 v54, 1, v54
	v_add_u32_e32 v54, v54, v55
	v_xad_u32 v57, v54, -1, v35
	v_lshl_add_u32 v56, v54, 2, v40
	v_lshl_add_u32 v57, v57, 2, v51
	ds_read_b32 v56, v56
	ds_read_b32 v57, v57
	v_add_u32_e32 v58, 1, v54
	s_waitcnt lgkmcnt(0)
	v_cmp_lt_i32_e64 s[10:11], v57, v56
	s_nop 1
	v_cndmask_b32_e64 v53, v53, v54, s[10:11]
	v_cndmask_b32_e64 v55, v58, v55, s[10:11]
	v_cmp_ge_i32_e64 s[10:11], v55, v53
	s_or_b64 s[14:15], s[10:11], s[14:15]
	s_andn2_b64 exec, exec, s[14:15]
	s_cbranch_execnz .LBB4_52
; %bb.53:                               ;   in Loop: Header=BB4_2 Depth=1
	s_or_b64 exec, exec, s[14:15]
.LBB4_54:                               ;   in Loop: Header=BB4_2 Depth=1
	s_or_b64 exec, exec, s[12:13]
	v_sub_u32_e32 v57, v43, v55
	v_lshl_add_u32 v60, v55, 2, v40
	v_lshlrev_b32_e32 v59, 2, v57
	ds_read_b32 v53, v60
	ds_read_b32 v54, v59
	v_add_u32_e32 v58, v55, v36
	v_cmp_le_i32_e64 s[12:13], v37, v58
	v_cmp_gt_i32_e64 s[10:11], v39, v57
                                        ; implicit-def: $vgpr55
                                        ; implicit-def: $vgpr56
	s_waitcnt lgkmcnt(0)
	v_cmp_lt_i32_e64 s[14:15], v54, v53
	s_or_b64 s[12:13], s[12:13], s[14:15]
	s_and_b64 s[10:11], s[10:11], s[12:13]
	s_xor_b64 s[12:13], s[10:11], -1
	s_and_saveexec_b64 s[14:15], s[12:13]
	s_xor_b64 s[12:13], exec, s[14:15]
	s_cbranch_execz .LBB4_56
; %bb.55:                               ;   in Loop: Header=BB4_2 Depth=1
	ds_read_b32 v56, v60 offset:4
	v_mov_b32_e32 v55, v54
                                        ; implicit-def: $vgpr59
.LBB4_56:                               ;   in Loop: Header=BB4_2 Depth=1
	s_andn2_saveexec_b64 s[12:13], s[12:13]
	s_cbranch_execz .LBB4_58
; %bb.57:                               ;   in Loop: Header=BB4_2 Depth=1
	ds_read_b32 v55, v59 offset:4
	s_waitcnt lgkmcnt(1)
	v_mov_b32_e32 v56, v53
.LBB4_58:                               ;   in Loop: Header=BB4_2 Depth=1
	s_or_b64 exec, exec, s[12:13]
	v_add_u32_e32 v60, 1, v58
	v_add_u32_e32 v59, 1, v57
	v_cndmask_b32_e64 v58, v60, v58, s[10:11]
	v_cndmask_b32_e64 v57, v57, v59, s[10:11]
	v_cmp_ge_i32_e64 s[14:15], v58, v37
	s_waitcnt lgkmcnt(0)
	v_cmp_lt_i32_e64 s[16:17], v55, v56
	v_cmp_lt_i32_e64 s[12:13], v57, v39
	s_or_b64 s[14:15], s[14:15], s[16:17]
	s_and_b64 s[12:13], s[12:13], s[14:15]
	s_xor_b64 s[14:15], s[12:13], -1
                                        ; implicit-def: $vgpr59
	s_and_saveexec_b64 s[16:17], s[14:15]
	s_xor_b64 s[14:15], exec, s[16:17]
	s_cbranch_execz .LBB4_60
; %bb.59:                               ;   in Loop: Header=BB4_2 Depth=1
	v_lshlrev_b32_e32 v59, 2, v58
	ds_read_b32 v59, v59 offset:4
.LBB4_60:                               ;   in Loop: Header=BB4_2 Depth=1
	s_or_saveexec_b64 s[14:15], s[14:15]
	v_mov_b32_e32 v60, v55
	s_xor_b64 exec, exec, s[14:15]
	s_cbranch_execz .LBB4_62
; %bb.61:                               ;   in Loop: Header=BB4_2 Depth=1
	s_waitcnt lgkmcnt(0)
	v_lshlrev_b32_e32 v59, 2, v57
	ds_read_b32 v60, v59 offset:4
	v_mov_b32_e32 v59, v56
.LBB4_62:                               ;   in Loop: Header=BB4_2 Depth=1
	s_or_b64 exec, exec, s[14:15]
	v_cndmask_b32_e64 v55, v56, v55, s[12:13]
	v_add_u32_e32 v56, 1, v57
	v_add_u32_e32 v61, 1, v58
	v_cndmask_b32_e64 v56, v57, v56, s[12:13]
	v_cndmask_b32_e64 v57, v61, v58, s[12:13]
	v_cmp_ge_i32_e64 s[12:13], v57, v37
	s_waitcnt lgkmcnt(0)
	v_cmp_lt_i32_e64 s[14:15], v60, v59
	v_cndmask_b32_e64 v53, v53, v54, s[10:11]
	v_cmp_lt_i32_e64 s[10:11], v56, v39
	s_or_b64 s[12:13], s[12:13], s[14:15]
	s_and_b64 s[10:11], s[10:11], s[12:13]
	v_cndmask_b32_e64 v54, v59, v60, s[10:11]
	s_waitcnt lgkmcnt(0)
	; wave barrier
	ds_write2_b32 v2, v53, v55 offset1:1
	ds_write_b32 v2, v54 offset:8
	v_mov_b32_e32 v55, v44
	s_waitcnt lgkmcnt(0)
	; wave barrier
	s_waitcnt lgkmcnt(0)
	s_and_saveexec_b64 s[12:13], s[8:9]
	s_cbranch_execz .LBB4_66
; %bb.63:                               ;   in Loop: Header=BB4_2 Depth=1
	s_mov_b64 s[14:15], 0
	v_mov_b32_e32 v55, v44
	v_mov_b32_e32 v53, v45
.LBB4_64:                               ;   Parent Loop BB4_2 Depth=1
                                        ; =>  This Inner Loop Header: Depth=2
	v_sub_u32_e32 v54, v53, v55
	v_lshrrev_b32_e32 v56, 31, v54
	v_add_u32_e32 v54, v54, v56
	v_ashrrev_i32_e32 v54, 1, v54
	v_add_u32_e32 v54, v54, v55
	v_xad_u32 v57, v54, -1, v1
	v_lshlrev_b32_e32 v56, 2, v54
	v_lshl_add_u32 v57, v57, 2, v52
	ds_read_b32 v56, v56
	ds_read_b32 v57, v57
	v_add_u32_e32 v58, 1, v54
	s_waitcnt lgkmcnt(0)
	v_cmp_lt_i32_e64 s[10:11], v57, v56
	s_nop 1
	v_cndmask_b32_e64 v53, v53, v54, s[10:11]
	v_cndmask_b32_e64 v55, v58, v55, s[10:11]
	v_cmp_ge_i32_e64 s[10:11], v55, v53
	s_or_b64 s[14:15], s[10:11], s[14:15]
	s_andn2_b64 exec, exec, s[14:15]
	s_cbranch_execnz .LBB4_64
; %bb.65:                               ;   in Loop: Header=BB4_2 Depth=1
	s_or_b64 exec, exec, s[14:15]
.LBB4_66:                               ;   in Loop: Header=BB4_2 Depth=1
	s_or_b64 exec, exec, s[12:13]
	v_sub_u32_e32 v58, v46, v55
	v_lshlrev_b32_e32 v60, 2, v55
	v_lshlrev_b32_e32 v59, 2, v58
	ds_read_b32 v53, v60
	ds_read_b32 v54, v59
	v_cmp_le_i32_e64 s[12:13], v38, v55
	v_cmp_gt_i32_e64 s[10:11], s24, v58
                                        ; implicit-def: $vgpr56
                                        ; implicit-def: $vgpr57
	s_waitcnt lgkmcnt(0)
	v_cmp_lt_i32_e64 s[14:15], v54, v53
	s_or_b64 s[12:13], s[12:13], s[14:15]
	s_and_b64 s[10:11], s[10:11], s[12:13]
	s_xor_b64 s[12:13], s[10:11], -1
	s_and_saveexec_b64 s[14:15], s[12:13]
	s_xor_b64 s[12:13], exec, s[14:15]
	s_cbranch_execz .LBB4_68
; %bb.67:                               ;   in Loop: Header=BB4_2 Depth=1
	ds_read_b32 v57, v60 offset:4
	v_mov_b32_e32 v56, v54
                                        ; implicit-def: $vgpr59
.LBB4_68:                               ;   in Loop: Header=BB4_2 Depth=1
	s_andn2_saveexec_b64 s[12:13], s[12:13]
	s_cbranch_execz .LBB4_70
; %bb.69:                               ;   in Loop: Header=BB4_2 Depth=1
	ds_read_b32 v56, v59 offset:4
	s_waitcnt lgkmcnt(1)
	v_mov_b32_e32 v57, v53
.LBB4_70:                               ;   in Loop: Header=BB4_2 Depth=1
	s_or_b64 exec, exec, s[12:13]
	v_add_u32_e32 v59, 1, v58
	v_add_u32_e32 v60, 1, v55
	v_cndmask_b32_e64 v58, v58, v59, s[10:11]
	v_cndmask_b32_e64 v59, v60, v55, s[10:11]
	v_cmp_ge_i32_e64 s[14:15], v59, v38
	s_waitcnt lgkmcnt(0)
	v_cmp_lt_i32_e64 s[16:17], v56, v57
	v_cmp_gt_i32_e64 s[12:13], s24, v58
	s_or_b64 s[14:15], s[14:15], s[16:17]
	s_and_b64 s[12:13], s[12:13], s[14:15]
	s_xor_b64 s[14:15], s[12:13], -1
                                        ; implicit-def: $vgpr55
                                        ; implicit-def: $vgpr60
	s_and_saveexec_b64 s[16:17], s[14:15]
	s_xor_b64 s[14:15], exec, s[16:17]
	s_cbranch_execz .LBB4_72
; %bb.71:                               ;   in Loop: Header=BB4_2 Depth=1
	v_lshlrev_b32_e32 v55, 2, v59
	ds_read_b32 v55, v55 offset:4
	v_add_u32_e32 v60, 1, v59
                                        ; implicit-def: $vgpr59
.LBB4_72:                               ;   in Loop: Header=BB4_2 Depth=1
	s_or_saveexec_b64 s[14:15], s[14:15]
	v_mov_b32_e32 v61, v56
	s_xor_b64 exec, exec, s[14:15]
	s_cbranch_execz .LBB4_1
; %bb.73:                               ;   in Loop: Header=BB4_2 Depth=1
	s_waitcnt lgkmcnt(0)
	v_lshlrev_b32_e32 v55, 2, v58
	ds_read_b32 v61, v55 offset:4
	v_add_u32_e32 v58, 1, v58
	v_mov_b32_e32 v60, v59
	v_mov_b32_e32 v55, v57
	s_branch .LBB4_1
.LBB4_74:
	s_add_u32 s0, s18, s22
	s_addc_u32 s1, s19, s23
	v_lshlrev_b32_e32 v0, 2, v0
	global_store_dword v0, v53, s[0:1]
	global_store_dword v0, v54, s[0:1] offset:256
	global_store_dword v0, v55, s[0:1] offset:512
	s_endpgm
	.section	.rodata,"a",@progbits
	.p2align	6, 0x0
	.amdhsa_kernel _Z16sort_keys_kernelIiLj64ELj3EN10test_utils4lessELj10EEvPKT_PS2_T2_
		.amdhsa_group_segment_fixed_size 772
		.amdhsa_private_segment_fixed_size 0
		.amdhsa_kernarg_size 20
		.amdhsa_user_sgpr_count 2
		.amdhsa_user_sgpr_dispatch_ptr 0
		.amdhsa_user_sgpr_queue_ptr 0
		.amdhsa_user_sgpr_kernarg_segment_ptr 1
		.amdhsa_user_sgpr_dispatch_id 0
		.amdhsa_user_sgpr_kernarg_preload_length 0
		.amdhsa_user_sgpr_kernarg_preload_offset 0
		.amdhsa_user_sgpr_private_segment_size 0
		.amdhsa_uses_dynamic_stack 0
		.amdhsa_enable_private_segment 0
		.amdhsa_system_sgpr_workgroup_id_x 1
		.amdhsa_system_sgpr_workgroup_id_y 0
		.amdhsa_system_sgpr_workgroup_id_z 0
		.amdhsa_system_sgpr_workgroup_info 0
		.amdhsa_system_vgpr_workitem_id 0
		.amdhsa_next_free_vgpr 62
		.amdhsa_next_free_sgpr 25
		.amdhsa_accum_offset 64
		.amdhsa_reserve_vcc 1
		.amdhsa_float_round_mode_32 0
		.amdhsa_float_round_mode_16_64 0
		.amdhsa_float_denorm_mode_32 3
		.amdhsa_float_denorm_mode_16_64 3
		.amdhsa_dx10_clamp 1
		.amdhsa_ieee_mode 1
		.amdhsa_fp16_overflow 0
		.amdhsa_tg_split 0
		.amdhsa_exception_fp_ieee_invalid_op 0
		.amdhsa_exception_fp_denorm_src 0
		.amdhsa_exception_fp_ieee_div_zero 0
		.amdhsa_exception_fp_ieee_overflow 0
		.amdhsa_exception_fp_ieee_underflow 0
		.amdhsa_exception_fp_ieee_inexact 0
		.amdhsa_exception_int_div_zero 0
	.end_amdhsa_kernel
	.section	.text._Z16sort_keys_kernelIiLj64ELj3EN10test_utils4lessELj10EEvPKT_PS2_T2_,"axG",@progbits,_Z16sort_keys_kernelIiLj64ELj3EN10test_utils4lessELj10EEvPKT_PS2_T2_,comdat
.Lfunc_end4:
	.size	_Z16sort_keys_kernelIiLj64ELj3EN10test_utils4lessELj10EEvPKT_PS2_T2_, .Lfunc_end4-_Z16sort_keys_kernelIiLj64ELj3EN10test_utils4lessELj10EEvPKT_PS2_T2_
                                        ; -- End function
	.section	.AMDGPU.csdata,"",@progbits
; Kernel info:
; codeLenInByte = 3900
; NumSgprs: 31
; NumVgprs: 62
; NumAgprs: 0
; TotalNumVgprs: 62
; ScratchSize: 0
; MemoryBound: 0
; FloatMode: 240
; IeeeMode: 1
; LDSByteSize: 772 bytes/workgroup (compile time only)
; SGPRBlocks: 3
; VGPRBlocks: 7
; NumSGPRsForWavesPerEU: 31
; NumVGPRsForWavesPerEU: 62
; AccumOffset: 64
; Occupancy: 8
; WaveLimiterHint : 1
; COMPUTE_PGM_RSRC2:SCRATCH_EN: 0
; COMPUTE_PGM_RSRC2:USER_SGPR: 2
; COMPUTE_PGM_RSRC2:TRAP_HANDLER: 0
; COMPUTE_PGM_RSRC2:TGID_X_EN: 1
; COMPUTE_PGM_RSRC2:TGID_Y_EN: 0
; COMPUTE_PGM_RSRC2:TGID_Z_EN: 0
; COMPUTE_PGM_RSRC2:TIDIG_COMP_CNT: 0
; COMPUTE_PGM_RSRC3_GFX90A:ACCUM_OFFSET: 15
; COMPUTE_PGM_RSRC3_GFX90A:TG_SPLIT: 0
	.section	.text._Z17sort_pairs_kernelIiLj64ELj3EN10test_utils4lessELj10EEvPKT_PS2_T2_,"axG",@progbits,_Z17sort_pairs_kernelIiLj64ELj3EN10test_utils4lessELj10EEvPKT_PS2_T2_,comdat
	.protected	_Z17sort_pairs_kernelIiLj64ELj3EN10test_utils4lessELj10EEvPKT_PS2_T2_ ; -- Begin function _Z17sort_pairs_kernelIiLj64ELj3EN10test_utils4lessELj10EEvPKT_PS2_T2_
	.globl	_Z17sort_pairs_kernelIiLj64ELj3EN10test_utils4lessELj10EEvPKT_PS2_T2_
	.p2align	8
	.type	_Z17sort_pairs_kernelIiLj64ELj3EN10test_utils4lessELj10EEvPKT_PS2_T2_,@function
_Z17sort_pairs_kernelIiLj64ELj3EN10test_utils4lessELj10EEvPKT_PS2_T2_: ; @_Z17sort_pairs_kernelIiLj64ELj3EN10test_utils4lessELj10EEvPKT_PS2_T2_
; %bb.0:
	s_load_dwordx4 s[24:27], s[0:1], 0x0
	s_mul_i32 s30, s2, 0xc0
	s_mov_b32 s31, 0
	s_lshl_b64 s[28:29], s[30:31], 2
	v_lshlrev_b32_e32 v1, 2, v0
	s_waitcnt lgkmcnt(0)
	s_add_u32 s0, s24, s28
	s_addc_u32 s1, s25, s29
	global_load_dword v56, v1, s[0:1]
	global_load_dword v57, v1, s[0:1] offset:256
	global_load_dword v55, v1, s[0:1] offset:512
	v_and_b32_e32 v3, 62, v0
	v_and_b32_e32 v5, 60, v0
	v_and_b32_e32 v6, 56, v0
	v_and_b32_e32 v7, 48, v0
	v_mul_u32_u24_e32 v8, 3, v3
	v_and_b32_e32 v4, 1, v0
	v_mul_u32_u24_e32 v9, 3, v5
	v_mul_u32_u24_e32 v10, 3, v6
	;; [unrolled: 1-line block ×3, first 2 shown]
	v_min_u32_e32 v47, 0xbd, v8
	v_min_u32_e32 v12, 0xba, v8
	v_cmp_eq_u32_e32 vcc, 1, v4
	v_min_u32_e32 v7, 0xc0, v8
	v_min_u32_e32 v8, 0xc0, v9
	;; [unrolled: 1-line block ×10, first 2 shown]
	v_add_u32_e32 v11, 3, v47
	v_add_u32_e32 v12, 6, v12
	v_cndmask_b32_e64 v3, 0, 3, vcc
	v_sub_u32_e32 v29, v12, v11
	v_and_b32_e32 v24, 3, v0
	v_add_u32_e32 v14, 6, v48
	v_add_u32_e32 v15, 12, v15
	v_sub_u32_e32 v35, v3, v29
	v_cmp_ge_i32_e32 vcc, v3, v29
	v_and_b32_e32 v25, 7, v0
	v_mul_u32_u24_e32 v4, 3, v24
	v_add_u32_e32 v17, 12, v49
	v_add_u32_e32 v18, 24, v18
	v_sub_u32_e32 v30, v15, v14
	v_cndmask_b32_e32 v29, 0, v35, vcc
	v_and_b32_e32 v35, 32, v0
	v_mul_u32_u24_e32 v5, 3, v25
	v_sub_u32_e32 v31, v18, v17
	v_sub_u32_e32 v36, v4, v30
	v_cmp_ge_i32_e32 vcc, v4, v30
	v_mul_u32_u24_e32 v39, 3, v35
	v_and_b32_e32 v34, 15, v0
	v_add_u32_e32 v20, 24, v50
	v_add_u32_e32 v21, 48, v21
	v_sub_u32_e32 v37, v5, v31
	v_cndmask_b32_e32 v30, 0, v36, vcc
	v_cmp_ge_i32_e32 vcc, v5, v31
	v_min_u32_e32 v36, 0xc0, v39
	v_min_u32_e32 v51, 0x90, v39
	;; [unrolled: 1-line block ×3, first 2 shown]
	v_mul_u32_u24_e32 v6, 3, v34
	v_sub_u32_e32 v32, v21, v20
	v_cndmask_b32_e32 v31, 0, v37, vcc
	v_and_b32_e32 v43, 31, v0
	v_add_u32_e32 v37, 48, v51
	v_add_u32_e32 v39, 0x60, v39
	v_sub_u32_e32 v38, v6, v32
	v_cmp_ge_i32_e32 vcc, v6, v32
	v_mul_u32_u24_e32 v35, 3, v43
	v_sub_u32_e32 v41, v39, v37
	v_mul_u32_u24_e32 v1, 3, v0
	v_sub_u32_e32 v26, v11, v7
	v_sub_u32_e32 v27, v14, v8
	;; [unrolled: 1-line block ×4, first 2 shown]
	v_cndmask_b32_e32 v32, 0, v38, vcc
	v_mov_b32_e32 v38, 0x60
	v_sub_u32_e32 v42, v37, v36
	v_sub_u32_e32 v44, v35, v41
	v_cmp_ge_i32_e64 s[6:7], v35, v41
	v_min_i32_e32 v26, v3, v26
	v_min_i32_e32 v27, v4, v27
	;; [unrolled: 1-line block ×4, first 2 shown]
	v_cndmask_b32_e64 v41, 0, v44, s[6:7]
	v_min_i32_e32 v42, v35, v42
	v_sub_u32_e64 v44, v1, v38 clamp
	v_min_i32_e32 v45, 0x60, v1
	v_mov_b32_e32 v58, 0xc0
	s_movk_i32 s24, 0xc0
	v_lshlrev_b32_e32 v2, 2, v1
	v_lshlrev_b32_e32 v13, 2, v7
	;; [unrolled: 1-line block ×5, first 2 shown]
	v_add_u32_e32 v23, v11, v3
	v_mad_u32_u24 v24, v24, 3, v14
	v_mad_u32_u24 v25, v25, 3, v17
	v_cmp_lt_i32_e32 vcc, v29, v26
	v_cmp_lt_i32_e64 s[0:1], v30, v27
	v_cmp_lt_i32_e64 s[2:3], v31, v28
	s_waitcnt vmcnt(2)
	v_add_u32_e32 v52, 1, v56
	s_waitcnt vmcnt(1)
	v_add_u32_e32 v54, 1, v57
	;; [unrolled: 2-line block ×3, first 2 shown]
	v_cmp_lt_i32_e64 s[4:5], v32, v33
	v_mad_u32_u24 v34, v34, 3, v20
	v_lshlrev_b32_e32 v40, 2, v36
	v_cmp_lt_i32_e64 s[6:7], v41, v42
	v_mad_u32_u24 v43, v43, 3, v37
	v_cmp_lt_i32_e64 s[8:9], v44, v45
	v_mad_u32_u24 v46, v0, 3, v38
	v_lshl_add_u32 v47, v47, 2, 12
	v_lshl_add_u32 v48, v48, 2, 24
	;; [unrolled: 1-line block ×5, first 2 shown]
	s_branch .LBB5_2
.LBB5_1:                                ;   in Loop: Header=BB5_2 Depth=1
	s_or_b64 exec, exec, s[14:15]
	v_cmp_ge_i32_e64 s[16:17], v63, v38
	s_waitcnt lgkmcnt(0)
	v_cmp_lt_i32_e64 s[18:19], v66, v64
	v_cmp_gt_i32_e64 s[14:15], s24, v61
	s_or_b64 s[16:17], s[16:17], s[18:19]
	v_cndmask_b32_e64 v60, v55, v60, s[10:11]
	s_and_b64 s[14:15], s[14:15], s[16:17]
	v_cndmask_b32_e64 v61, v63, v61, s[14:15]
	s_waitcnt lgkmcnt(0)
	; wave barrier
	ds_write2_b32 v2, v52, v53 offset1:1
	ds_write_b32 v2, v54 offset:8
	v_lshlrev_b32_e32 v52, 2, v60
	v_lshlrev_b32_e32 v53, 2, v65
	s_waitcnt lgkmcnt(0)
	; wave barrier
	s_waitcnt lgkmcnt(0)
	v_lshlrev_b32_e32 v60, 2, v61
	ds_read_b32 v52, v52
	ds_read_b32 v54, v53
	;; [unrolled: 1-line block ×3, first 2 shown]
	s_add_i32 s31, s31, 1
	v_cndmask_b32_e64 v55, v64, v66, s[14:15]
	v_cndmask_b32_e64 v56, v56, v57, s[10:11]
	s_cmp_eq_u32 s31, 10
	v_cndmask_b32_e64 v57, v59, v58, s[12:13]
	s_cbranch_scc1 .LBB5_74
.LBB5_2:                                ; =>This Loop Header: Depth=1
                                        ;     Child Loop BB5_4 Depth 2
                                        ;     Child Loop BB5_16 Depth 2
	;; [unrolled: 1-line block ×6, first 2 shown]
	v_cmp_lt_i32_e64 s[10:11], v57, v56
	s_waitcnt lgkmcnt(0)
	; wave barrier
	s_nop 0
	v_cndmask_b32_e64 v58, v56, v57, s[10:11]
	v_cndmask_b32_e64 v59, v57, v56, s[10:11]
	v_max_i32_e32 v56, v57, v56
	v_cmp_lt_i32_e64 s[12:13], v55, v56
	s_nop 1
	v_cndmask_b32_e64 v57, v55, v56, s[12:13]
	v_cndmask_b32_e64 v59, v59, v55, s[12:13]
	v_min_i32_e32 v55, v55, v56
	v_cmp_lt_i32_e64 s[14:15], v55, v58
	s_nop 1
	v_cndmask_b32_e64 v56, v59, v58, s[14:15]
	v_cndmask_b32_e64 v55, v58, v55, s[14:15]
	ds_write2_b32 v2, v55, v56 offset1:1
	ds_write_b32 v2, v57 offset:8
	v_mov_b32_e32 v57, v29
	s_waitcnt lgkmcnt(0)
	; wave barrier
	s_waitcnt lgkmcnt(0)
	s_and_saveexec_b64 s[18:19], vcc
	s_cbranch_execz .LBB5_6
; %bb.3:                                ;   in Loop: Header=BB5_2 Depth=1
	s_mov_b64 s[20:21], 0
	v_mov_b32_e32 v57, v29
	v_mov_b32_e32 v55, v26
.LBB5_4:                                ;   Parent Loop BB5_2 Depth=1
                                        ; =>  This Inner Loop Header: Depth=2
	v_sub_u32_e32 v56, v55, v57
	v_lshrrev_b32_e32 v58, 31, v56
	v_add_u32_e32 v56, v56, v58
	v_ashrrev_i32_e32 v56, 1, v56
	v_add_u32_e32 v56, v56, v57
	v_xad_u32 v59, v56, -1, v3
	v_lshl_add_u32 v58, v56, 2, v13
	v_lshl_add_u32 v59, v59, 2, v47
	ds_read_b32 v58, v58
	ds_read_b32 v59, v59
	v_add_u32_e32 v60, 1, v56
	s_waitcnt lgkmcnt(0)
	v_cmp_lt_i32_e64 s[16:17], v59, v58
	s_nop 1
	v_cndmask_b32_e64 v55, v55, v56, s[16:17]
	v_cndmask_b32_e64 v57, v60, v57, s[16:17]
	v_cmp_ge_i32_e64 s[16:17], v57, v55
	s_or_b64 s[20:21], s[16:17], s[20:21]
	s_andn2_b64 exec, exec, s[20:21]
	s_cbranch_execnz .LBB5_4
; %bb.5:                                ;   in Loop: Header=BB5_2 Depth=1
	s_or_b64 exec, exec, s[20:21]
.LBB5_6:                                ;   in Loop: Header=BB5_2 Depth=1
	s_or_b64 exec, exec, s[18:19]
	v_sub_u32_e32 v55, v23, v57
	v_lshl_add_u32 v62, v57, 2, v13
	v_lshlrev_b32_e32 v61, 2, v55
	ds_read_b32 v56, v62
	ds_read_b32 v58, v61
	v_add_u32_e32 v57, v57, v7
	v_cmp_le_i32_e64 s[18:19], v11, v57
	v_cmp_gt_i32_e64 s[16:17], v12, v55
                                        ; implicit-def: $vgpr59
                                        ; implicit-def: $vgpr60
	s_waitcnt lgkmcnt(0)
	v_cmp_lt_i32_e64 s[20:21], v58, v56
	s_or_b64 s[18:19], s[18:19], s[20:21]
	s_and_b64 s[16:17], s[16:17], s[18:19]
	s_xor_b64 s[18:19], s[16:17], -1
	s_and_saveexec_b64 s[20:21], s[18:19]
	s_xor_b64 s[18:19], exec, s[20:21]
	s_cbranch_execz .LBB5_8
; %bb.7:                                ;   in Loop: Header=BB5_2 Depth=1
	ds_read_b32 v60, v62 offset:4
	v_mov_b32_e32 v59, v58
                                        ; implicit-def: $vgpr61
.LBB5_8:                                ;   in Loop: Header=BB5_2 Depth=1
	s_andn2_saveexec_b64 s[18:19], s[18:19]
	s_cbranch_execz .LBB5_10
; %bb.9:                                ;   in Loop: Header=BB5_2 Depth=1
	ds_read_b32 v59, v61 offset:4
	s_waitcnt lgkmcnt(1)
	v_mov_b32_e32 v60, v56
.LBB5_10:                               ;   in Loop: Header=BB5_2 Depth=1
	s_or_b64 exec, exec, s[18:19]
	v_add_u32_e32 v62, 1, v57
	v_add_u32_e32 v61, 1, v55
	v_cndmask_b32_e64 v63, v62, v57, s[16:17]
	v_cndmask_b32_e64 v61, v55, v61, s[16:17]
	v_cmp_ge_i32_e64 s[20:21], v63, v11
	s_waitcnt lgkmcnt(0)
	v_cmp_lt_i32_e64 s[22:23], v59, v60
	v_cmp_lt_i32_e64 s[18:19], v61, v12
	s_or_b64 s[20:21], s[20:21], s[22:23]
	s_and_b64 s[18:19], s[18:19], s[20:21]
	s_xor_b64 s[20:21], s[18:19], -1
                                        ; implicit-def: $vgpr62
	s_and_saveexec_b64 s[22:23], s[20:21]
	s_xor_b64 s[20:21], exec, s[22:23]
	s_cbranch_execz .LBB5_12
; %bb.11:                               ;   in Loop: Header=BB5_2 Depth=1
	v_lshlrev_b32_e32 v62, 2, v63
	ds_read_b32 v62, v62 offset:4
.LBB5_12:                               ;   in Loop: Header=BB5_2 Depth=1
	s_or_saveexec_b64 s[20:21], s[20:21]
	v_mov_b32_e32 v64, v59
	s_xor_b64 exec, exec, s[20:21]
	s_cbranch_execz .LBB5_14
; %bb.13:                               ;   in Loop: Header=BB5_2 Depth=1
	s_waitcnt lgkmcnt(0)
	v_lshlrev_b32_e32 v62, 2, v61
	ds_read_b32 v64, v62 offset:4
	v_mov_b32_e32 v62, v60
.LBB5_14:                               ;   in Loop: Header=BB5_2 Depth=1
	s_or_b64 exec, exec, s[20:21]
	v_add_u32_e32 v65, 1, v63
	v_cndmask_b32_e64 v55, v57, v55, s[16:17]
	v_cndmask_b32_e64 v57, v52, v54, s[10:11]
	;; [unrolled: 1-line block ×4, first 2 shown]
	v_add_u32_e32 v60, 1, v61
	v_cndmask_b32_e64 v65, v65, v63, s[18:19]
	v_cndmask_b32_e64 v54, v53, v52, s[12:13]
	;; [unrolled: 1-line block ×6, first 2 shown]
	v_cmp_ge_i32_e64 s[12:13], v65, v11
	s_waitcnt lgkmcnt(0)
	v_cmp_lt_i32_e64 s[14:15], v64, v62
	v_cmp_lt_i32_e64 s[10:11], v60, v12
	s_or_b64 s[12:13], s[12:13], s[14:15]
	s_and_b64 s[10:11], s[10:11], s[12:13]
	v_cndmask_b32_e64 v61, v63, v61, s[18:19]
	v_cndmask_b32_e64 v56, v56, v58, s[16:17]
	;; [unrolled: 1-line block ×3, first 2 shown]
	s_waitcnt lgkmcnt(0)
	; wave barrier
	ds_write2_b32 v2, v52, v53 offset1:1
	ds_write_b32 v2, v54 offset:8
	v_lshlrev_b32_e32 v52, 2, v55
	v_lshlrev_b32_e32 v53, 2, v61
	;; [unrolled: 1-line block ×3, first 2 shown]
	s_waitcnt lgkmcnt(0)
	; wave barrier
	s_waitcnt lgkmcnt(0)
	ds_read_b32 v52, v52
	ds_read_b32 v53, v53
	;; [unrolled: 1-line block ×3, first 2 shown]
	v_cndmask_b32_e64 v57, v62, v64, s[10:11]
	s_waitcnt lgkmcnt(0)
	; wave barrier
	s_waitcnt lgkmcnt(0)
	ds_write2_b32 v2, v56, v59 offset1:1
	ds_write_b32 v2, v57 offset:8
	v_mov_b32_e32 v57, v30
	s_waitcnt lgkmcnt(0)
	; wave barrier
	s_waitcnt lgkmcnt(0)
	s_and_saveexec_b64 s[12:13], s[0:1]
	s_cbranch_execz .LBB5_18
; %bb.15:                               ;   in Loop: Header=BB5_2 Depth=1
	s_mov_b64 s[14:15], 0
	v_mov_b32_e32 v57, v30
	v_mov_b32_e32 v55, v27
.LBB5_16:                               ;   Parent Loop BB5_2 Depth=1
                                        ; =>  This Inner Loop Header: Depth=2
	v_sub_u32_e32 v56, v55, v57
	v_lshrrev_b32_e32 v58, 31, v56
	v_add_u32_e32 v56, v56, v58
	v_ashrrev_i32_e32 v56, 1, v56
	v_add_u32_e32 v56, v56, v57
	v_xad_u32 v59, v56, -1, v4
	v_lshl_add_u32 v58, v56, 2, v16
	v_lshl_add_u32 v59, v59, 2, v48
	ds_read_b32 v58, v58
	ds_read_b32 v59, v59
	v_add_u32_e32 v60, 1, v56
	s_waitcnt lgkmcnt(0)
	v_cmp_lt_i32_e64 s[10:11], v59, v58
	s_nop 1
	v_cndmask_b32_e64 v55, v55, v56, s[10:11]
	v_cndmask_b32_e64 v57, v60, v57, s[10:11]
	v_cmp_ge_i32_e64 s[10:11], v57, v55
	s_or_b64 s[14:15], s[10:11], s[14:15]
	s_andn2_b64 exec, exec, s[14:15]
	s_cbranch_execnz .LBB5_16
; %bb.17:                               ;   in Loop: Header=BB5_2 Depth=1
	s_or_b64 exec, exec, s[14:15]
.LBB5_18:                               ;   in Loop: Header=BB5_2 Depth=1
	s_or_b64 exec, exec, s[12:13]
	v_sub_u32_e32 v55, v24, v57
	v_lshl_add_u32 v62, v57, 2, v16
	v_lshlrev_b32_e32 v61, 2, v55
	ds_read_b32 v56, v62
	ds_read_b32 v58, v61
	v_add_u32_e32 v57, v57, v8
	v_cmp_le_i32_e64 s[12:13], v14, v57
	v_cmp_gt_i32_e64 s[10:11], v15, v55
                                        ; implicit-def: $vgpr59
                                        ; implicit-def: $vgpr60
	s_waitcnt lgkmcnt(0)
	v_cmp_lt_i32_e64 s[14:15], v58, v56
	s_or_b64 s[12:13], s[12:13], s[14:15]
	s_and_b64 s[10:11], s[10:11], s[12:13]
	s_xor_b64 s[12:13], s[10:11], -1
	s_and_saveexec_b64 s[14:15], s[12:13]
	s_xor_b64 s[12:13], exec, s[14:15]
	s_cbranch_execz .LBB5_20
; %bb.19:                               ;   in Loop: Header=BB5_2 Depth=1
	ds_read_b32 v60, v62 offset:4
	v_mov_b32_e32 v59, v58
                                        ; implicit-def: $vgpr61
.LBB5_20:                               ;   in Loop: Header=BB5_2 Depth=1
	s_andn2_saveexec_b64 s[12:13], s[12:13]
	s_cbranch_execz .LBB5_22
; %bb.21:                               ;   in Loop: Header=BB5_2 Depth=1
	ds_read_b32 v59, v61 offset:4
	s_waitcnt lgkmcnt(1)
	v_mov_b32_e32 v60, v56
.LBB5_22:                               ;   in Loop: Header=BB5_2 Depth=1
	s_or_b64 exec, exec, s[12:13]
	v_add_u32_e32 v62, 1, v57
	v_add_u32_e32 v61, 1, v55
	v_cndmask_b32_e64 v62, v62, v57, s[10:11]
	v_cndmask_b32_e64 v61, v55, v61, s[10:11]
	v_cmp_ge_i32_e64 s[14:15], v62, v14
	s_waitcnt lgkmcnt(0)
	v_cmp_lt_i32_e64 s[16:17], v59, v60
	v_cmp_lt_i32_e64 s[12:13], v61, v15
	s_or_b64 s[14:15], s[14:15], s[16:17]
	s_and_b64 s[12:13], s[12:13], s[14:15]
	s_xor_b64 s[14:15], s[12:13], -1
                                        ; implicit-def: $vgpr63
	s_and_saveexec_b64 s[16:17], s[14:15]
	s_xor_b64 s[14:15], exec, s[16:17]
	s_cbranch_execz .LBB5_24
; %bb.23:                               ;   in Loop: Header=BB5_2 Depth=1
	v_lshlrev_b32_e32 v63, 2, v62
	ds_read_b32 v63, v63 offset:4
.LBB5_24:                               ;   in Loop: Header=BB5_2 Depth=1
	s_or_saveexec_b64 s[14:15], s[14:15]
	v_mov_b32_e32 v64, v59
	s_xor_b64 exec, exec, s[14:15]
	s_cbranch_execz .LBB5_26
; %bb.25:                               ;   in Loop: Header=BB5_2 Depth=1
	s_waitcnt lgkmcnt(0)
	v_lshlrev_b32_e32 v63, 2, v61
	ds_read_b32 v64, v63 offset:4
	v_mov_b32_e32 v63, v60
.LBB5_26:                               ;   in Loop: Header=BB5_2 Depth=1
	s_or_b64 exec, exec, s[14:15]
	v_add_u32_e32 v65, 1, v62
	v_cndmask_b32_e64 v59, v60, v59, s[12:13]
	v_add_u32_e32 v60, 1, v61
	v_cndmask_b32_e64 v65, v65, v62, s[12:13]
	v_cndmask_b32_e64 v60, v61, v60, s[12:13]
	v_cndmask_b32_e64 v61, v62, v61, s[12:13]
	v_cmp_ge_i32_e64 s[12:13], v65, v14
	s_waitcnt lgkmcnt(0)
	v_cmp_lt_i32_e64 s[14:15], v64, v63
	v_cndmask_b32_e64 v56, v56, v58, s[10:11]
	v_cndmask_b32_e64 v55, v57, v55, s[10:11]
	v_cmp_lt_i32_e64 s[10:11], v60, v15
	s_or_b64 s[12:13], s[12:13], s[14:15]
	s_and_b64 s[10:11], s[10:11], s[12:13]
	v_cndmask_b32_e64 v58, v65, v60, s[10:11]
	s_waitcnt lgkmcnt(0)
	; wave barrier
	ds_write2_b32 v2, v52, v53 offset1:1
	ds_write_b32 v2, v54 offset:8
	v_lshlrev_b32_e32 v52, 2, v55
	v_lshlrev_b32_e32 v53, 2, v61
	;; [unrolled: 1-line block ×3, first 2 shown]
	s_waitcnt lgkmcnt(0)
	; wave barrier
	s_waitcnt lgkmcnt(0)
	ds_read_b32 v52, v52
	ds_read_b32 v53, v53
	;; [unrolled: 1-line block ×3, first 2 shown]
	v_cndmask_b32_e64 v57, v63, v64, s[10:11]
	s_waitcnt lgkmcnt(0)
	; wave barrier
	s_waitcnt lgkmcnt(0)
	ds_write2_b32 v2, v56, v59 offset1:1
	ds_write_b32 v2, v57 offset:8
	v_mov_b32_e32 v57, v31
	s_waitcnt lgkmcnt(0)
	; wave barrier
	s_waitcnt lgkmcnt(0)
	s_and_saveexec_b64 s[12:13], s[2:3]
	s_cbranch_execz .LBB5_30
; %bb.27:                               ;   in Loop: Header=BB5_2 Depth=1
	s_mov_b64 s[14:15], 0
	v_mov_b32_e32 v57, v31
	v_mov_b32_e32 v55, v28
.LBB5_28:                               ;   Parent Loop BB5_2 Depth=1
                                        ; =>  This Inner Loop Header: Depth=2
	v_sub_u32_e32 v56, v55, v57
	v_lshrrev_b32_e32 v58, 31, v56
	v_add_u32_e32 v56, v56, v58
	v_ashrrev_i32_e32 v56, 1, v56
	v_add_u32_e32 v56, v56, v57
	v_xad_u32 v59, v56, -1, v5
	v_lshl_add_u32 v58, v56, 2, v19
	v_lshl_add_u32 v59, v59, 2, v49
	ds_read_b32 v58, v58
	ds_read_b32 v59, v59
	v_add_u32_e32 v60, 1, v56
	s_waitcnt lgkmcnt(0)
	v_cmp_lt_i32_e64 s[10:11], v59, v58
	s_nop 1
	v_cndmask_b32_e64 v55, v55, v56, s[10:11]
	v_cndmask_b32_e64 v57, v60, v57, s[10:11]
	v_cmp_ge_i32_e64 s[10:11], v57, v55
	s_or_b64 s[14:15], s[10:11], s[14:15]
	s_andn2_b64 exec, exec, s[14:15]
	s_cbranch_execnz .LBB5_28
; %bb.29:                               ;   in Loop: Header=BB5_2 Depth=1
	s_or_b64 exec, exec, s[14:15]
.LBB5_30:                               ;   in Loop: Header=BB5_2 Depth=1
	s_or_b64 exec, exec, s[12:13]
	v_sub_u32_e32 v55, v25, v57
	v_lshl_add_u32 v62, v57, 2, v19
	v_lshlrev_b32_e32 v61, 2, v55
	ds_read_b32 v56, v62
	ds_read_b32 v58, v61
	v_add_u32_e32 v57, v57, v9
	v_cmp_le_i32_e64 s[12:13], v17, v57
	v_cmp_gt_i32_e64 s[10:11], v18, v55
                                        ; implicit-def: $vgpr59
                                        ; implicit-def: $vgpr60
	s_waitcnt lgkmcnt(0)
	v_cmp_lt_i32_e64 s[14:15], v58, v56
	s_or_b64 s[12:13], s[12:13], s[14:15]
	s_and_b64 s[10:11], s[10:11], s[12:13]
	s_xor_b64 s[12:13], s[10:11], -1
	s_and_saveexec_b64 s[14:15], s[12:13]
	s_xor_b64 s[12:13], exec, s[14:15]
	s_cbranch_execz .LBB5_32
; %bb.31:                               ;   in Loop: Header=BB5_2 Depth=1
	ds_read_b32 v60, v62 offset:4
	v_mov_b32_e32 v59, v58
                                        ; implicit-def: $vgpr61
.LBB5_32:                               ;   in Loop: Header=BB5_2 Depth=1
	s_andn2_saveexec_b64 s[12:13], s[12:13]
	s_cbranch_execz .LBB5_34
; %bb.33:                               ;   in Loop: Header=BB5_2 Depth=1
	ds_read_b32 v59, v61 offset:4
	s_waitcnt lgkmcnt(1)
	v_mov_b32_e32 v60, v56
.LBB5_34:                               ;   in Loop: Header=BB5_2 Depth=1
	s_or_b64 exec, exec, s[12:13]
	v_add_u32_e32 v62, 1, v57
	v_add_u32_e32 v61, 1, v55
	v_cndmask_b32_e64 v62, v62, v57, s[10:11]
	v_cndmask_b32_e64 v61, v55, v61, s[10:11]
	v_cmp_ge_i32_e64 s[14:15], v62, v17
	s_waitcnt lgkmcnt(0)
	v_cmp_lt_i32_e64 s[16:17], v59, v60
	v_cmp_lt_i32_e64 s[12:13], v61, v18
	s_or_b64 s[14:15], s[14:15], s[16:17]
	s_and_b64 s[12:13], s[12:13], s[14:15]
	s_xor_b64 s[14:15], s[12:13], -1
                                        ; implicit-def: $vgpr63
	s_and_saveexec_b64 s[16:17], s[14:15]
	s_xor_b64 s[14:15], exec, s[16:17]
	s_cbranch_execz .LBB5_36
; %bb.35:                               ;   in Loop: Header=BB5_2 Depth=1
	v_lshlrev_b32_e32 v63, 2, v62
	ds_read_b32 v63, v63 offset:4
.LBB5_36:                               ;   in Loop: Header=BB5_2 Depth=1
	s_or_saveexec_b64 s[14:15], s[14:15]
	v_mov_b32_e32 v64, v59
	s_xor_b64 exec, exec, s[14:15]
	s_cbranch_execz .LBB5_38
; %bb.37:                               ;   in Loop: Header=BB5_2 Depth=1
	s_waitcnt lgkmcnt(0)
	v_lshlrev_b32_e32 v63, 2, v61
	ds_read_b32 v64, v63 offset:4
	v_mov_b32_e32 v63, v60
.LBB5_38:                               ;   in Loop: Header=BB5_2 Depth=1
	s_or_b64 exec, exec, s[14:15]
	v_add_u32_e32 v65, 1, v62
	v_cndmask_b32_e64 v59, v60, v59, s[12:13]
	v_add_u32_e32 v60, 1, v61
	v_cndmask_b32_e64 v65, v65, v62, s[12:13]
	v_cndmask_b32_e64 v60, v61, v60, s[12:13]
	;; [unrolled: 1-line block ×3, first 2 shown]
	v_cmp_ge_i32_e64 s[12:13], v65, v17
	s_waitcnt lgkmcnt(0)
	v_cmp_lt_i32_e64 s[14:15], v64, v63
	v_cndmask_b32_e64 v56, v56, v58, s[10:11]
	v_cndmask_b32_e64 v55, v57, v55, s[10:11]
	v_cmp_lt_i32_e64 s[10:11], v60, v18
	s_or_b64 s[12:13], s[12:13], s[14:15]
	s_and_b64 s[10:11], s[10:11], s[12:13]
	v_cndmask_b32_e64 v58, v65, v60, s[10:11]
	s_waitcnt lgkmcnt(0)
	; wave barrier
	ds_write2_b32 v2, v52, v53 offset1:1
	ds_write_b32 v2, v54 offset:8
	v_lshlrev_b32_e32 v52, 2, v55
	v_lshlrev_b32_e32 v53, 2, v61
	v_lshlrev_b32_e32 v54, 2, v58
	s_waitcnt lgkmcnt(0)
	; wave barrier
	s_waitcnt lgkmcnt(0)
	ds_read_b32 v52, v52
	ds_read_b32 v53, v53
	ds_read_b32 v54, v54
	v_cndmask_b32_e64 v57, v63, v64, s[10:11]
	s_waitcnt lgkmcnt(0)
	; wave barrier
	s_waitcnt lgkmcnt(0)
	ds_write2_b32 v2, v56, v59 offset1:1
	ds_write_b32 v2, v57 offset:8
	v_mov_b32_e32 v57, v32
	s_waitcnt lgkmcnt(0)
	; wave barrier
	s_waitcnt lgkmcnt(0)
	s_and_saveexec_b64 s[12:13], s[4:5]
	s_cbranch_execz .LBB5_42
; %bb.39:                               ;   in Loop: Header=BB5_2 Depth=1
	s_mov_b64 s[14:15], 0
	v_mov_b32_e32 v57, v32
	v_mov_b32_e32 v55, v33
.LBB5_40:                               ;   Parent Loop BB5_2 Depth=1
                                        ; =>  This Inner Loop Header: Depth=2
	v_sub_u32_e32 v56, v55, v57
	v_lshrrev_b32_e32 v58, 31, v56
	v_add_u32_e32 v56, v56, v58
	v_ashrrev_i32_e32 v56, 1, v56
	v_add_u32_e32 v56, v56, v57
	v_xad_u32 v59, v56, -1, v6
	v_lshl_add_u32 v58, v56, 2, v22
	v_lshl_add_u32 v59, v59, 2, v50
	ds_read_b32 v58, v58
	ds_read_b32 v59, v59
	v_add_u32_e32 v60, 1, v56
	s_waitcnt lgkmcnt(0)
	v_cmp_lt_i32_e64 s[10:11], v59, v58
	s_nop 1
	v_cndmask_b32_e64 v55, v55, v56, s[10:11]
	v_cndmask_b32_e64 v57, v60, v57, s[10:11]
	v_cmp_ge_i32_e64 s[10:11], v57, v55
	s_or_b64 s[14:15], s[10:11], s[14:15]
	s_andn2_b64 exec, exec, s[14:15]
	s_cbranch_execnz .LBB5_40
; %bb.41:                               ;   in Loop: Header=BB5_2 Depth=1
	s_or_b64 exec, exec, s[14:15]
.LBB5_42:                               ;   in Loop: Header=BB5_2 Depth=1
	s_or_b64 exec, exec, s[12:13]
	v_sub_u32_e32 v55, v34, v57
	v_lshl_add_u32 v62, v57, 2, v22
	v_lshlrev_b32_e32 v61, 2, v55
	ds_read_b32 v56, v62
	ds_read_b32 v58, v61
	v_add_u32_e32 v57, v57, v10
	v_cmp_le_i32_e64 s[12:13], v20, v57
	v_cmp_gt_i32_e64 s[10:11], v21, v55
                                        ; implicit-def: $vgpr59
                                        ; implicit-def: $vgpr60
	s_waitcnt lgkmcnt(0)
	v_cmp_lt_i32_e64 s[14:15], v58, v56
	s_or_b64 s[12:13], s[12:13], s[14:15]
	s_and_b64 s[10:11], s[10:11], s[12:13]
	s_xor_b64 s[12:13], s[10:11], -1
	s_and_saveexec_b64 s[14:15], s[12:13]
	s_xor_b64 s[12:13], exec, s[14:15]
	s_cbranch_execz .LBB5_44
; %bb.43:                               ;   in Loop: Header=BB5_2 Depth=1
	ds_read_b32 v60, v62 offset:4
	v_mov_b32_e32 v59, v58
                                        ; implicit-def: $vgpr61
.LBB5_44:                               ;   in Loop: Header=BB5_2 Depth=1
	s_andn2_saveexec_b64 s[12:13], s[12:13]
	s_cbranch_execz .LBB5_46
; %bb.45:                               ;   in Loop: Header=BB5_2 Depth=1
	ds_read_b32 v59, v61 offset:4
	s_waitcnt lgkmcnt(1)
	v_mov_b32_e32 v60, v56
.LBB5_46:                               ;   in Loop: Header=BB5_2 Depth=1
	s_or_b64 exec, exec, s[12:13]
	v_add_u32_e32 v62, 1, v57
	v_add_u32_e32 v61, 1, v55
	v_cndmask_b32_e64 v62, v62, v57, s[10:11]
	v_cndmask_b32_e64 v61, v55, v61, s[10:11]
	v_cmp_ge_i32_e64 s[14:15], v62, v20
	s_waitcnt lgkmcnt(0)
	v_cmp_lt_i32_e64 s[16:17], v59, v60
	v_cmp_lt_i32_e64 s[12:13], v61, v21
	s_or_b64 s[14:15], s[14:15], s[16:17]
	s_and_b64 s[12:13], s[12:13], s[14:15]
	s_xor_b64 s[14:15], s[12:13], -1
                                        ; implicit-def: $vgpr63
	s_and_saveexec_b64 s[16:17], s[14:15]
	s_xor_b64 s[14:15], exec, s[16:17]
	s_cbranch_execz .LBB5_48
; %bb.47:                               ;   in Loop: Header=BB5_2 Depth=1
	v_lshlrev_b32_e32 v63, 2, v62
	ds_read_b32 v63, v63 offset:4
.LBB5_48:                               ;   in Loop: Header=BB5_2 Depth=1
	s_or_saveexec_b64 s[14:15], s[14:15]
	v_mov_b32_e32 v64, v59
	s_xor_b64 exec, exec, s[14:15]
	s_cbranch_execz .LBB5_50
; %bb.49:                               ;   in Loop: Header=BB5_2 Depth=1
	s_waitcnt lgkmcnt(0)
	v_lshlrev_b32_e32 v63, 2, v61
	ds_read_b32 v64, v63 offset:4
	v_mov_b32_e32 v63, v60
.LBB5_50:                               ;   in Loop: Header=BB5_2 Depth=1
	s_or_b64 exec, exec, s[14:15]
	v_add_u32_e32 v65, 1, v62
	v_cndmask_b32_e64 v59, v60, v59, s[12:13]
	v_add_u32_e32 v60, 1, v61
	v_cndmask_b32_e64 v65, v65, v62, s[12:13]
	v_cndmask_b32_e64 v60, v61, v60, s[12:13]
	;; [unrolled: 1-line block ×3, first 2 shown]
	v_cmp_ge_i32_e64 s[12:13], v65, v20
	s_waitcnt lgkmcnt(0)
	v_cmp_lt_i32_e64 s[14:15], v64, v63
	v_cndmask_b32_e64 v56, v56, v58, s[10:11]
	v_cndmask_b32_e64 v55, v57, v55, s[10:11]
	v_cmp_lt_i32_e64 s[10:11], v60, v21
	s_or_b64 s[12:13], s[12:13], s[14:15]
	s_and_b64 s[10:11], s[10:11], s[12:13]
	v_cndmask_b32_e64 v58, v65, v60, s[10:11]
	s_waitcnt lgkmcnt(0)
	; wave barrier
	ds_write2_b32 v2, v52, v53 offset1:1
	ds_write_b32 v2, v54 offset:8
	v_lshlrev_b32_e32 v52, 2, v55
	v_lshlrev_b32_e32 v53, 2, v61
	v_lshlrev_b32_e32 v54, 2, v58
	s_waitcnt lgkmcnt(0)
	; wave barrier
	s_waitcnt lgkmcnt(0)
	ds_read_b32 v52, v52
	ds_read_b32 v53, v53
	;; [unrolled: 1-line block ×3, first 2 shown]
	v_cndmask_b32_e64 v57, v63, v64, s[10:11]
	s_waitcnt lgkmcnt(0)
	; wave barrier
	s_waitcnt lgkmcnt(0)
	ds_write2_b32 v2, v56, v59 offset1:1
	ds_write_b32 v2, v57 offset:8
	v_mov_b32_e32 v57, v41
	s_waitcnt lgkmcnt(0)
	; wave barrier
	s_waitcnt lgkmcnt(0)
	s_and_saveexec_b64 s[12:13], s[6:7]
	s_cbranch_execz .LBB5_54
; %bb.51:                               ;   in Loop: Header=BB5_2 Depth=1
	s_mov_b64 s[14:15], 0
	v_mov_b32_e32 v57, v41
	v_mov_b32_e32 v55, v42
.LBB5_52:                               ;   Parent Loop BB5_2 Depth=1
                                        ; =>  This Inner Loop Header: Depth=2
	v_sub_u32_e32 v56, v55, v57
	v_lshrrev_b32_e32 v58, 31, v56
	v_add_u32_e32 v56, v56, v58
	v_ashrrev_i32_e32 v56, 1, v56
	v_add_u32_e32 v56, v56, v57
	v_xad_u32 v59, v56, -1, v35
	v_lshl_add_u32 v58, v56, 2, v40
	v_lshl_add_u32 v59, v59, 2, v51
	ds_read_b32 v58, v58
	ds_read_b32 v59, v59
	v_add_u32_e32 v60, 1, v56
	s_waitcnt lgkmcnt(0)
	v_cmp_lt_i32_e64 s[10:11], v59, v58
	s_nop 1
	v_cndmask_b32_e64 v55, v55, v56, s[10:11]
	v_cndmask_b32_e64 v57, v60, v57, s[10:11]
	v_cmp_ge_i32_e64 s[10:11], v57, v55
	s_or_b64 s[14:15], s[10:11], s[14:15]
	s_andn2_b64 exec, exec, s[14:15]
	s_cbranch_execnz .LBB5_52
; %bb.53:                               ;   in Loop: Header=BB5_2 Depth=1
	s_or_b64 exec, exec, s[14:15]
.LBB5_54:                               ;   in Loop: Header=BB5_2 Depth=1
	s_or_b64 exec, exec, s[12:13]
	v_sub_u32_e32 v55, v43, v57
	v_lshl_add_u32 v62, v57, 2, v40
	v_lshlrev_b32_e32 v61, 2, v55
	ds_read_b32 v56, v62
	ds_read_b32 v58, v61
	v_add_u32_e32 v57, v57, v36
	v_cmp_le_i32_e64 s[12:13], v37, v57
	v_cmp_gt_i32_e64 s[10:11], v39, v55
                                        ; implicit-def: $vgpr59
                                        ; implicit-def: $vgpr60
	s_waitcnt lgkmcnt(0)
	v_cmp_lt_i32_e64 s[14:15], v58, v56
	s_or_b64 s[12:13], s[12:13], s[14:15]
	s_and_b64 s[10:11], s[10:11], s[12:13]
	s_xor_b64 s[12:13], s[10:11], -1
	s_and_saveexec_b64 s[14:15], s[12:13]
	s_xor_b64 s[12:13], exec, s[14:15]
	s_cbranch_execz .LBB5_56
; %bb.55:                               ;   in Loop: Header=BB5_2 Depth=1
	ds_read_b32 v60, v62 offset:4
	v_mov_b32_e32 v59, v58
                                        ; implicit-def: $vgpr61
.LBB5_56:                               ;   in Loop: Header=BB5_2 Depth=1
	s_andn2_saveexec_b64 s[12:13], s[12:13]
	s_cbranch_execz .LBB5_58
; %bb.57:                               ;   in Loop: Header=BB5_2 Depth=1
	ds_read_b32 v59, v61 offset:4
	s_waitcnt lgkmcnt(1)
	v_mov_b32_e32 v60, v56
.LBB5_58:                               ;   in Loop: Header=BB5_2 Depth=1
	s_or_b64 exec, exec, s[12:13]
	v_add_u32_e32 v62, 1, v57
	v_add_u32_e32 v61, 1, v55
	v_cndmask_b32_e64 v62, v62, v57, s[10:11]
	v_cndmask_b32_e64 v61, v55, v61, s[10:11]
	v_cmp_ge_i32_e64 s[14:15], v62, v37
	s_waitcnt lgkmcnt(0)
	v_cmp_lt_i32_e64 s[16:17], v59, v60
	v_cmp_lt_i32_e64 s[12:13], v61, v39
	s_or_b64 s[14:15], s[14:15], s[16:17]
	s_and_b64 s[12:13], s[12:13], s[14:15]
	s_xor_b64 s[14:15], s[12:13], -1
                                        ; implicit-def: $vgpr63
	s_and_saveexec_b64 s[16:17], s[14:15]
	s_xor_b64 s[14:15], exec, s[16:17]
	s_cbranch_execz .LBB5_60
; %bb.59:                               ;   in Loop: Header=BB5_2 Depth=1
	v_lshlrev_b32_e32 v63, 2, v62
	ds_read_b32 v63, v63 offset:4
.LBB5_60:                               ;   in Loop: Header=BB5_2 Depth=1
	s_or_saveexec_b64 s[14:15], s[14:15]
	v_mov_b32_e32 v64, v59
	s_xor_b64 exec, exec, s[14:15]
	s_cbranch_execz .LBB5_62
; %bb.61:                               ;   in Loop: Header=BB5_2 Depth=1
	s_waitcnt lgkmcnt(0)
	v_lshlrev_b32_e32 v63, 2, v61
	ds_read_b32 v64, v63 offset:4
	v_mov_b32_e32 v63, v60
.LBB5_62:                               ;   in Loop: Header=BB5_2 Depth=1
	s_or_b64 exec, exec, s[14:15]
	v_add_u32_e32 v65, 1, v62
	v_cndmask_b32_e64 v59, v60, v59, s[12:13]
	v_add_u32_e32 v60, 1, v61
	v_cndmask_b32_e64 v65, v65, v62, s[12:13]
	v_cndmask_b32_e64 v60, v61, v60, s[12:13]
	;; [unrolled: 1-line block ×3, first 2 shown]
	v_cmp_ge_i32_e64 s[12:13], v65, v37
	s_waitcnt lgkmcnt(0)
	v_cmp_lt_i32_e64 s[14:15], v64, v63
	v_cndmask_b32_e64 v56, v56, v58, s[10:11]
	v_cndmask_b32_e64 v55, v57, v55, s[10:11]
	v_cmp_lt_i32_e64 s[10:11], v60, v39
	s_or_b64 s[12:13], s[12:13], s[14:15]
	s_and_b64 s[10:11], s[10:11], s[12:13]
	v_cndmask_b32_e64 v58, v65, v60, s[10:11]
	s_waitcnt lgkmcnt(0)
	; wave barrier
	ds_write2_b32 v2, v52, v53 offset1:1
	ds_write_b32 v2, v54 offset:8
	v_lshlrev_b32_e32 v52, 2, v55
	v_lshlrev_b32_e32 v53, 2, v61
	;; [unrolled: 1-line block ×3, first 2 shown]
	s_waitcnt lgkmcnt(0)
	; wave barrier
	s_waitcnt lgkmcnt(0)
	ds_read_b32 v52, v52
	ds_read_b32 v53, v53
	;; [unrolled: 1-line block ×3, first 2 shown]
	v_mov_b32_e32 v55, v44
	v_cndmask_b32_e64 v57, v63, v64, s[10:11]
	s_waitcnt lgkmcnt(0)
	; wave barrier
	s_waitcnt lgkmcnt(0)
	ds_write2_b32 v2, v56, v59 offset1:1
	ds_write_b32 v2, v57 offset:8
	s_waitcnt lgkmcnt(0)
	; wave barrier
	s_waitcnt lgkmcnt(0)
	s_and_saveexec_b64 s[12:13], s[8:9]
	s_cbranch_execz .LBB5_66
; %bb.63:                               ;   in Loop: Header=BB5_2 Depth=1
	s_mov_b64 s[14:15], 0
	v_mov_b32_e32 v55, v44
	v_mov_b32_e32 v56, v45
.LBB5_64:                               ;   Parent Loop BB5_2 Depth=1
                                        ; =>  This Inner Loop Header: Depth=2
	v_sub_u32_e32 v57, v56, v55
	v_lshrrev_b32_e32 v58, 31, v57
	v_add_u32_e32 v57, v57, v58
	v_ashrrev_i32_e32 v57, 1, v57
	v_add_u32_e32 v57, v57, v55
	v_xad_u32 v59, v57, -1, v1
	v_mov_b32_e32 v60, 0x180
	v_lshlrev_b32_e32 v58, 2, v57
	v_lshl_add_u32 v59, v59, 2, v60
	ds_read_b32 v58, v58
	ds_read_b32 v59, v59
	v_add_u32_e32 v60, 1, v57
	s_waitcnt lgkmcnt(0)
	v_cmp_lt_i32_e64 s[10:11], v59, v58
	s_nop 1
	v_cndmask_b32_e64 v56, v56, v57, s[10:11]
	v_cndmask_b32_e64 v55, v60, v55, s[10:11]
	v_cmp_ge_i32_e64 s[10:11], v55, v56
	s_or_b64 s[14:15], s[10:11], s[14:15]
	s_andn2_b64 exec, exec, s[14:15]
	s_cbranch_execnz .LBB5_64
; %bb.65:                               ;   in Loop: Header=BB5_2 Depth=1
	s_or_b64 exec, exec, s[14:15]
.LBB5_66:                               ;   in Loop: Header=BB5_2 Depth=1
	s_or_b64 exec, exec, s[12:13]
	v_sub_u32_e32 v60, v46, v55
	v_lshlrev_b32_e32 v62, 2, v55
	v_lshlrev_b32_e32 v61, 2, v60
	ds_read_b32 v56, v62
	ds_read_b32 v57, v61
	v_cmp_le_i32_e64 s[12:13], v38, v55
	v_cmp_gt_i32_e64 s[10:11], s24, v60
                                        ; implicit-def: $vgpr58
                                        ; implicit-def: $vgpr59
	s_waitcnt lgkmcnt(0)
	v_cmp_lt_i32_e64 s[14:15], v57, v56
	s_or_b64 s[12:13], s[12:13], s[14:15]
	s_and_b64 s[10:11], s[10:11], s[12:13]
	s_xor_b64 s[12:13], s[10:11], -1
	s_and_saveexec_b64 s[14:15], s[12:13]
	s_xor_b64 s[12:13], exec, s[14:15]
	s_cbranch_execz .LBB5_68
; %bb.67:                               ;   in Loop: Header=BB5_2 Depth=1
	ds_read_b32 v59, v62 offset:4
	v_mov_b32_e32 v58, v57
                                        ; implicit-def: $vgpr61
.LBB5_68:                               ;   in Loop: Header=BB5_2 Depth=1
	s_andn2_saveexec_b64 s[12:13], s[12:13]
	s_cbranch_execz .LBB5_70
; %bb.69:                               ;   in Loop: Header=BB5_2 Depth=1
	ds_read_b32 v58, v61 offset:4
	s_waitcnt lgkmcnt(1)
	v_mov_b32_e32 v59, v56
.LBB5_70:                               ;   in Loop: Header=BB5_2 Depth=1
	s_or_b64 exec, exec, s[12:13]
	v_add_u32_e32 v62, 1, v55
	v_add_u32_e32 v61, 1, v60
	v_cndmask_b32_e64 v62, v62, v55, s[10:11]
	v_cndmask_b32_e64 v61, v60, v61, s[10:11]
	v_cmp_ge_i32_e64 s[14:15], v62, v38
	s_waitcnt lgkmcnt(0)
	v_cmp_lt_i32_e64 s[16:17], v58, v59
	v_cmp_gt_i32_e64 s[12:13], s24, v61
	s_or_b64 s[14:15], s[14:15], s[16:17]
	s_and_b64 s[12:13], s[12:13], s[14:15]
	s_xor_b64 s[14:15], s[12:13], -1
                                        ; implicit-def: $vgpr64
                                        ; implicit-def: $vgpr63
	s_and_saveexec_b64 s[16:17], s[14:15]
	s_xor_b64 s[14:15], exec, s[16:17]
	s_cbranch_execz .LBB5_72
; %bb.71:                               ;   in Loop: Header=BB5_2 Depth=1
	v_lshlrev_b32_e32 v63, 2, v62
	ds_read_b32 v64, v63 offset:4
	v_add_u32_e32 v63, 1, v62
.LBB5_72:                               ;   in Loop: Header=BB5_2 Depth=1
	s_or_saveexec_b64 s[14:15], s[14:15]
	v_mov_b32_e32 v65, v62
	v_mov_b32_e32 v66, v58
	s_xor_b64 exec, exec, s[14:15]
	s_cbranch_execz .LBB5_1
; %bb.73:                               ;   in Loop: Header=BB5_2 Depth=1
	v_lshlrev_b32_e32 v63, 2, v61
	ds_read_b32 v66, v63 offset:4
	s_waitcnt lgkmcnt(1)
	v_add_u32_e32 v64, 1, v61
	v_mov_b32_e32 v65, v61
	v_mov_b32_e32 v63, v62
	;; [unrolled: 1-line block ×4, first 2 shown]
	s_branch .LBB5_1
.LBB5_74:
	s_add_u32 s0, s26, s28
	s_waitcnt lgkmcnt(2)
	v_add_u32_e32 v1, v56, v52
	s_addc_u32 s1, s27, s29
	v_lshlrev_b32_e32 v0, 2, v0
	s_waitcnt lgkmcnt(1)
	v_add_u32_e32 v2, v57, v54
	s_waitcnt lgkmcnt(0)
	v_add_u32_e32 v3, v55, v53
	global_store_dword v0, v1, s[0:1]
	global_store_dword v0, v2, s[0:1] offset:256
	global_store_dword v0, v3, s[0:1] offset:512
	s_endpgm
	.section	.rodata,"a",@progbits
	.p2align	6, 0x0
	.amdhsa_kernel _Z17sort_pairs_kernelIiLj64ELj3EN10test_utils4lessELj10EEvPKT_PS2_T2_
		.amdhsa_group_segment_fixed_size 772
		.amdhsa_private_segment_fixed_size 0
		.amdhsa_kernarg_size 20
		.amdhsa_user_sgpr_count 2
		.amdhsa_user_sgpr_dispatch_ptr 0
		.amdhsa_user_sgpr_queue_ptr 0
		.amdhsa_user_sgpr_kernarg_segment_ptr 1
		.amdhsa_user_sgpr_dispatch_id 0
		.amdhsa_user_sgpr_kernarg_preload_length 0
		.amdhsa_user_sgpr_kernarg_preload_offset 0
		.amdhsa_user_sgpr_private_segment_size 0
		.amdhsa_uses_dynamic_stack 0
		.amdhsa_enable_private_segment 0
		.amdhsa_system_sgpr_workgroup_id_x 1
		.amdhsa_system_sgpr_workgroup_id_y 0
		.amdhsa_system_sgpr_workgroup_id_z 0
		.amdhsa_system_sgpr_workgroup_info 0
		.amdhsa_system_vgpr_workitem_id 0
		.amdhsa_next_free_vgpr 67
		.amdhsa_next_free_sgpr 32
		.amdhsa_accum_offset 68
		.amdhsa_reserve_vcc 1
		.amdhsa_float_round_mode_32 0
		.amdhsa_float_round_mode_16_64 0
		.amdhsa_float_denorm_mode_32 3
		.amdhsa_float_denorm_mode_16_64 3
		.amdhsa_dx10_clamp 1
		.amdhsa_ieee_mode 1
		.amdhsa_fp16_overflow 0
		.amdhsa_tg_split 0
		.amdhsa_exception_fp_ieee_invalid_op 0
		.amdhsa_exception_fp_denorm_src 0
		.amdhsa_exception_fp_ieee_div_zero 0
		.amdhsa_exception_fp_ieee_overflow 0
		.amdhsa_exception_fp_ieee_underflow 0
		.amdhsa_exception_fp_ieee_inexact 0
		.amdhsa_exception_int_div_zero 0
	.end_amdhsa_kernel
	.section	.text._Z17sort_pairs_kernelIiLj64ELj3EN10test_utils4lessELj10EEvPKT_PS2_T2_,"axG",@progbits,_Z17sort_pairs_kernelIiLj64ELj3EN10test_utils4lessELj10EEvPKT_PS2_T2_,comdat
.Lfunc_end5:
	.size	_Z17sort_pairs_kernelIiLj64ELj3EN10test_utils4lessELj10EEvPKT_PS2_T2_, .Lfunc_end5-_Z17sort_pairs_kernelIiLj64ELj3EN10test_utils4lessELj10EEvPKT_PS2_T2_
                                        ; -- End function
	.section	.AMDGPU.csdata,"",@progbits
; Kernel info:
; codeLenInByte = 4516
; NumSgprs: 38
; NumVgprs: 67
; NumAgprs: 0
; TotalNumVgprs: 67
; ScratchSize: 0
; MemoryBound: 0
; FloatMode: 240
; IeeeMode: 1
; LDSByteSize: 772 bytes/workgroup (compile time only)
; SGPRBlocks: 4
; VGPRBlocks: 8
; NumSGPRsForWavesPerEU: 38
; NumVGPRsForWavesPerEU: 67
; AccumOffset: 68
; Occupancy: 7
; WaveLimiterHint : 1
; COMPUTE_PGM_RSRC2:SCRATCH_EN: 0
; COMPUTE_PGM_RSRC2:USER_SGPR: 2
; COMPUTE_PGM_RSRC2:TRAP_HANDLER: 0
; COMPUTE_PGM_RSRC2:TGID_X_EN: 1
; COMPUTE_PGM_RSRC2:TGID_Y_EN: 0
; COMPUTE_PGM_RSRC2:TGID_Z_EN: 0
; COMPUTE_PGM_RSRC2:TIDIG_COMP_CNT: 0
; COMPUTE_PGM_RSRC3_GFX90A:ACCUM_OFFSET: 16
; COMPUTE_PGM_RSRC3_GFX90A:TG_SPLIT: 0
	.section	.text._Z16sort_keys_kernelIiLj64ELj4EN10test_utils4lessELj10EEvPKT_PS2_T2_,"axG",@progbits,_Z16sort_keys_kernelIiLj64ELj4EN10test_utils4lessELj10EEvPKT_PS2_T2_,comdat
	.protected	_Z16sort_keys_kernelIiLj64ELj4EN10test_utils4lessELj10EEvPKT_PS2_T2_ ; -- Begin function _Z16sort_keys_kernelIiLj64ELj4EN10test_utils4lessELj10EEvPKT_PS2_T2_
	.globl	_Z16sort_keys_kernelIiLj64ELj4EN10test_utils4lessELj10EEvPKT_PS2_T2_
	.p2align	8
	.type	_Z16sort_keys_kernelIiLj64ELj4EN10test_utils4lessELj10EEvPKT_PS2_T2_,@function
_Z16sort_keys_kernelIiLj64ELj4EN10test_utils4lessELj10EEvPKT_PS2_T2_: ; @_Z16sort_keys_kernelIiLj64ELj4EN10test_utils4lessELj10EEvPKT_PS2_T2_
; %bb.0:
	s_load_dwordx4 s[20:23], s[0:1], 0x0
	s_lshl_b32 s24, s2, 8
	s_mov_b32 s25, 0
	s_lshl_b64 s[26:27], s[24:25], 2
	v_lshlrev_b32_e32 v1, 2, v0
	s_waitcnt lgkmcnt(0)
	s_add_u32 s0, s20, s26
	s_addc_u32 s1, s21, s27
	global_load_dword v53, v1, s[0:1]
	global_load_dword v54, v1, s[0:1] offset:256
	global_load_dword v52, v1, s[0:1] offset:512
	;; [unrolled: 1-line block ×3, first 2 shown]
	v_and_b32_e32 v3, 0xf8, v1
	v_and_b32_e32 v12, 0xf0, v1
	;; [unrolled: 1-line block ×5, first 2 shown]
	v_or_b32_e32 v5, 4, v3
	v_add_u32_e32 v6, 8, v3
	v_or_b32_e32 v14, 8, v12
	v_add_u32_e32 v15, 16, v12
	;; [unrolled: 2-line block ×5, first 2 shown]
	v_and_b32_e32 v4, 4, v1
	v_sub_u32_e32 v9, v6, v5
	v_and_b32_e32 v13, 12, v1
	v_sub_u32_e32 v18, v15, v14
	;; [unrolled: 2-line block ×5, first 2 shown]
	v_sub_u32_e32 v10, v5, v3
	v_sub_u32_e32 v11, v4, v9
	v_cmp_ge_i32_e32 vcc, v4, v9
	v_sub_u32_e32 v19, v14, v12
	v_sub_u32_e32 v20, v13, v18
	v_cmp_ge_i32_e64 s[0:1], v13, v18
	v_sub_u32_e32 v28, v23, v21
	v_sub_u32_e32 v29, v22, v27
	v_cmp_ge_i32_e64 s[2:3], v22, v27
	;; [unrolled: 3-line block ×3, first 2 shown]
	v_mov_b32_e32 v39, 0x80
	v_sub_u32_e32 v47, v42, v40
	v_sub_u32_e32 v48, v41, v46
	v_cmp_ge_i32_e64 s[6:7], v41, v46
	v_cndmask_b32_e32 v9, 0, v11, vcc
	v_min_i32_e32 v10, v4, v10
	v_cndmask_b32_e64 v18, 0, v20, s[0:1]
	v_min_i32_e32 v19, v13, v19
	v_cndmask_b32_e64 v27, 0, v29, s[2:3]
	;; [unrolled: 2-line block ×4, first 2 shown]
	v_min_i32_e32 v47, v41, v47
	v_sub_u32_e64 v49, v1, v39 clamp
	v_min_i32_e32 v50, 0x80, v1
	v_lshlrev_b32_e32 v2, 4, v0
	v_lshlrev_b32_e32 v7, 2, v3
	;; [unrolled: 1-line block ×3, first 2 shown]
	v_cmp_lt_i32_e32 vcc, v9, v10
	v_add_u32_e32 v11, v5, v4
	v_lshlrev_b32_e32 v16, 2, v12
	v_lshlrev_b32_e32 v17, 2, v14
	v_cmp_lt_i32_e64 s[0:1], v18, v19
	v_add_u32_e32 v20, v14, v13
	v_lshlrev_b32_e32 v25, 2, v21
	v_lshlrev_b32_e32 v26, 2, v23
	v_cmp_lt_i32_e64 s[2:3], v27, v28
	;; [unrolled: 4-line block ×4, first 2 shown]
	v_add_u32_e32 v48, v42, v41
	v_cmp_lt_i32_e64 s[8:9], v49, v50
	v_add_u32_e32 v51, 0x80, v1
	s_movk_i32 s20, 0x100
	s_branch .LBB6_2
.LBB6_1:                                ;   in Loop: Header=BB6_2 Depth=1
	s_or_b64 exec, exec, s[16:17]
	v_cndmask_b32_e64 v53, v52, v53, s[10:11]
	v_cndmask_b32_e64 v54, v55, v54, s[12:13]
	;; [unrolled: 1-line block ×3, first 2 shown]
	v_cmp_ge_i32_e64 s[12:13], v61, v39
	s_waitcnt lgkmcnt(0)
	v_cmp_lt_i32_e64 s[14:15], v62, v59
	v_cmp_gt_i32_e64 s[10:11], s20, v58
	s_or_b64 s[12:13], s[12:13], s[14:15]
	s_add_i32 s25, s25, 1
	s_and_b64 s[10:11], s[10:11], s[12:13]
	s_cmp_eq_u32 s25, 10
	v_cndmask_b32_e64 v55, v59, v62, s[10:11]
	s_cbranch_scc1 .LBB6_98
.LBB6_2:                                ; =>This Loop Header: Depth=1
                                        ;     Child Loop BB6_4 Depth 2
                                        ;     Child Loop BB6_20 Depth 2
	;; [unrolled: 1-line block ×6, first 2 shown]
	s_waitcnt vmcnt(2)
	v_cmp_lt_i32_e64 s[10:11], v54, v53
	v_min_i32_e32 v58, v54, v53
	s_waitcnt vmcnt(0)
	v_max_i32_e32 v60, v55, v52
	v_cndmask_b32_e64 v56, v53, v54, s[10:11]
	v_cndmask_b32_e64 v57, v54, v53, s[10:11]
	v_cmp_lt_i32_e64 s[10:11], v55, v52
	v_max_i32_e32 v53, v54, v53
	s_nop 0
	v_cndmask_b32_e64 v54, v55, v52, s[10:11]
	v_cndmask_b32_e64 v59, v52, v55, s[10:11]
	v_min_i32_e32 v52, v55, v52
	v_cmp_lt_i32_e64 s[10:11], v52, v53
	v_min_i32_e32 v61, v52, v53
	; wave barrier
	s_nop 0
	v_cndmask_b32_e64 v55, v59, v53, s[10:11]
	v_cndmask_b32_e64 v57, v57, v52, s[10:11]
	v_cmp_lt_i32_e64 s[10:11], v52, v58
	v_max_i32_e32 v59, v52, v53
	s_nop 0
	v_cndmask_b32_e64 v52, v56, v61, s[10:11]
	v_cndmask_b32_e64 v56, v57, v58, s[10:11]
	;; [unrolled: 1-line block ×3, first 2 shown]
	v_cmp_gt_i32_e64 s[10:11], v53, v60
	s_nop 1
	v_cndmask_b32_e64 v53, v54, v59, s[10:11]
	v_cndmask_b32_e64 v54, v55, v60, s[10:11]
	;; [unrolled: 1-line block ×3, first 2 shown]
	v_cmp_lt_i32_e64 s[10:11], v55, v57
	s_nop 1
	v_cndmask_b32_e64 v54, v54, v57, s[10:11]
	v_cndmask_b32_e64 v55, v56, v55, s[10:11]
	ds_write2_b32 v2, v52, v55 offset1:1
	ds_write2_b32 v2, v54, v53 offset0:2 offset1:3
	v_mov_b32_e32 v54, v9
	s_waitcnt lgkmcnt(0)
	; wave barrier
	s_waitcnt lgkmcnt(0)
	s_and_saveexec_b64 s[12:13], vcc
	s_cbranch_execz .LBB6_6
; %bb.3:                                ;   in Loop: Header=BB6_2 Depth=1
	s_mov_b64 s[14:15], 0
	v_mov_b32_e32 v54, v9
	v_mov_b32_e32 v52, v10
.LBB6_4:                                ;   Parent Loop BB6_2 Depth=1
                                        ; =>  This Inner Loop Header: Depth=2
	v_sub_u32_e32 v53, v52, v54
	v_lshrrev_b32_e32 v55, 31, v53
	v_add_u32_e32 v53, v53, v55
	v_ashrrev_i32_e32 v53, 1, v53
	v_add_u32_e32 v53, v53, v54
	v_xad_u32 v56, v53, -1, v4
	v_lshl_add_u32 v55, v53, 2, v7
	v_lshl_add_u32 v56, v56, 2, v8
	ds_read_b32 v55, v55
	ds_read_b32 v56, v56
	v_add_u32_e32 v57, 1, v53
	s_waitcnt lgkmcnt(0)
	v_cmp_lt_i32_e64 s[10:11], v56, v55
	s_nop 1
	v_cndmask_b32_e64 v52, v52, v53, s[10:11]
	v_cndmask_b32_e64 v54, v57, v54, s[10:11]
	v_cmp_ge_i32_e64 s[10:11], v54, v52
	s_or_b64 s[14:15], s[10:11], s[14:15]
	s_andn2_b64 exec, exec, s[14:15]
	s_cbranch_execnz .LBB6_4
; %bb.5:                                ;   in Loop: Header=BB6_2 Depth=1
	s_or_b64 exec, exec, s[14:15]
.LBB6_6:                                ;   in Loop: Header=BB6_2 Depth=1
	s_or_b64 exec, exec, s[12:13]
	v_sub_u32_e32 v56, v11, v54
	v_lshl_add_u32 v59, v54, 2, v7
	v_lshlrev_b32_e32 v58, 2, v56
	ds_read_b32 v52, v59
	ds_read_b32 v53, v58
	v_add_u32_e32 v57, v54, v3
	v_cmp_le_i32_e64 s[12:13], v5, v57
	v_cmp_gt_i32_e64 s[10:11], v6, v56
                                        ; implicit-def: $vgpr54
                                        ; implicit-def: $vgpr55
	s_waitcnt lgkmcnt(0)
	v_cmp_lt_i32_e64 s[14:15], v53, v52
	s_or_b64 s[12:13], s[12:13], s[14:15]
	s_and_b64 s[10:11], s[10:11], s[12:13]
	s_xor_b64 s[12:13], s[10:11], -1
	s_and_saveexec_b64 s[14:15], s[12:13]
	s_xor_b64 s[12:13], exec, s[14:15]
	s_cbranch_execz .LBB6_8
; %bb.7:                                ;   in Loop: Header=BB6_2 Depth=1
	ds_read_b32 v55, v59 offset:4
	v_mov_b32_e32 v54, v53
                                        ; implicit-def: $vgpr58
.LBB6_8:                                ;   in Loop: Header=BB6_2 Depth=1
	s_andn2_saveexec_b64 s[12:13], s[12:13]
	s_cbranch_execz .LBB6_10
; %bb.9:                                ;   in Loop: Header=BB6_2 Depth=1
	ds_read_b32 v54, v58 offset:4
	s_waitcnt lgkmcnt(1)
	v_mov_b32_e32 v55, v52
.LBB6_10:                               ;   in Loop: Header=BB6_2 Depth=1
	s_or_b64 exec, exec, s[12:13]
	v_add_u32_e32 v59, 1, v57
	v_add_u32_e32 v58, 1, v56
	v_cndmask_b32_e64 v59, v59, v57, s[10:11]
	v_cndmask_b32_e64 v58, v56, v58, s[10:11]
	v_cmp_ge_i32_e64 s[14:15], v59, v5
	s_waitcnt lgkmcnt(0)
	v_cmp_lt_i32_e64 s[16:17], v54, v55
	v_cmp_lt_i32_e64 s[12:13], v58, v6
	s_or_b64 s[14:15], s[14:15], s[16:17]
	s_and_b64 s[12:13], s[12:13], s[14:15]
	s_xor_b64 s[14:15], s[12:13], -1
                                        ; implicit-def: $vgpr56
	s_and_saveexec_b64 s[16:17], s[14:15]
	s_xor_b64 s[14:15], exec, s[16:17]
	s_cbranch_execz .LBB6_12
; %bb.11:                               ;   in Loop: Header=BB6_2 Depth=1
	v_lshlrev_b32_e32 v56, 2, v59
	ds_read_b32 v56, v56 offset:4
.LBB6_12:                               ;   in Loop: Header=BB6_2 Depth=1
	s_or_saveexec_b64 s[14:15], s[14:15]
	v_mov_b32_e32 v57, v54
	s_xor_b64 exec, exec, s[14:15]
	s_cbranch_execz .LBB6_14
; %bb.13:                               ;   in Loop: Header=BB6_2 Depth=1
	s_waitcnt lgkmcnt(0)
	v_lshlrev_b32_e32 v56, 2, v58
	ds_read_b32 v57, v56 offset:4
	v_mov_b32_e32 v56, v55
.LBB6_14:                               ;   in Loop: Header=BB6_2 Depth=1
	s_or_b64 exec, exec, s[14:15]
	v_add_u32_e32 v61, 1, v59
	v_add_u32_e32 v60, 1, v58
	v_cndmask_b32_e64 v59, v61, v59, s[12:13]
	v_cndmask_b32_e64 v58, v58, v60, s[12:13]
	v_cmp_ge_i32_e64 s[16:17], v59, v5
	s_waitcnt lgkmcnt(0)
	v_cmp_lt_i32_e64 s[18:19], v57, v56
	v_cmp_lt_i32_e64 s[14:15], v58, v6
	s_or_b64 s[16:17], s[16:17], s[18:19]
	s_and_b64 s[14:15], s[14:15], s[16:17]
	s_xor_b64 s[16:17], s[14:15], -1
                                        ; implicit-def: $vgpr60
	s_and_saveexec_b64 s[18:19], s[16:17]
	s_xor_b64 s[16:17], exec, s[18:19]
	s_cbranch_execz .LBB6_16
; %bb.15:                               ;   in Loop: Header=BB6_2 Depth=1
	v_lshlrev_b32_e32 v60, 2, v59
	ds_read_b32 v60, v60 offset:4
.LBB6_16:                               ;   in Loop: Header=BB6_2 Depth=1
	s_or_saveexec_b64 s[16:17], s[16:17]
	v_mov_b32_e32 v61, v57
	s_xor_b64 exec, exec, s[16:17]
	s_cbranch_execz .LBB6_18
; %bb.17:                               ;   in Loop: Header=BB6_2 Depth=1
	s_waitcnt lgkmcnt(0)
	v_lshlrev_b32_e32 v60, 2, v58
	ds_read_b32 v61, v60 offset:4
	v_mov_b32_e32 v60, v56
.LBB6_18:                               ;   in Loop: Header=BB6_2 Depth=1
	s_or_b64 exec, exec, s[16:17]
	v_cndmask_b32_e64 v56, v56, v57, s[14:15]
	v_add_u32_e32 v57, 1, v58
	v_add_u32_e32 v62, 1, v59
	v_cndmask_b32_e64 v57, v58, v57, s[14:15]
	v_cndmask_b32_e64 v58, v62, v59, s[14:15]
	;; [unrolled: 1-line block ×3, first 2 shown]
	v_cmp_ge_i32_e64 s[12:13], v58, v5
	s_waitcnt lgkmcnt(0)
	v_cmp_lt_i32_e64 s[14:15], v61, v60
	v_cndmask_b32_e64 v52, v52, v53, s[10:11]
	v_cmp_lt_i32_e64 s[10:11], v57, v6
	s_or_b64 s[12:13], s[12:13], s[14:15]
	s_and_b64 s[10:11], s[10:11], s[12:13]
	v_cndmask_b32_e64 v53, v60, v61, s[10:11]
	s_waitcnt lgkmcnt(0)
	; wave barrier
	ds_write2_b32 v2, v52, v54 offset1:1
	ds_write2_b32 v2, v56, v53 offset0:2 offset1:3
	v_mov_b32_e32 v54, v18
	s_waitcnt lgkmcnt(0)
	; wave barrier
	s_waitcnt lgkmcnt(0)
	s_and_saveexec_b64 s[12:13], s[0:1]
	s_cbranch_execz .LBB6_22
; %bb.19:                               ;   in Loop: Header=BB6_2 Depth=1
	s_mov_b64 s[14:15], 0
	v_mov_b32_e32 v54, v18
	v_mov_b32_e32 v52, v19
.LBB6_20:                               ;   Parent Loop BB6_2 Depth=1
                                        ; =>  This Inner Loop Header: Depth=2
	v_sub_u32_e32 v53, v52, v54
	v_lshrrev_b32_e32 v55, 31, v53
	v_add_u32_e32 v53, v53, v55
	v_ashrrev_i32_e32 v53, 1, v53
	v_add_u32_e32 v53, v53, v54
	v_xad_u32 v56, v53, -1, v13
	v_lshl_add_u32 v55, v53, 2, v16
	v_lshl_add_u32 v56, v56, 2, v17
	ds_read_b32 v55, v55
	ds_read_b32 v56, v56
	v_add_u32_e32 v57, 1, v53
	s_waitcnt lgkmcnt(0)
	v_cmp_lt_i32_e64 s[10:11], v56, v55
	s_nop 1
	v_cndmask_b32_e64 v52, v52, v53, s[10:11]
	v_cndmask_b32_e64 v54, v57, v54, s[10:11]
	v_cmp_ge_i32_e64 s[10:11], v54, v52
	s_or_b64 s[14:15], s[10:11], s[14:15]
	s_andn2_b64 exec, exec, s[14:15]
	s_cbranch_execnz .LBB6_20
; %bb.21:                               ;   in Loop: Header=BB6_2 Depth=1
	s_or_b64 exec, exec, s[14:15]
.LBB6_22:                               ;   in Loop: Header=BB6_2 Depth=1
	s_or_b64 exec, exec, s[12:13]
	v_sub_u32_e32 v56, v20, v54
	v_lshl_add_u32 v59, v54, 2, v16
	v_lshlrev_b32_e32 v58, 2, v56
	ds_read_b32 v52, v59
	ds_read_b32 v53, v58
	v_add_u32_e32 v57, v54, v12
	v_cmp_le_i32_e64 s[12:13], v14, v57
	v_cmp_gt_i32_e64 s[10:11], v15, v56
                                        ; implicit-def: $vgpr54
                                        ; implicit-def: $vgpr55
	s_waitcnt lgkmcnt(0)
	v_cmp_lt_i32_e64 s[14:15], v53, v52
	s_or_b64 s[12:13], s[12:13], s[14:15]
	s_and_b64 s[10:11], s[10:11], s[12:13]
	s_xor_b64 s[12:13], s[10:11], -1
	s_and_saveexec_b64 s[14:15], s[12:13]
	s_xor_b64 s[12:13], exec, s[14:15]
	s_cbranch_execz .LBB6_24
; %bb.23:                               ;   in Loop: Header=BB6_2 Depth=1
	ds_read_b32 v55, v59 offset:4
	v_mov_b32_e32 v54, v53
                                        ; implicit-def: $vgpr58
.LBB6_24:                               ;   in Loop: Header=BB6_2 Depth=1
	s_andn2_saveexec_b64 s[12:13], s[12:13]
	s_cbranch_execz .LBB6_26
; %bb.25:                               ;   in Loop: Header=BB6_2 Depth=1
	ds_read_b32 v54, v58 offset:4
	s_waitcnt lgkmcnt(1)
	v_mov_b32_e32 v55, v52
.LBB6_26:                               ;   in Loop: Header=BB6_2 Depth=1
	s_or_b64 exec, exec, s[12:13]
	v_add_u32_e32 v59, 1, v57
	v_add_u32_e32 v58, 1, v56
	v_cndmask_b32_e64 v59, v59, v57, s[10:11]
	v_cndmask_b32_e64 v58, v56, v58, s[10:11]
	v_cmp_ge_i32_e64 s[14:15], v59, v14
	s_waitcnt lgkmcnt(0)
	v_cmp_lt_i32_e64 s[16:17], v54, v55
	v_cmp_lt_i32_e64 s[12:13], v58, v15
	s_or_b64 s[14:15], s[14:15], s[16:17]
	s_and_b64 s[12:13], s[12:13], s[14:15]
	s_xor_b64 s[14:15], s[12:13], -1
                                        ; implicit-def: $vgpr56
	s_and_saveexec_b64 s[16:17], s[14:15]
	s_xor_b64 s[14:15], exec, s[16:17]
	s_cbranch_execz .LBB6_28
; %bb.27:                               ;   in Loop: Header=BB6_2 Depth=1
	v_lshlrev_b32_e32 v56, 2, v59
	ds_read_b32 v56, v56 offset:4
.LBB6_28:                               ;   in Loop: Header=BB6_2 Depth=1
	s_or_saveexec_b64 s[14:15], s[14:15]
	v_mov_b32_e32 v57, v54
	s_xor_b64 exec, exec, s[14:15]
	s_cbranch_execz .LBB6_30
; %bb.29:                               ;   in Loop: Header=BB6_2 Depth=1
	s_waitcnt lgkmcnt(0)
	v_lshlrev_b32_e32 v56, 2, v58
	ds_read_b32 v57, v56 offset:4
	v_mov_b32_e32 v56, v55
.LBB6_30:                               ;   in Loop: Header=BB6_2 Depth=1
	s_or_b64 exec, exec, s[14:15]
	v_add_u32_e32 v61, 1, v59
	v_add_u32_e32 v60, 1, v58
	v_cndmask_b32_e64 v59, v61, v59, s[12:13]
	v_cndmask_b32_e64 v58, v58, v60, s[12:13]
	v_cmp_ge_i32_e64 s[16:17], v59, v14
	s_waitcnt lgkmcnt(0)
	v_cmp_lt_i32_e64 s[18:19], v57, v56
	v_cmp_lt_i32_e64 s[14:15], v58, v15
	s_or_b64 s[16:17], s[16:17], s[18:19]
	s_and_b64 s[14:15], s[14:15], s[16:17]
	s_xor_b64 s[16:17], s[14:15], -1
                                        ; implicit-def: $vgpr60
	s_and_saveexec_b64 s[18:19], s[16:17]
	s_xor_b64 s[16:17], exec, s[18:19]
	s_cbranch_execz .LBB6_32
; %bb.31:                               ;   in Loop: Header=BB6_2 Depth=1
	v_lshlrev_b32_e32 v60, 2, v59
	ds_read_b32 v60, v60 offset:4
.LBB6_32:                               ;   in Loop: Header=BB6_2 Depth=1
	s_or_saveexec_b64 s[16:17], s[16:17]
	v_mov_b32_e32 v61, v57
	s_xor_b64 exec, exec, s[16:17]
	s_cbranch_execz .LBB6_34
; %bb.33:                               ;   in Loop: Header=BB6_2 Depth=1
	s_waitcnt lgkmcnt(0)
	v_lshlrev_b32_e32 v60, 2, v58
	ds_read_b32 v61, v60 offset:4
	v_mov_b32_e32 v60, v56
.LBB6_34:                               ;   in Loop: Header=BB6_2 Depth=1
	s_or_b64 exec, exec, s[16:17]
	v_cndmask_b32_e64 v56, v56, v57, s[14:15]
	v_add_u32_e32 v57, 1, v58
	v_add_u32_e32 v62, 1, v59
	v_cndmask_b32_e64 v57, v58, v57, s[14:15]
	v_cndmask_b32_e64 v58, v62, v59, s[14:15]
	;; [unrolled: 1-line block ×3, first 2 shown]
	v_cmp_ge_i32_e64 s[12:13], v58, v14
	s_waitcnt lgkmcnt(0)
	v_cmp_lt_i32_e64 s[14:15], v61, v60
	v_cndmask_b32_e64 v52, v52, v53, s[10:11]
	v_cmp_lt_i32_e64 s[10:11], v57, v15
	s_or_b64 s[12:13], s[12:13], s[14:15]
	s_and_b64 s[10:11], s[10:11], s[12:13]
	v_cndmask_b32_e64 v53, v60, v61, s[10:11]
	s_waitcnt lgkmcnt(0)
	; wave barrier
	ds_write2_b32 v2, v52, v54 offset1:1
	ds_write2_b32 v2, v56, v53 offset0:2 offset1:3
	v_mov_b32_e32 v54, v27
	s_waitcnt lgkmcnt(0)
	; wave barrier
	s_waitcnt lgkmcnt(0)
	s_and_saveexec_b64 s[12:13], s[2:3]
	s_cbranch_execz .LBB6_38
; %bb.35:                               ;   in Loop: Header=BB6_2 Depth=1
	s_mov_b64 s[14:15], 0
	v_mov_b32_e32 v54, v27
	v_mov_b32_e32 v52, v28
.LBB6_36:                               ;   Parent Loop BB6_2 Depth=1
                                        ; =>  This Inner Loop Header: Depth=2
	v_sub_u32_e32 v53, v52, v54
	v_lshrrev_b32_e32 v55, 31, v53
	v_add_u32_e32 v53, v53, v55
	v_ashrrev_i32_e32 v53, 1, v53
	v_add_u32_e32 v53, v53, v54
	v_xad_u32 v56, v53, -1, v22
	v_lshl_add_u32 v55, v53, 2, v25
	v_lshl_add_u32 v56, v56, 2, v26
	ds_read_b32 v55, v55
	ds_read_b32 v56, v56
	v_add_u32_e32 v57, 1, v53
	s_waitcnt lgkmcnt(0)
	v_cmp_lt_i32_e64 s[10:11], v56, v55
	s_nop 1
	v_cndmask_b32_e64 v52, v52, v53, s[10:11]
	v_cndmask_b32_e64 v54, v57, v54, s[10:11]
	v_cmp_ge_i32_e64 s[10:11], v54, v52
	s_or_b64 s[14:15], s[10:11], s[14:15]
	s_andn2_b64 exec, exec, s[14:15]
	s_cbranch_execnz .LBB6_36
; %bb.37:                               ;   in Loop: Header=BB6_2 Depth=1
	s_or_b64 exec, exec, s[14:15]
.LBB6_38:                               ;   in Loop: Header=BB6_2 Depth=1
	s_or_b64 exec, exec, s[12:13]
	v_sub_u32_e32 v56, v29, v54
	v_lshl_add_u32 v59, v54, 2, v25
	v_lshlrev_b32_e32 v58, 2, v56
	ds_read_b32 v52, v59
	ds_read_b32 v53, v58
	v_add_u32_e32 v57, v54, v21
	v_cmp_le_i32_e64 s[12:13], v23, v57
	v_cmp_gt_i32_e64 s[10:11], v24, v56
                                        ; implicit-def: $vgpr54
                                        ; implicit-def: $vgpr55
	s_waitcnt lgkmcnt(0)
	v_cmp_lt_i32_e64 s[14:15], v53, v52
	s_or_b64 s[12:13], s[12:13], s[14:15]
	s_and_b64 s[10:11], s[10:11], s[12:13]
	s_xor_b64 s[12:13], s[10:11], -1
	s_and_saveexec_b64 s[14:15], s[12:13]
	s_xor_b64 s[12:13], exec, s[14:15]
	s_cbranch_execz .LBB6_40
; %bb.39:                               ;   in Loop: Header=BB6_2 Depth=1
	ds_read_b32 v55, v59 offset:4
	v_mov_b32_e32 v54, v53
                                        ; implicit-def: $vgpr58
.LBB6_40:                               ;   in Loop: Header=BB6_2 Depth=1
	s_andn2_saveexec_b64 s[12:13], s[12:13]
	s_cbranch_execz .LBB6_42
; %bb.41:                               ;   in Loop: Header=BB6_2 Depth=1
	ds_read_b32 v54, v58 offset:4
	s_waitcnt lgkmcnt(1)
	v_mov_b32_e32 v55, v52
.LBB6_42:                               ;   in Loop: Header=BB6_2 Depth=1
	s_or_b64 exec, exec, s[12:13]
	v_add_u32_e32 v59, 1, v57
	v_add_u32_e32 v58, 1, v56
	v_cndmask_b32_e64 v59, v59, v57, s[10:11]
	v_cndmask_b32_e64 v58, v56, v58, s[10:11]
	v_cmp_ge_i32_e64 s[14:15], v59, v23
	s_waitcnt lgkmcnt(0)
	v_cmp_lt_i32_e64 s[16:17], v54, v55
	v_cmp_lt_i32_e64 s[12:13], v58, v24
	s_or_b64 s[14:15], s[14:15], s[16:17]
	s_and_b64 s[12:13], s[12:13], s[14:15]
	s_xor_b64 s[14:15], s[12:13], -1
                                        ; implicit-def: $vgpr56
	s_and_saveexec_b64 s[16:17], s[14:15]
	s_xor_b64 s[14:15], exec, s[16:17]
	s_cbranch_execz .LBB6_44
; %bb.43:                               ;   in Loop: Header=BB6_2 Depth=1
	v_lshlrev_b32_e32 v56, 2, v59
	ds_read_b32 v56, v56 offset:4
.LBB6_44:                               ;   in Loop: Header=BB6_2 Depth=1
	s_or_saveexec_b64 s[14:15], s[14:15]
	v_mov_b32_e32 v57, v54
	s_xor_b64 exec, exec, s[14:15]
	s_cbranch_execz .LBB6_46
; %bb.45:                               ;   in Loop: Header=BB6_2 Depth=1
	s_waitcnt lgkmcnt(0)
	v_lshlrev_b32_e32 v56, 2, v58
	ds_read_b32 v57, v56 offset:4
	v_mov_b32_e32 v56, v55
.LBB6_46:                               ;   in Loop: Header=BB6_2 Depth=1
	s_or_b64 exec, exec, s[14:15]
	v_add_u32_e32 v61, 1, v59
	v_add_u32_e32 v60, 1, v58
	v_cndmask_b32_e64 v59, v61, v59, s[12:13]
	v_cndmask_b32_e64 v58, v58, v60, s[12:13]
	v_cmp_ge_i32_e64 s[16:17], v59, v23
	s_waitcnt lgkmcnt(0)
	v_cmp_lt_i32_e64 s[18:19], v57, v56
	v_cmp_lt_i32_e64 s[14:15], v58, v24
	s_or_b64 s[16:17], s[16:17], s[18:19]
	s_and_b64 s[14:15], s[14:15], s[16:17]
	s_xor_b64 s[16:17], s[14:15], -1
                                        ; implicit-def: $vgpr60
	s_and_saveexec_b64 s[18:19], s[16:17]
	s_xor_b64 s[16:17], exec, s[18:19]
	s_cbranch_execz .LBB6_48
; %bb.47:                               ;   in Loop: Header=BB6_2 Depth=1
	v_lshlrev_b32_e32 v60, 2, v59
	ds_read_b32 v60, v60 offset:4
.LBB6_48:                               ;   in Loop: Header=BB6_2 Depth=1
	s_or_saveexec_b64 s[16:17], s[16:17]
	v_mov_b32_e32 v61, v57
	s_xor_b64 exec, exec, s[16:17]
	s_cbranch_execz .LBB6_50
; %bb.49:                               ;   in Loop: Header=BB6_2 Depth=1
	s_waitcnt lgkmcnt(0)
	v_lshlrev_b32_e32 v60, 2, v58
	ds_read_b32 v61, v60 offset:4
	v_mov_b32_e32 v60, v56
.LBB6_50:                               ;   in Loop: Header=BB6_2 Depth=1
	s_or_b64 exec, exec, s[16:17]
	v_cndmask_b32_e64 v56, v56, v57, s[14:15]
	v_add_u32_e32 v57, 1, v58
	v_add_u32_e32 v62, 1, v59
	v_cndmask_b32_e64 v57, v58, v57, s[14:15]
	v_cndmask_b32_e64 v58, v62, v59, s[14:15]
	;; [unrolled: 1-line block ×3, first 2 shown]
	v_cmp_ge_i32_e64 s[12:13], v58, v23
	s_waitcnt lgkmcnt(0)
	v_cmp_lt_i32_e64 s[14:15], v61, v60
	v_cndmask_b32_e64 v52, v52, v53, s[10:11]
	v_cmp_lt_i32_e64 s[10:11], v57, v24
	s_or_b64 s[12:13], s[12:13], s[14:15]
	s_and_b64 s[10:11], s[10:11], s[12:13]
	v_cndmask_b32_e64 v53, v60, v61, s[10:11]
	s_waitcnt lgkmcnt(0)
	; wave barrier
	ds_write2_b32 v2, v52, v54 offset1:1
	ds_write2_b32 v2, v56, v53 offset0:2 offset1:3
	v_mov_b32_e32 v54, v36
	s_waitcnt lgkmcnt(0)
	; wave barrier
	s_waitcnt lgkmcnt(0)
	s_and_saveexec_b64 s[12:13], s[4:5]
	s_cbranch_execz .LBB6_54
; %bb.51:                               ;   in Loop: Header=BB6_2 Depth=1
	s_mov_b64 s[14:15], 0
	v_mov_b32_e32 v54, v36
	v_mov_b32_e32 v52, v37
.LBB6_52:                               ;   Parent Loop BB6_2 Depth=1
                                        ; =>  This Inner Loop Header: Depth=2
	v_sub_u32_e32 v53, v52, v54
	v_lshrrev_b32_e32 v55, 31, v53
	v_add_u32_e32 v53, v53, v55
	v_ashrrev_i32_e32 v53, 1, v53
	v_add_u32_e32 v53, v53, v54
	v_xad_u32 v56, v53, -1, v31
	v_lshl_add_u32 v55, v53, 2, v34
	v_lshl_add_u32 v56, v56, 2, v35
	ds_read_b32 v55, v55
	ds_read_b32 v56, v56
	v_add_u32_e32 v57, 1, v53
	s_waitcnt lgkmcnt(0)
	v_cmp_lt_i32_e64 s[10:11], v56, v55
	s_nop 1
	v_cndmask_b32_e64 v52, v52, v53, s[10:11]
	v_cndmask_b32_e64 v54, v57, v54, s[10:11]
	v_cmp_ge_i32_e64 s[10:11], v54, v52
	s_or_b64 s[14:15], s[10:11], s[14:15]
	s_andn2_b64 exec, exec, s[14:15]
	s_cbranch_execnz .LBB6_52
; %bb.53:                               ;   in Loop: Header=BB6_2 Depth=1
	s_or_b64 exec, exec, s[14:15]
.LBB6_54:                               ;   in Loop: Header=BB6_2 Depth=1
	s_or_b64 exec, exec, s[12:13]
	v_sub_u32_e32 v56, v38, v54
	v_lshl_add_u32 v59, v54, 2, v34
	v_lshlrev_b32_e32 v58, 2, v56
	ds_read_b32 v52, v59
	ds_read_b32 v53, v58
	v_add_u32_e32 v57, v54, v30
	v_cmp_le_i32_e64 s[12:13], v32, v57
	v_cmp_gt_i32_e64 s[10:11], v33, v56
                                        ; implicit-def: $vgpr54
                                        ; implicit-def: $vgpr55
	s_waitcnt lgkmcnt(0)
	v_cmp_lt_i32_e64 s[14:15], v53, v52
	s_or_b64 s[12:13], s[12:13], s[14:15]
	s_and_b64 s[10:11], s[10:11], s[12:13]
	s_xor_b64 s[12:13], s[10:11], -1
	s_and_saveexec_b64 s[14:15], s[12:13]
	s_xor_b64 s[12:13], exec, s[14:15]
	s_cbranch_execz .LBB6_56
; %bb.55:                               ;   in Loop: Header=BB6_2 Depth=1
	ds_read_b32 v55, v59 offset:4
	v_mov_b32_e32 v54, v53
                                        ; implicit-def: $vgpr58
.LBB6_56:                               ;   in Loop: Header=BB6_2 Depth=1
	s_andn2_saveexec_b64 s[12:13], s[12:13]
	s_cbranch_execz .LBB6_58
; %bb.57:                               ;   in Loop: Header=BB6_2 Depth=1
	ds_read_b32 v54, v58 offset:4
	s_waitcnt lgkmcnt(1)
	v_mov_b32_e32 v55, v52
.LBB6_58:                               ;   in Loop: Header=BB6_2 Depth=1
	s_or_b64 exec, exec, s[12:13]
	v_add_u32_e32 v59, 1, v57
	v_add_u32_e32 v58, 1, v56
	v_cndmask_b32_e64 v59, v59, v57, s[10:11]
	v_cndmask_b32_e64 v58, v56, v58, s[10:11]
	v_cmp_ge_i32_e64 s[14:15], v59, v32
	s_waitcnt lgkmcnt(0)
	v_cmp_lt_i32_e64 s[16:17], v54, v55
	v_cmp_lt_i32_e64 s[12:13], v58, v33
	s_or_b64 s[14:15], s[14:15], s[16:17]
	s_and_b64 s[12:13], s[12:13], s[14:15]
	s_xor_b64 s[14:15], s[12:13], -1
                                        ; implicit-def: $vgpr56
	s_and_saveexec_b64 s[16:17], s[14:15]
	s_xor_b64 s[14:15], exec, s[16:17]
	s_cbranch_execz .LBB6_60
; %bb.59:                               ;   in Loop: Header=BB6_2 Depth=1
	v_lshlrev_b32_e32 v56, 2, v59
	ds_read_b32 v56, v56 offset:4
.LBB6_60:                               ;   in Loop: Header=BB6_2 Depth=1
	s_or_saveexec_b64 s[14:15], s[14:15]
	v_mov_b32_e32 v57, v54
	s_xor_b64 exec, exec, s[14:15]
	s_cbranch_execz .LBB6_62
; %bb.61:                               ;   in Loop: Header=BB6_2 Depth=1
	s_waitcnt lgkmcnt(0)
	v_lshlrev_b32_e32 v56, 2, v58
	ds_read_b32 v57, v56 offset:4
	v_mov_b32_e32 v56, v55
.LBB6_62:                               ;   in Loop: Header=BB6_2 Depth=1
	s_or_b64 exec, exec, s[14:15]
	v_add_u32_e32 v61, 1, v59
	v_add_u32_e32 v60, 1, v58
	v_cndmask_b32_e64 v59, v61, v59, s[12:13]
	v_cndmask_b32_e64 v58, v58, v60, s[12:13]
	v_cmp_ge_i32_e64 s[16:17], v59, v32
	s_waitcnt lgkmcnt(0)
	v_cmp_lt_i32_e64 s[18:19], v57, v56
	v_cmp_lt_i32_e64 s[14:15], v58, v33
	s_or_b64 s[16:17], s[16:17], s[18:19]
	s_and_b64 s[14:15], s[14:15], s[16:17]
	s_xor_b64 s[16:17], s[14:15], -1
                                        ; implicit-def: $vgpr60
	s_and_saveexec_b64 s[18:19], s[16:17]
	s_xor_b64 s[16:17], exec, s[18:19]
	s_cbranch_execz .LBB6_64
; %bb.63:                               ;   in Loop: Header=BB6_2 Depth=1
	v_lshlrev_b32_e32 v60, 2, v59
	ds_read_b32 v60, v60 offset:4
.LBB6_64:                               ;   in Loop: Header=BB6_2 Depth=1
	s_or_saveexec_b64 s[16:17], s[16:17]
	v_mov_b32_e32 v61, v57
	s_xor_b64 exec, exec, s[16:17]
	s_cbranch_execz .LBB6_66
; %bb.65:                               ;   in Loop: Header=BB6_2 Depth=1
	s_waitcnt lgkmcnt(0)
	v_lshlrev_b32_e32 v60, 2, v58
	ds_read_b32 v61, v60 offset:4
	v_mov_b32_e32 v60, v56
.LBB6_66:                               ;   in Loop: Header=BB6_2 Depth=1
	s_or_b64 exec, exec, s[16:17]
	v_cndmask_b32_e64 v56, v56, v57, s[14:15]
	v_add_u32_e32 v57, 1, v58
	v_add_u32_e32 v62, 1, v59
	v_cndmask_b32_e64 v57, v58, v57, s[14:15]
	v_cndmask_b32_e64 v58, v62, v59, s[14:15]
	;; [unrolled: 1-line block ×3, first 2 shown]
	v_cmp_ge_i32_e64 s[12:13], v58, v32
	s_waitcnt lgkmcnt(0)
	v_cmp_lt_i32_e64 s[14:15], v61, v60
	v_cndmask_b32_e64 v52, v52, v53, s[10:11]
	v_cmp_lt_i32_e64 s[10:11], v57, v33
	s_or_b64 s[12:13], s[12:13], s[14:15]
	s_and_b64 s[10:11], s[10:11], s[12:13]
	v_cndmask_b32_e64 v53, v60, v61, s[10:11]
	s_waitcnt lgkmcnt(0)
	; wave barrier
	ds_write2_b32 v2, v52, v54 offset1:1
	ds_write2_b32 v2, v56, v53 offset0:2 offset1:3
	v_mov_b32_e32 v54, v46
	s_waitcnt lgkmcnt(0)
	; wave barrier
	s_waitcnt lgkmcnt(0)
	s_and_saveexec_b64 s[12:13], s[6:7]
	s_cbranch_execz .LBB6_70
; %bb.67:                               ;   in Loop: Header=BB6_2 Depth=1
	s_mov_b64 s[14:15], 0
	v_mov_b32_e32 v54, v46
	v_mov_b32_e32 v52, v47
.LBB6_68:                               ;   Parent Loop BB6_2 Depth=1
                                        ; =>  This Inner Loop Header: Depth=2
	v_sub_u32_e32 v53, v52, v54
	v_lshrrev_b32_e32 v55, 31, v53
	v_add_u32_e32 v53, v53, v55
	v_ashrrev_i32_e32 v53, 1, v53
	v_add_u32_e32 v53, v53, v54
	v_xad_u32 v56, v53, -1, v41
	v_lshl_add_u32 v55, v53, 2, v44
	v_lshl_add_u32 v56, v56, 2, v45
	ds_read_b32 v55, v55
	ds_read_b32 v56, v56
	v_add_u32_e32 v57, 1, v53
	s_waitcnt lgkmcnt(0)
	v_cmp_lt_i32_e64 s[10:11], v56, v55
	s_nop 1
	v_cndmask_b32_e64 v52, v52, v53, s[10:11]
	v_cndmask_b32_e64 v54, v57, v54, s[10:11]
	v_cmp_ge_i32_e64 s[10:11], v54, v52
	s_or_b64 s[14:15], s[10:11], s[14:15]
	s_andn2_b64 exec, exec, s[14:15]
	s_cbranch_execnz .LBB6_68
; %bb.69:                               ;   in Loop: Header=BB6_2 Depth=1
	s_or_b64 exec, exec, s[14:15]
.LBB6_70:                               ;   in Loop: Header=BB6_2 Depth=1
	s_or_b64 exec, exec, s[12:13]
	v_sub_u32_e32 v56, v48, v54
	v_lshl_add_u32 v59, v54, 2, v44
	v_lshlrev_b32_e32 v58, 2, v56
	ds_read_b32 v52, v59
	ds_read_b32 v53, v58
	v_add_u32_e32 v57, v54, v40
	v_cmp_le_i32_e64 s[12:13], v42, v57
	v_cmp_gt_i32_e64 s[10:11], v43, v56
                                        ; implicit-def: $vgpr54
                                        ; implicit-def: $vgpr55
	s_waitcnt lgkmcnt(0)
	v_cmp_lt_i32_e64 s[14:15], v53, v52
	s_or_b64 s[12:13], s[12:13], s[14:15]
	s_and_b64 s[10:11], s[10:11], s[12:13]
	s_xor_b64 s[12:13], s[10:11], -1
	s_and_saveexec_b64 s[14:15], s[12:13]
	s_xor_b64 s[12:13], exec, s[14:15]
	s_cbranch_execz .LBB6_72
; %bb.71:                               ;   in Loop: Header=BB6_2 Depth=1
	ds_read_b32 v55, v59 offset:4
	v_mov_b32_e32 v54, v53
                                        ; implicit-def: $vgpr58
.LBB6_72:                               ;   in Loop: Header=BB6_2 Depth=1
	s_andn2_saveexec_b64 s[12:13], s[12:13]
	s_cbranch_execz .LBB6_74
; %bb.73:                               ;   in Loop: Header=BB6_2 Depth=1
	ds_read_b32 v54, v58 offset:4
	s_waitcnt lgkmcnt(1)
	v_mov_b32_e32 v55, v52
.LBB6_74:                               ;   in Loop: Header=BB6_2 Depth=1
	s_or_b64 exec, exec, s[12:13]
	v_add_u32_e32 v59, 1, v57
	v_add_u32_e32 v58, 1, v56
	v_cndmask_b32_e64 v59, v59, v57, s[10:11]
	v_cndmask_b32_e64 v58, v56, v58, s[10:11]
	v_cmp_ge_i32_e64 s[14:15], v59, v42
	s_waitcnt lgkmcnt(0)
	v_cmp_lt_i32_e64 s[16:17], v54, v55
	v_cmp_lt_i32_e64 s[12:13], v58, v43
	s_or_b64 s[14:15], s[14:15], s[16:17]
	s_and_b64 s[12:13], s[12:13], s[14:15]
	s_xor_b64 s[14:15], s[12:13], -1
                                        ; implicit-def: $vgpr56
	s_and_saveexec_b64 s[16:17], s[14:15]
	s_xor_b64 s[14:15], exec, s[16:17]
	s_cbranch_execz .LBB6_76
; %bb.75:                               ;   in Loop: Header=BB6_2 Depth=1
	v_lshlrev_b32_e32 v56, 2, v59
	ds_read_b32 v56, v56 offset:4
.LBB6_76:                               ;   in Loop: Header=BB6_2 Depth=1
	s_or_saveexec_b64 s[14:15], s[14:15]
	v_mov_b32_e32 v57, v54
	s_xor_b64 exec, exec, s[14:15]
	s_cbranch_execz .LBB6_78
; %bb.77:                               ;   in Loop: Header=BB6_2 Depth=1
	s_waitcnt lgkmcnt(0)
	v_lshlrev_b32_e32 v56, 2, v58
	ds_read_b32 v57, v56 offset:4
	v_mov_b32_e32 v56, v55
.LBB6_78:                               ;   in Loop: Header=BB6_2 Depth=1
	s_or_b64 exec, exec, s[14:15]
	v_add_u32_e32 v61, 1, v59
	v_add_u32_e32 v60, 1, v58
	v_cndmask_b32_e64 v59, v61, v59, s[12:13]
	v_cndmask_b32_e64 v58, v58, v60, s[12:13]
	v_cmp_ge_i32_e64 s[16:17], v59, v42
	s_waitcnt lgkmcnt(0)
	v_cmp_lt_i32_e64 s[18:19], v57, v56
	v_cmp_lt_i32_e64 s[14:15], v58, v43
	s_or_b64 s[16:17], s[16:17], s[18:19]
	s_and_b64 s[14:15], s[14:15], s[16:17]
	s_xor_b64 s[16:17], s[14:15], -1
                                        ; implicit-def: $vgpr60
	s_and_saveexec_b64 s[18:19], s[16:17]
	s_xor_b64 s[16:17], exec, s[18:19]
	s_cbranch_execz .LBB6_80
; %bb.79:                               ;   in Loop: Header=BB6_2 Depth=1
	v_lshlrev_b32_e32 v60, 2, v59
	ds_read_b32 v60, v60 offset:4
.LBB6_80:                               ;   in Loop: Header=BB6_2 Depth=1
	s_or_saveexec_b64 s[16:17], s[16:17]
	v_mov_b32_e32 v61, v57
	s_xor_b64 exec, exec, s[16:17]
	s_cbranch_execz .LBB6_82
; %bb.81:                               ;   in Loop: Header=BB6_2 Depth=1
	s_waitcnt lgkmcnt(0)
	v_lshlrev_b32_e32 v60, 2, v58
	ds_read_b32 v61, v60 offset:4
	v_mov_b32_e32 v60, v56
.LBB6_82:                               ;   in Loop: Header=BB6_2 Depth=1
	s_or_b64 exec, exec, s[16:17]
	v_cndmask_b32_e64 v56, v56, v57, s[14:15]
	v_add_u32_e32 v57, 1, v58
	v_add_u32_e32 v62, 1, v59
	v_cndmask_b32_e64 v57, v58, v57, s[14:15]
	v_cndmask_b32_e64 v58, v62, v59, s[14:15]
	;; [unrolled: 1-line block ×3, first 2 shown]
	v_cmp_ge_i32_e64 s[12:13], v58, v42
	s_waitcnt lgkmcnt(0)
	v_cmp_lt_i32_e64 s[14:15], v61, v60
	v_cndmask_b32_e64 v52, v52, v53, s[10:11]
	v_cmp_lt_i32_e64 s[10:11], v57, v43
	s_or_b64 s[12:13], s[12:13], s[14:15]
	s_and_b64 s[10:11], s[10:11], s[12:13]
	v_cndmask_b32_e64 v53, v60, v61, s[10:11]
	s_waitcnt lgkmcnt(0)
	; wave barrier
	ds_write2_b32 v2, v52, v54 offset1:1
	ds_write2_b32 v2, v56, v53 offset0:2 offset1:3
	v_mov_b32_e32 v56, v49
	s_waitcnt lgkmcnt(0)
	; wave barrier
	s_waitcnt lgkmcnt(0)
	s_and_saveexec_b64 s[12:13], s[8:9]
	s_cbranch_execz .LBB6_86
; %bb.83:                               ;   in Loop: Header=BB6_2 Depth=1
	s_mov_b64 s[14:15], 0
	v_mov_b32_e32 v56, v49
	v_mov_b32_e32 v52, v50
.LBB6_84:                               ;   Parent Loop BB6_2 Depth=1
                                        ; =>  This Inner Loop Header: Depth=2
	v_sub_u32_e32 v53, v52, v56
	v_lshrrev_b32_e32 v54, 31, v53
	v_add_u32_e32 v53, v53, v54
	v_ashrrev_i32_e32 v53, 1, v53
	v_add_u32_e32 v53, v53, v56
	v_xad_u32 v55, v53, -1, v1
	v_mov_b32_e32 v57, 0x200
	v_lshlrev_b32_e32 v54, 2, v53
	v_lshl_add_u32 v55, v55, 2, v57
	ds_read_b32 v54, v54
	ds_read_b32 v55, v55
	v_add_u32_e32 v57, 1, v53
	s_waitcnt lgkmcnt(0)
	v_cmp_lt_i32_e64 s[10:11], v55, v54
	s_nop 1
	v_cndmask_b32_e64 v52, v52, v53, s[10:11]
	v_cndmask_b32_e64 v56, v57, v56, s[10:11]
	v_cmp_ge_i32_e64 s[10:11], v56, v52
	s_or_b64 s[14:15], s[10:11], s[14:15]
	s_andn2_b64 exec, exec, s[14:15]
	s_cbranch_execnz .LBB6_84
; %bb.85:                               ;   in Loop: Header=BB6_2 Depth=1
	s_or_b64 exec, exec, s[14:15]
.LBB6_86:                               ;   in Loop: Header=BB6_2 Depth=1
	s_or_b64 exec, exec, s[12:13]
	v_sub_u32_e32 v57, v51, v56
	v_lshlrev_b32_e32 v59, 2, v56
	v_lshlrev_b32_e32 v58, 2, v57
	ds_read_b32 v52, v59
	ds_read_b32 v53, v58
	v_cmp_le_i32_e64 s[12:13], v39, v56
	v_cmp_gt_i32_e64 s[10:11], s20, v57
                                        ; implicit-def: $vgpr54
                                        ; implicit-def: $vgpr55
	s_waitcnt lgkmcnt(0)
	v_cmp_lt_i32_e64 s[14:15], v53, v52
	s_or_b64 s[12:13], s[12:13], s[14:15]
	s_and_b64 s[10:11], s[10:11], s[12:13]
	s_xor_b64 s[12:13], s[10:11], -1
	s_and_saveexec_b64 s[14:15], s[12:13]
	s_xor_b64 s[12:13], exec, s[14:15]
	s_cbranch_execz .LBB6_88
; %bb.87:                               ;   in Loop: Header=BB6_2 Depth=1
	ds_read_b32 v55, v59 offset:4
	v_mov_b32_e32 v54, v53
                                        ; implicit-def: $vgpr58
.LBB6_88:                               ;   in Loop: Header=BB6_2 Depth=1
	s_andn2_saveexec_b64 s[12:13], s[12:13]
	s_cbranch_execz .LBB6_90
; %bb.89:                               ;   in Loop: Header=BB6_2 Depth=1
	ds_read_b32 v54, v58 offset:4
	s_waitcnt lgkmcnt(1)
	v_mov_b32_e32 v55, v52
.LBB6_90:                               ;   in Loop: Header=BB6_2 Depth=1
	s_or_b64 exec, exec, s[12:13]
	v_add_u32_e32 v59, 1, v56
	v_add_u32_e32 v58, 1, v57
	v_cndmask_b32_e64 v59, v59, v56, s[10:11]
	v_cndmask_b32_e64 v58, v57, v58, s[10:11]
	v_cmp_ge_i32_e64 s[14:15], v59, v39
	s_waitcnt lgkmcnt(0)
	v_cmp_lt_i32_e64 s[16:17], v54, v55
	v_cmp_gt_i32_e64 s[12:13], s20, v58
	s_or_b64 s[14:15], s[14:15], s[16:17]
	s_and_b64 s[12:13], s[12:13], s[14:15]
	s_xor_b64 s[14:15], s[12:13], -1
                                        ; implicit-def: $vgpr56
	s_and_saveexec_b64 s[16:17], s[14:15]
	s_xor_b64 s[14:15], exec, s[16:17]
	s_cbranch_execz .LBB6_92
; %bb.91:                               ;   in Loop: Header=BB6_2 Depth=1
	v_lshlrev_b32_e32 v56, 2, v59
	ds_read_b32 v56, v56 offset:4
.LBB6_92:                               ;   in Loop: Header=BB6_2 Depth=1
	s_or_saveexec_b64 s[14:15], s[14:15]
	v_mov_b32_e32 v57, v54
	s_xor_b64 exec, exec, s[14:15]
	s_cbranch_execz .LBB6_94
; %bb.93:                               ;   in Loop: Header=BB6_2 Depth=1
	s_waitcnt lgkmcnt(0)
	v_lshlrev_b32_e32 v56, 2, v58
	ds_read_b32 v57, v56 offset:4
	v_mov_b32_e32 v56, v55
.LBB6_94:                               ;   in Loop: Header=BB6_2 Depth=1
	s_or_b64 exec, exec, s[14:15]
	v_add_u32_e32 v60, 1, v58
	v_add_u32_e32 v61, 1, v59
	v_cndmask_b32_e64 v58, v58, v60, s[12:13]
	v_cndmask_b32_e64 v60, v61, v59, s[12:13]
	v_cmp_ge_i32_e64 s[16:17], v60, v39
	s_waitcnt lgkmcnt(0)
	v_cmp_lt_i32_e64 s[18:19], v57, v56
	v_cmp_gt_i32_e64 s[14:15], s20, v58
	s_or_b64 s[16:17], s[16:17], s[18:19]
	s_and_b64 s[14:15], s[14:15], s[16:17]
	s_xor_b64 s[16:17], s[14:15], -1
                                        ; implicit-def: $vgpr59
                                        ; implicit-def: $vgpr61
	s_and_saveexec_b64 s[18:19], s[16:17]
	s_xor_b64 s[16:17], exec, s[18:19]
	s_cbranch_execz .LBB6_96
; %bb.95:                               ;   in Loop: Header=BB6_2 Depth=1
	v_lshlrev_b32_e32 v59, 2, v60
	ds_read_b32 v59, v59 offset:4
	v_add_u32_e32 v61, 1, v60
                                        ; implicit-def: $vgpr60
.LBB6_96:                               ;   in Loop: Header=BB6_2 Depth=1
	s_or_saveexec_b64 s[16:17], s[16:17]
	v_mov_b32_e32 v62, v57
	s_xor_b64 exec, exec, s[16:17]
	s_cbranch_execz .LBB6_1
; %bb.97:                               ;   in Loop: Header=BB6_2 Depth=1
	s_waitcnt lgkmcnt(0)
	v_lshlrev_b32_e32 v59, 2, v58
	ds_read_b32 v62, v59 offset:4
	v_add_u32_e32 v58, 1, v58
	v_mov_b32_e32 v61, v60
	v_mov_b32_e32 v59, v56
	s_branch .LBB6_1
.LBB6_98:
	s_add_u32 s0, s22, s26
	s_addc_u32 s1, s23, s27
	v_lshlrev_b32_e32 v0, 2, v0
	global_store_dword v0, v53, s[0:1]
	global_store_dword v0, v54, s[0:1] offset:256
	global_store_dword v0, v52, s[0:1] offset:512
	;; [unrolled: 1-line block ×3, first 2 shown]
	s_endpgm
	.section	.rodata,"a",@progbits
	.p2align	6, 0x0
	.amdhsa_kernel _Z16sort_keys_kernelIiLj64ELj4EN10test_utils4lessELj10EEvPKT_PS2_T2_
		.amdhsa_group_segment_fixed_size 1028
		.amdhsa_private_segment_fixed_size 0
		.amdhsa_kernarg_size 20
		.amdhsa_user_sgpr_count 2
		.amdhsa_user_sgpr_dispatch_ptr 0
		.amdhsa_user_sgpr_queue_ptr 0
		.amdhsa_user_sgpr_kernarg_segment_ptr 1
		.amdhsa_user_sgpr_dispatch_id 0
		.amdhsa_user_sgpr_kernarg_preload_length 0
		.amdhsa_user_sgpr_kernarg_preload_offset 0
		.amdhsa_user_sgpr_private_segment_size 0
		.amdhsa_uses_dynamic_stack 0
		.amdhsa_enable_private_segment 0
		.amdhsa_system_sgpr_workgroup_id_x 1
		.amdhsa_system_sgpr_workgroup_id_y 0
		.amdhsa_system_sgpr_workgroup_id_z 0
		.amdhsa_system_sgpr_workgroup_info 0
		.amdhsa_system_vgpr_workitem_id 0
		.amdhsa_next_free_vgpr 63
		.amdhsa_next_free_sgpr 28
		.amdhsa_accum_offset 64
		.amdhsa_reserve_vcc 1
		.amdhsa_float_round_mode_32 0
		.amdhsa_float_round_mode_16_64 0
		.amdhsa_float_denorm_mode_32 3
		.amdhsa_float_denorm_mode_16_64 3
		.amdhsa_dx10_clamp 1
		.amdhsa_ieee_mode 1
		.amdhsa_fp16_overflow 0
		.amdhsa_tg_split 0
		.amdhsa_exception_fp_ieee_invalid_op 0
		.amdhsa_exception_fp_denorm_src 0
		.amdhsa_exception_fp_ieee_div_zero 0
		.amdhsa_exception_fp_ieee_overflow 0
		.amdhsa_exception_fp_ieee_underflow 0
		.amdhsa_exception_fp_ieee_inexact 0
		.amdhsa_exception_int_div_zero 0
	.end_amdhsa_kernel
	.section	.text._Z16sort_keys_kernelIiLj64ELj4EN10test_utils4lessELj10EEvPKT_PS2_T2_,"axG",@progbits,_Z16sort_keys_kernelIiLj64ELj4EN10test_utils4lessELj10EEvPKT_PS2_T2_,comdat
.Lfunc_end6:
	.size	_Z16sort_keys_kernelIiLj64ELj4EN10test_utils4lessELj10EEvPKT_PS2_T2_, .Lfunc_end6-_Z16sort_keys_kernelIiLj64ELj4EN10test_utils4lessELj10EEvPKT_PS2_T2_
                                        ; -- End function
	.section	.AMDGPU.csdata,"",@progbits
; Kernel info:
; codeLenInByte = 4644
; NumSgprs: 34
; NumVgprs: 63
; NumAgprs: 0
; TotalNumVgprs: 63
; ScratchSize: 0
; MemoryBound: 0
; FloatMode: 240
; IeeeMode: 1
; LDSByteSize: 1028 bytes/workgroup (compile time only)
; SGPRBlocks: 4
; VGPRBlocks: 7
; NumSGPRsForWavesPerEU: 34
; NumVGPRsForWavesPerEU: 63
; AccumOffset: 64
; Occupancy: 8
; WaveLimiterHint : 1
; COMPUTE_PGM_RSRC2:SCRATCH_EN: 0
; COMPUTE_PGM_RSRC2:USER_SGPR: 2
; COMPUTE_PGM_RSRC2:TRAP_HANDLER: 0
; COMPUTE_PGM_RSRC2:TGID_X_EN: 1
; COMPUTE_PGM_RSRC2:TGID_Y_EN: 0
; COMPUTE_PGM_RSRC2:TGID_Z_EN: 0
; COMPUTE_PGM_RSRC2:TIDIG_COMP_CNT: 0
; COMPUTE_PGM_RSRC3_GFX90A:ACCUM_OFFSET: 15
; COMPUTE_PGM_RSRC3_GFX90A:TG_SPLIT: 0
	.section	.text._Z17sort_pairs_kernelIiLj64ELj4EN10test_utils4lessELj10EEvPKT_PS2_T2_,"axG",@progbits,_Z17sort_pairs_kernelIiLj64ELj4EN10test_utils4lessELj10EEvPKT_PS2_T2_,comdat
	.protected	_Z17sort_pairs_kernelIiLj64ELj4EN10test_utils4lessELj10EEvPKT_PS2_T2_ ; -- Begin function _Z17sort_pairs_kernelIiLj64ELj4EN10test_utils4lessELj10EEvPKT_PS2_T2_
	.globl	_Z17sort_pairs_kernelIiLj64ELj4EN10test_utils4lessELj10EEvPKT_PS2_T2_
	.p2align	8
	.type	_Z17sort_pairs_kernelIiLj64ELj4EN10test_utils4lessELj10EEvPKT_PS2_T2_,@function
_Z17sort_pairs_kernelIiLj64ELj4EN10test_utils4lessELj10EEvPKT_PS2_T2_: ; @_Z17sort_pairs_kernelIiLj64ELj4EN10test_utils4lessELj10EEvPKT_PS2_T2_
; %bb.0:
	s_load_dwordx4 s[36:39], s[0:1], 0x0
	s_lshl_b32 s40, s2, 8
	s_mov_b32 s41, 0
	s_lshl_b64 s[34:35], s[40:41], 2
	v_lshlrev_b32_e32 v1, 2, v0
	s_waitcnt lgkmcnt(0)
	s_add_u32 s0, s36, s34
	s_addc_u32 s1, s37, s35
	global_load_dword v56, v1, s[0:1]
	global_load_dword v59, v1, s[0:1] offset:256
	global_load_dword v58, v1, s[0:1] offset:512
	global_load_dword v57, v1, s[0:1] offset:768
	v_and_b32_e32 v4, 0xf8, v1
	v_and_b32_e32 v6, 0xf0, v1
	v_or_b32_e32 v14, 4, v4
	v_add_u32_e32 v15, 8, v4
	v_and_b32_e32 v5, 4, v1
	v_and_b32_e32 v8, 0xe0, v1
	v_or_b32_e32 v17, 8, v6
	v_add_u32_e32 v18, 16, v6
	v_sub_u32_e32 v43, v15, v14
	v_and_b32_e32 v7, 12, v1
	v_and_b32_e32 v10, 0xc0, v1
	v_or_b32_e32 v20, 16, v8
	v_add_u32_e32 v21, 32, v8
	v_sub_u32_e32 v44, v18, v17
	v_sub_u32_e32 v48, v5, v43
	v_cmp_ge_i32_e32 vcc, v5, v43
	v_and_b32_e32 v9, 28, v1
	v_and_b32_e32 v12, 0x80, v1
	v_or_b32_e32 v23, 32, v10
	v_add_u32_e32 v24, 64, v10
	v_sub_u32_e32 v45, v21, v20
	v_sub_u32_e32 v49, v7, v44
	v_cndmask_b32_e32 v43, 0, v48, vcc
	v_cmp_ge_i32_e32 vcc, v7, v44
	v_and_b32_e32 v11, 60, v1
	v_or_b32_e32 v26, 64, v12
	v_add_u32_e32 v27, 0x80, v12
	v_sub_u32_e32 v46, v24, v23
	v_sub_u32_e32 v50, v9, v45
	v_cndmask_b32_e32 v44, 0, v49, vcc
	v_cmp_ge_i32_e32 vcc, v9, v45
	v_and_b32_e32 v13, 0x7c, v1
	v_sub_u32_e32 v47, v27, v26
	v_sub_u32_e32 v51, v11, v46
	v_cndmask_b32_e32 v45, 0, v50, vcc
	v_cmp_ge_i32_e32 vcc, v11, v46
	v_mov_b32_e32 v2, 0x80
	v_sub_u32_e32 v38, v14, v4
	v_sub_u32_e32 v39, v17, v6
	;; [unrolled: 1-line block ×6, first 2 shown]
	v_cndmask_b32_e32 v46, 0, v51, vcc
	v_cmp_ge_i32_e32 vcc, v13, v47
	v_min_i32_e32 v38, v5, v38
	v_min_i32_e32 v39, v7, v39
	;; [unrolled: 1-line block ×5, first 2 shown]
	v_cndmask_b32_e32 v47, 0, v52, vcc
	v_sub_u32_e64 v49, v1, v2 clamp
	v_min_i32_e32 v50, 0x80, v1
	v_lshlrev_b32_e32 v3, 4, v0
	v_lshlrev_b32_e32 v16, 2, v4
	v_lshlrev_b32_e32 v19, 2, v6
	v_lshlrev_b32_e32 v22, 2, v8
	v_lshlrev_b32_e32 v25, 2, v10
	v_lshlrev_b32_e32 v28, 2, v12
	v_lshlrev_b32_e32 v29, 2, v14
	v_add_u32_e32 v30, v14, v5
	v_lshlrev_b32_e32 v31, 2, v17
	v_add_u32_e32 v32, v17, v7
	v_lshlrev_b32_e32 v33, 2, v20
	v_add_u32_e32 v34, v20, v9
	v_lshlrev_b32_e32 v35, 2, v23
	v_add_u32_e32 v36, v23, v11
	v_lshlrev_b32_e32 v37, 2, v26
	v_cmp_lt_i32_e32 vcc, v43, v38
	v_cmp_lt_i32_e64 s[0:1], v44, v39
	v_cmp_lt_i32_e64 s[2:3], v45, v40
	;; [unrolled: 1-line block ×4, first 2 shown]
	v_add_u32_e32 v48, v26, v13
	v_cmp_lt_i32_e64 s[8:9], v49, v50
	s_movk_i32 s33, 0x100
	s_waitcnt vmcnt(3)
	v_add_u32_e32 v52, 1, v56
	s_waitcnt vmcnt(2)
	v_add_u32_e32 v54, 1, v59
	;; [unrolled: 2-line block ×4, first 2 shown]
	v_add_u32_e32 v51, 0x80, v1
	s_branch .LBB7_2
.LBB7_1:                                ;   in Loop: Header=BB7_2 Depth=1
	s_or_b64 exec, exec, s[16:17]
	v_cmp_ge_i32_e64 s[16:17], v67, v2
	s_waitcnt lgkmcnt(0)
	v_cmp_lt_i32_e64 s[18:19], v71, v68
	v_cndmask_b32_e64 v56, v56, v61, s[10:11]
	v_cndmask_b32_e64 v60, v57, v60, s[10:11]
	v_cmp_gt_i32_e64 s[10:11], s33, v66
	s_or_b64 s[16:17], s[16:17], s[18:19]
	v_cndmask_b32_e64 v61, v65, v64, s[12:13]
	s_and_b64 s[10:11], s[10:11], s[16:17]
	v_cndmask_b32_e64 v64, v67, v66, s[10:11]
	s_waitcnt lgkmcnt(0)
	; wave barrier
	ds_write2_b32 v3, v52, v53 offset1:1
	ds_write2_b32 v3, v54, v55 offset0:2 offset1:3
	v_lshlrev_b32_e32 v52, 2, v60
	v_lshlrev_b32_e32 v53, 2, v61
	;; [unrolled: 1-line block ×3, first 2 shown]
	s_waitcnt lgkmcnt(0)
	; wave barrier
	s_waitcnt lgkmcnt(0)
	v_lshlrev_b32_e32 v60, 2, v64
	ds_read_b32 v52, v52
	ds_read_b32 v54, v53
	;; [unrolled: 1-line block ×4, first 2 shown]
	s_add_i32 s41, s41, 1
	v_cndmask_b32_e64 v57, v68, v71, s[10:11]
	v_cndmask_b32_e64 v59, v59, v58, s[12:13]
	s_cmp_eq_u32 s41, 10
	v_cndmask_b32_e64 v58, v62, v63, s[14:15]
	s_cbranch_scc1 .LBB7_98
.LBB7_2:                                ; =>This Loop Header: Depth=1
                                        ;     Child Loop BB7_4 Depth 2
                                        ;     Child Loop BB7_20 Depth 2
	;; [unrolled: 1-line block ×6, first 2 shown]
	v_cmp_lt_i32_e64 s[10:11], v59, v56
	v_cmp_lt_i32_e64 s[12:13], v57, v58
	s_nop 0
	v_cndmask_b32_e64 v60, v56, v59, s[10:11]
	v_cndmask_b32_e64 v56, v59, v56, s[10:11]
	;; [unrolled: 1-line block ×4, first 2 shown]
	v_min_i32_e32 v57, v57, v58
	v_cmp_lt_i32_e64 s[14:15], v57, v56
	; wave barrier
	s_nop 1
	v_cndmask_b32_e64 v58, v61, v56, s[14:15]
	v_cndmask_b32_e64 v61, v56, v57, s[14:15]
	v_min_i32_e32 v56, v57, v56
	v_cmp_lt_i32_e64 s[16:17], v56, v60
	v_cmp_lt_i32_e64 s[18:19], v59, v58
	s_nop 0
	v_cndmask_b32_e64 v56, v60, v56, s[16:17]
	v_cndmask_b32_e64 v57, v61, v60, s[16:17]
	v_cndmask_b32_e64 v60, v59, v58, s[18:19]
	v_cndmask_b32_e64 v61, v58, v59, s[18:19]
	v_min_i32_e32 v58, v59, v58
	v_cmp_lt_i32_e64 s[20:21], v58, v57
	s_nop 1
	v_cndmask_b32_e64 v59, v61, v57, s[20:21]
	v_cndmask_b32_e64 v57, v57, v58, s[20:21]
	v_mov_b32_e32 v58, v43
	ds_write2_b32 v3, v56, v57 offset1:1
	ds_write2_b32 v3, v59, v60 offset0:2 offset1:3
	s_waitcnt lgkmcnt(0)
	; wave barrier
	s_waitcnt lgkmcnt(0)
	s_and_saveexec_b64 s[24:25], vcc
	s_cbranch_execz .LBB7_6
; %bb.3:                                ;   in Loop: Header=BB7_2 Depth=1
	s_mov_b64 s[26:27], 0
	v_mov_b32_e32 v58, v43
	v_mov_b32_e32 v56, v38
.LBB7_4:                                ;   Parent Loop BB7_2 Depth=1
                                        ; =>  This Inner Loop Header: Depth=2
	v_sub_u32_e32 v57, v56, v58
	v_lshrrev_b32_e32 v59, 31, v57
	v_add_u32_e32 v57, v57, v59
	v_ashrrev_i32_e32 v57, 1, v57
	v_add_u32_e32 v57, v57, v58
	v_xad_u32 v60, v57, -1, v5
	v_lshl_add_u32 v59, v57, 2, v16
	v_lshl_add_u32 v60, v60, 2, v29
	ds_read_b32 v59, v59
	ds_read_b32 v60, v60
	v_add_u32_e32 v61, 1, v57
	s_waitcnt lgkmcnt(0)
	v_cmp_lt_i32_e64 s[22:23], v60, v59
	s_nop 1
	v_cndmask_b32_e64 v56, v56, v57, s[22:23]
	v_cndmask_b32_e64 v58, v61, v58, s[22:23]
	v_cmp_ge_i32_e64 s[22:23], v58, v56
	s_or_b64 s[26:27], s[22:23], s[26:27]
	s_andn2_b64 exec, exec, s[26:27]
	s_cbranch_execnz .LBB7_4
; %bb.5:                                ;   in Loop: Header=BB7_2 Depth=1
	s_or_b64 exec, exec, s[26:27]
.LBB7_6:                                ;   in Loop: Header=BB7_2 Depth=1
	s_or_b64 exec, exec, s[24:25]
	v_sub_u32_e32 v56, v30, v58
	v_lshl_add_u32 v63, v58, 2, v16
	v_lshlrev_b32_e32 v62, 2, v56
	ds_read_b32 v57, v63
	ds_read_b32 v59, v62
	v_add_u32_e32 v58, v58, v4
	v_cmp_le_i32_e64 s[24:25], v14, v58
	v_cmp_gt_i32_e64 s[22:23], v15, v56
                                        ; implicit-def: $vgpr60
                                        ; implicit-def: $vgpr61
	s_waitcnt lgkmcnt(0)
	v_cmp_lt_i32_e64 s[26:27], v59, v57
	s_or_b64 s[24:25], s[24:25], s[26:27]
	s_and_b64 s[22:23], s[22:23], s[24:25]
	s_xor_b64 s[24:25], s[22:23], -1
	s_and_saveexec_b64 s[26:27], s[24:25]
	s_xor_b64 s[24:25], exec, s[26:27]
	s_cbranch_execz .LBB7_8
; %bb.7:                                ;   in Loop: Header=BB7_2 Depth=1
	ds_read_b32 v61, v63 offset:4
	v_mov_b32_e32 v60, v59
                                        ; implicit-def: $vgpr62
.LBB7_8:                                ;   in Loop: Header=BB7_2 Depth=1
	s_andn2_saveexec_b64 s[24:25], s[24:25]
	s_cbranch_execz .LBB7_10
; %bb.9:                                ;   in Loop: Header=BB7_2 Depth=1
	ds_read_b32 v60, v62 offset:4
	s_waitcnt lgkmcnt(1)
	v_mov_b32_e32 v61, v57
.LBB7_10:                               ;   in Loop: Header=BB7_2 Depth=1
	s_or_b64 exec, exec, s[24:25]
	v_add_u32_e32 v63, 1, v58
	v_add_u32_e32 v62, 1, v56
	v_cndmask_b32_e64 v63, v63, v58, s[22:23]
	v_cndmask_b32_e64 v62, v56, v62, s[22:23]
	v_cmp_ge_i32_e64 s[26:27], v63, v14
	s_waitcnt lgkmcnt(0)
	v_cmp_lt_i32_e64 s[28:29], v60, v61
	v_cmp_lt_i32_e64 s[24:25], v62, v15
	s_or_b64 s[26:27], s[26:27], s[28:29]
	s_and_b64 s[24:25], s[24:25], s[26:27]
	s_xor_b64 s[26:27], s[24:25], -1
                                        ; implicit-def: $vgpr64
	s_and_saveexec_b64 s[28:29], s[26:27]
	s_xor_b64 s[26:27], exec, s[28:29]
	s_cbranch_execz .LBB7_12
; %bb.11:                               ;   in Loop: Header=BB7_2 Depth=1
	v_lshlrev_b32_e32 v64, 2, v63
	ds_read_b32 v64, v64 offset:4
.LBB7_12:                               ;   in Loop: Header=BB7_2 Depth=1
	s_or_saveexec_b64 s[26:27], s[26:27]
	v_mov_b32_e32 v65, v60
	s_xor_b64 exec, exec, s[26:27]
	s_cbranch_execz .LBB7_14
; %bb.13:                               ;   in Loop: Header=BB7_2 Depth=1
	s_waitcnt lgkmcnt(0)
	v_lshlrev_b32_e32 v64, 2, v62
	ds_read_b32 v65, v64 offset:4
	v_mov_b32_e32 v64, v61
.LBB7_14:                               ;   in Loop: Header=BB7_2 Depth=1
	s_or_b64 exec, exec, s[26:27]
	v_add_u32_e32 v68, 1, v63
	v_add_u32_e32 v66, 1, v62
	v_cndmask_b32_e64 v68, v68, v63, s[24:25]
	v_cndmask_b32_e64 v67, v62, v66, s[24:25]
	v_cmp_ge_i32_e64 s[28:29], v68, v14
	s_waitcnt lgkmcnt(0)
	v_cmp_lt_i32_e64 s[30:31], v65, v64
	v_cmp_lt_i32_e64 s[26:27], v67, v15
	s_or_b64 s[28:29], s[28:29], s[30:31]
	s_and_b64 s[26:27], s[26:27], s[28:29]
	s_xor_b64 s[28:29], s[26:27], -1
                                        ; implicit-def: $vgpr66
	s_and_saveexec_b64 s[30:31], s[28:29]
	s_xor_b64 s[28:29], exec, s[30:31]
	s_cbranch_execz .LBB7_16
; %bb.15:                               ;   in Loop: Header=BB7_2 Depth=1
	v_lshlrev_b32_e32 v66, 2, v68
	ds_read_b32 v66, v66 offset:4
.LBB7_16:                               ;   in Loop: Header=BB7_2 Depth=1
	s_or_saveexec_b64 s[28:29], s[28:29]
	v_mov_b32_e32 v69, v65
	s_xor_b64 exec, exec, s[28:29]
	s_cbranch_execz .LBB7_18
; %bb.17:                               ;   in Loop: Header=BB7_2 Depth=1
	s_waitcnt lgkmcnt(0)
	v_lshlrev_b32_e32 v66, 2, v67
	ds_read_b32 v69, v66 offset:4
	v_mov_b32_e32 v66, v64
.LBB7_18:                               ;   in Loop: Header=BB7_2 Depth=1
	s_or_b64 exec, exec, s[28:29]
	v_add_u32_e32 v70, 1, v68
	v_cndmask_b32_e64 v64, v64, v65, s[26:27]
	v_add_u32_e32 v65, 1, v67
	v_cndmask_b32_e64 v70, v70, v68, s[26:27]
	v_cndmask_b32_e64 v56, v58, v56, s[22:23]
	;; [unrolled: 1-line block ×9, first 2 shown]
	v_cmp_ge_i32_e64 s[12:13], v70, v14
	s_waitcnt lgkmcnt(0)
	v_cmp_lt_i32_e64 s[14:15], v69, v66
	v_cndmask_b32_e64 v53, v58, v52, s[16:17]
	v_cndmask_b32_e64 v52, v52, v58, s[16:17]
	;; [unrolled: 1-line block ×4, first 2 shown]
	v_cmp_lt_i32_e64 s[10:11], v65, v15
	s_or_b64 s[12:13], s[12:13], s[14:15]
	v_cndmask_b32_e64 v67, v68, v67, s[26:27]
	v_cndmask_b32_e64 v60, v61, v60, s[24:25]
	;; [unrolled: 1-line block ×5, first 2 shown]
	s_and_b64 s[10:11], s[10:11], s[12:13]
	v_cndmask_b32_e64 v54, v70, v65, s[10:11]
	s_waitcnt lgkmcnt(0)
	; wave barrier
	ds_write2_b32 v3, v53, v52 offset1:1
	ds_write2_b32 v3, v55, v58 offset0:2 offset1:3
	v_lshlrev_b32_e32 v52, 2, v56
	v_lshlrev_b32_e32 v53, 2, v61
	;; [unrolled: 1-line block ×3, first 2 shown]
	s_waitcnt lgkmcnt(0)
	; wave barrier
	s_waitcnt lgkmcnt(0)
	v_lshlrev_b32_e32 v56, 2, v54
	ds_read_b32 v52, v52
	ds_read_b32 v53, v53
	;; [unrolled: 1-line block ×4, first 2 shown]
	v_cndmask_b32_e64 v57, v57, v59, s[22:23]
	v_mov_b32_e32 v58, v44
	v_cndmask_b32_e64 v59, v66, v69, s[10:11]
	s_waitcnt lgkmcnt(0)
	; wave barrier
	s_waitcnt lgkmcnt(0)
	ds_write2_b32 v3, v57, v60 offset1:1
	ds_write2_b32 v3, v64, v59 offset0:2 offset1:3
	s_waitcnt lgkmcnt(0)
	; wave barrier
	s_waitcnt lgkmcnt(0)
	s_and_saveexec_b64 s[12:13], s[0:1]
	s_cbranch_execz .LBB7_22
; %bb.19:                               ;   in Loop: Header=BB7_2 Depth=1
	s_mov_b64 s[14:15], 0
	v_mov_b32_e32 v58, v44
	v_mov_b32_e32 v56, v39
.LBB7_20:                               ;   Parent Loop BB7_2 Depth=1
                                        ; =>  This Inner Loop Header: Depth=2
	v_sub_u32_e32 v57, v56, v58
	v_lshrrev_b32_e32 v59, 31, v57
	v_add_u32_e32 v57, v57, v59
	v_ashrrev_i32_e32 v57, 1, v57
	v_add_u32_e32 v57, v57, v58
	v_xad_u32 v60, v57, -1, v7
	v_lshl_add_u32 v59, v57, 2, v19
	v_lshl_add_u32 v60, v60, 2, v31
	ds_read_b32 v59, v59
	ds_read_b32 v60, v60
	v_add_u32_e32 v61, 1, v57
	s_waitcnt lgkmcnt(0)
	v_cmp_lt_i32_e64 s[10:11], v60, v59
	s_nop 1
	v_cndmask_b32_e64 v56, v56, v57, s[10:11]
	v_cndmask_b32_e64 v58, v61, v58, s[10:11]
	v_cmp_ge_i32_e64 s[10:11], v58, v56
	s_or_b64 s[14:15], s[10:11], s[14:15]
	s_andn2_b64 exec, exec, s[14:15]
	s_cbranch_execnz .LBB7_20
; %bb.21:                               ;   in Loop: Header=BB7_2 Depth=1
	s_or_b64 exec, exec, s[14:15]
.LBB7_22:                               ;   in Loop: Header=BB7_2 Depth=1
	s_or_b64 exec, exec, s[12:13]
	v_sub_u32_e32 v56, v32, v58
	v_lshl_add_u32 v63, v58, 2, v19
	v_lshlrev_b32_e32 v62, 2, v56
	ds_read_b32 v57, v63
	ds_read_b32 v59, v62
	v_add_u32_e32 v58, v58, v6
	v_cmp_le_i32_e64 s[12:13], v17, v58
	v_cmp_gt_i32_e64 s[10:11], v18, v56
                                        ; implicit-def: $vgpr60
                                        ; implicit-def: $vgpr61
	s_waitcnt lgkmcnt(0)
	v_cmp_lt_i32_e64 s[14:15], v59, v57
	s_or_b64 s[12:13], s[12:13], s[14:15]
	s_and_b64 s[10:11], s[10:11], s[12:13]
	s_xor_b64 s[12:13], s[10:11], -1
	s_and_saveexec_b64 s[14:15], s[12:13]
	s_xor_b64 s[12:13], exec, s[14:15]
	s_cbranch_execz .LBB7_24
; %bb.23:                               ;   in Loop: Header=BB7_2 Depth=1
	ds_read_b32 v61, v63 offset:4
	v_mov_b32_e32 v60, v59
                                        ; implicit-def: $vgpr62
.LBB7_24:                               ;   in Loop: Header=BB7_2 Depth=1
	s_andn2_saveexec_b64 s[12:13], s[12:13]
	s_cbranch_execz .LBB7_26
; %bb.25:                               ;   in Loop: Header=BB7_2 Depth=1
	ds_read_b32 v60, v62 offset:4
	s_waitcnt lgkmcnt(1)
	v_mov_b32_e32 v61, v57
.LBB7_26:                               ;   in Loop: Header=BB7_2 Depth=1
	s_or_b64 exec, exec, s[12:13]
	v_add_u32_e32 v63, 1, v58
	v_add_u32_e32 v62, 1, v56
	v_cndmask_b32_e64 v63, v63, v58, s[10:11]
	v_cndmask_b32_e64 v62, v56, v62, s[10:11]
	v_cmp_ge_i32_e64 s[14:15], v63, v17
	s_waitcnt lgkmcnt(0)
	v_cmp_lt_i32_e64 s[16:17], v60, v61
	v_cmp_lt_i32_e64 s[12:13], v62, v18
	s_or_b64 s[14:15], s[14:15], s[16:17]
	s_and_b64 s[12:13], s[12:13], s[14:15]
	s_xor_b64 s[14:15], s[12:13], -1
                                        ; implicit-def: $vgpr64
	s_and_saveexec_b64 s[16:17], s[14:15]
	s_xor_b64 s[14:15], exec, s[16:17]
	s_cbranch_execz .LBB7_28
; %bb.27:                               ;   in Loop: Header=BB7_2 Depth=1
	v_lshlrev_b32_e32 v64, 2, v63
	ds_read_b32 v64, v64 offset:4
.LBB7_28:                               ;   in Loop: Header=BB7_2 Depth=1
	s_or_saveexec_b64 s[14:15], s[14:15]
	v_mov_b32_e32 v65, v60
	s_xor_b64 exec, exec, s[14:15]
	s_cbranch_execz .LBB7_30
; %bb.29:                               ;   in Loop: Header=BB7_2 Depth=1
	s_waitcnt lgkmcnt(0)
	v_lshlrev_b32_e32 v64, 2, v62
	ds_read_b32 v65, v64 offset:4
	v_mov_b32_e32 v64, v61
.LBB7_30:                               ;   in Loop: Header=BB7_2 Depth=1
	s_or_b64 exec, exec, s[14:15]
	v_add_u32_e32 v67, 1, v63
	v_add_u32_e32 v66, 1, v62
	v_cndmask_b32_e64 v67, v67, v63, s[12:13]
	v_cndmask_b32_e64 v66, v62, v66, s[12:13]
	v_cmp_ge_i32_e64 s[16:17], v67, v17
	s_waitcnt lgkmcnt(0)
	v_cmp_lt_i32_e64 s[18:19], v65, v64
	v_cmp_lt_i32_e64 s[14:15], v66, v18
	s_or_b64 s[16:17], s[16:17], s[18:19]
	s_and_b64 s[14:15], s[14:15], s[16:17]
	s_xor_b64 s[16:17], s[14:15], -1
                                        ; implicit-def: $vgpr68
	s_and_saveexec_b64 s[18:19], s[16:17]
	s_xor_b64 s[16:17], exec, s[18:19]
	s_cbranch_execz .LBB7_32
; %bb.31:                               ;   in Loop: Header=BB7_2 Depth=1
	v_lshlrev_b32_e32 v68, 2, v67
	ds_read_b32 v68, v68 offset:4
.LBB7_32:                               ;   in Loop: Header=BB7_2 Depth=1
	s_or_saveexec_b64 s[16:17], s[16:17]
	v_mov_b32_e32 v69, v65
	s_xor_b64 exec, exec, s[16:17]
	s_cbranch_execz .LBB7_34
; %bb.33:                               ;   in Loop: Header=BB7_2 Depth=1
	s_waitcnt lgkmcnt(0)
	v_lshlrev_b32_e32 v68, 2, v66
	ds_read_b32 v69, v68 offset:4
	v_mov_b32_e32 v68, v64
.LBB7_34:                               ;   in Loop: Header=BB7_2 Depth=1
	s_or_b64 exec, exec, s[16:17]
	v_add_u32_e32 v70, 1, v67
	v_cndmask_b32_e64 v64, v64, v65, s[14:15]
	v_add_u32_e32 v65, 1, v66
	v_cndmask_b32_e64 v70, v70, v67, s[14:15]
	v_cndmask_b32_e64 v65, v66, v65, s[14:15]
	;; [unrolled: 1-line block ×5, first 2 shown]
	v_cmp_ge_i32_e64 s[12:13], v70, v17
	s_waitcnt lgkmcnt(0)
	v_cmp_lt_i32_e64 s[14:15], v69, v68
	v_cndmask_b32_e64 v57, v57, v59, s[10:11]
	v_cndmask_b32_e64 v56, v58, v56, s[10:11]
	v_cmp_lt_i32_e64 s[10:11], v65, v18
	s_or_b64 s[12:13], s[12:13], s[14:15]
	s_and_b64 s[10:11], s[10:11], s[12:13]
	v_cndmask_b32_e64 v59, v70, v65, s[10:11]
	s_waitcnt lgkmcnt(0)
	; wave barrier
	ds_write2_b32 v3, v52, v53 offset1:1
	ds_write2_b32 v3, v54, v55 offset0:2 offset1:3
	v_lshlrev_b32_e32 v52, 2, v56
	v_lshlrev_b32_e32 v53, 2, v61
	;; [unrolled: 1-line block ×4, first 2 shown]
	s_waitcnt lgkmcnt(0)
	; wave barrier
	s_waitcnt lgkmcnt(0)
	ds_read_b32 v52, v52
	ds_read_b32 v53, v53
	;; [unrolled: 1-line block ×4, first 2 shown]
	v_cndmask_b32_e64 v58, v68, v69, s[10:11]
	s_waitcnt lgkmcnt(0)
	; wave barrier
	s_waitcnt lgkmcnt(0)
	ds_write2_b32 v3, v57, v60 offset1:1
	ds_write2_b32 v3, v64, v58 offset0:2 offset1:3
	v_mov_b32_e32 v58, v45
	s_waitcnt lgkmcnt(0)
	; wave barrier
	s_waitcnt lgkmcnt(0)
	s_and_saveexec_b64 s[12:13], s[2:3]
	s_cbranch_execz .LBB7_38
; %bb.35:                               ;   in Loop: Header=BB7_2 Depth=1
	s_mov_b64 s[14:15], 0
	v_mov_b32_e32 v58, v45
	v_mov_b32_e32 v56, v40
.LBB7_36:                               ;   Parent Loop BB7_2 Depth=1
                                        ; =>  This Inner Loop Header: Depth=2
	v_sub_u32_e32 v57, v56, v58
	v_lshrrev_b32_e32 v59, 31, v57
	v_add_u32_e32 v57, v57, v59
	v_ashrrev_i32_e32 v57, 1, v57
	v_add_u32_e32 v57, v57, v58
	v_xad_u32 v60, v57, -1, v9
	v_lshl_add_u32 v59, v57, 2, v22
	v_lshl_add_u32 v60, v60, 2, v33
	ds_read_b32 v59, v59
	ds_read_b32 v60, v60
	v_add_u32_e32 v61, 1, v57
	s_waitcnt lgkmcnt(0)
	v_cmp_lt_i32_e64 s[10:11], v60, v59
	s_nop 1
	v_cndmask_b32_e64 v56, v56, v57, s[10:11]
	v_cndmask_b32_e64 v58, v61, v58, s[10:11]
	v_cmp_ge_i32_e64 s[10:11], v58, v56
	s_or_b64 s[14:15], s[10:11], s[14:15]
	s_andn2_b64 exec, exec, s[14:15]
	s_cbranch_execnz .LBB7_36
; %bb.37:                               ;   in Loop: Header=BB7_2 Depth=1
	s_or_b64 exec, exec, s[14:15]
.LBB7_38:                               ;   in Loop: Header=BB7_2 Depth=1
	s_or_b64 exec, exec, s[12:13]
	v_sub_u32_e32 v56, v34, v58
	v_lshl_add_u32 v63, v58, 2, v22
	v_lshlrev_b32_e32 v62, 2, v56
	ds_read_b32 v57, v63
	ds_read_b32 v59, v62
	v_add_u32_e32 v58, v58, v8
	v_cmp_le_i32_e64 s[12:13], v20, v58
	v_cmp_gt_i32_e64 s[10:11], v21, v56
                                        ; implicit-def: $vgpr60
                                        ; implicit-def: $vgpr61
	s_waitcnt lgkmcnt(0)
	v_cmp_lt_i32_e64 s[14:15], v59, v57
	s_or_b64 s[12:13], s[12:13], s[14:15]
	s_and_b64 s[10:11], s[10:11], s[12:13]
	s_xor_b64 s[12:13], s[10:11], -1
	s_and_saveexec_b64 s[14:15], s[12:13]
	s_xor_b64 s[12:13], exec, s[14:15]
	s_cbranch_execz .LBB7_40
; %bb.39:                               ;   in Loop: Header=BB7_2 Depth=1
	ds_read_b32 v61, v63 offset:4
	v_mov_b32_e32 v60, v59
                                        ; implicit-def: $vgpr62
.LBB7_40:                               ;   in Loop: Header=BB7_2 Depth=1
	s_andn2_saveexec_b64 s[12:13], s[12:13]
	s_cbranch_execz .LBB7_42
; %bb.41:                               ;   in Loop: Header=BB7_2 Depth=1
	ds_read_b32 v60, v62 offset:4
	s_waitcnt lgkmcnt(1)
	v_mov_b32_e32 v61, v57
.LBB7_42:                               ;   in Loop: Header=BB7_2 Depth=1
	s_or_b64 exec, exec, s[12:13]
	v_add_u32_e32 v63, 1, v58
	v_add_u32_e32 v62, 1, v56
	v_cndmask_b32_e64 v63, v63, v58, s[10:11]
	v_cndmask_b32_e64 v62, v56, v62, s[10:11]
	v_cmp_ge_i32_e64 s[14:15], v63, v20
	s_waitcnt lgkmcnt(0)
	v_cmp_lt_i32_e64 s[16:17], v60, v61
	v_cmp_lt_i32_e64 s[12:13], v62, v21
	s_or_b64 s[14:15], s[14:15], s[16:17]
	s_and_b64 s[12:13], s[12:13], s[14:15]
	s_xor_b64 s[14:15], s[12:13], -1
                                        ; implicit-def: $vgpr64
	s_and_saveexec_b64 s[16:17], s[14:15]
	s_xor_b64 s[14:15], exec, s[16:17]
	s_cbranch_execz .LBB7_44
; %bb.43:                               ;   in Loop: Header=BB7_2 Depth=1
	v_lshlrev_b32_e32 v64, 2, v63
	ds_read_b32 v64, v64 offset:4
.LBB7_44:                               ;   in Loop: Header=BB7_2 Depth=1
	s_or_saveexec_b64 s[14:15], s[14:15]
	v_mov_b32_e32 v65, v60
	s_xor_b64 exec, exec, s[14:15]
	s_cbranch_execz .LBB7_46
; %bb.45:                               ;   in Loop: Header=BB7_2 Depth=1
	s_waitcnt lgkmcnt(0)
	v_lshlrev_b32_e32 v64, 2, v62
	ds_read_b32 v65, v64 offset:4
	v_mov_b32_e32 v64, v61
.LBB7_46:                               ;   in Loop: Header=BB7_2 Depth=1
	s_or_b64 exec, exec, s[14:15]
	v_add_u32_e32 v67, 1, v63
	v_add_u32_e32 v66, 1, v62
	v_cndmask_b32_e64 v67, v67, v63, s[12:13]
	v_cndmask_b32_e64 v66, v62, v66, s[12:13]
	v_cmp_ge_i32_e64 s[16:17], v67, v20
	s_waitcnt lgkmcnt(0)
	v_cmp_lt_i32_e64 s[18:19], v65, v64
	v_cmp_lt_i32_e64 s[14:15], v66, v21
	s_or_b64 s[16:17], s[16:17], s[18:19]
	s_and_b64 s[14:15], s[14:15], s[16:17]
	s_xor_b64 s[16:17], s[14:15], -1
                                        ; implicit-def: $vgpr68
	s_and_saveexec_b64 s[18:19], s[16:17]
	s_xor_b64 s[16:17], exec, s[18:19]
	s_cbranch_execz .LBB7_48
; %bb.47:                               ;   in Loop: Header=BB7_2 Depth=1
	v_lshlrev_b32_e32 v68, 2, v67
	ds_read_b32 v68, v68 offset:4
.LBB7_48:                               ;   in Loop: Header=BB7_2 Depth=1
	s_or_saveexec_b64 s[16:17], s[16:17]
	v_mov_b32_e32 v69, v65
	s_xor_b64 exec, exec, s[16:17]
	s_cbranch_execz .LBB7_50
; %bb.49:                               ;   in Loop: Header=BB7_2 Depth=1
	s_waitcnt lgkmcnt(0)
	v_lshlrev_b32_e32 v68, 2, v66
	ds_read_b32 v69, v68 offset:4
	v_mov_b32_e32 v68, v64
.LBB7_50:                               ;   in Loop: Header=BB7_2 Depth=1
	s_or_b64 exec, exec, s[16:17]
	v_add_u32_e32 v70, 1, v67
	v_cndmask_b32_e64 v64, v64, v65, s[14:15]
	v_add_u32_e32 v65, 1, v66
	v_cndmask_b32_e64 v70, v70, v67, s[14:15]
	v_cndmask_b32_e64 v65, v66, v65, s[14:15]
	;; [unrolled: 1-line block ×5, first 2 shown]
	v_cmp_ge_i32_e64 s[12:13], v70, v20
	s_waitcnt lgkmcnt(0)
	v_cmp_lt_i32_e64 s[14:15], v69, v68
	v_cndmask_b32_e64 v57, v57, v59, s[10:11]
	v_cndmask_b32_e64 v56, v58, v56, s[10:11]
	v_cmp_lt_i32_e64 s[10:11], v65, v21
	s_or_b64 s[12:13], s[12:13], s[14:15]
	s_and_b64 s[10:11], s[10:11], s[12:13]
	v_cndmask_b32_e64 v59, v70, v65, s[10:11]
	s_waitcnt lgkmcnt(0)
	; wave barrier
	ds_write2_b32 v3, v52, v53 offset1:1
	ds_write2_b32 v3, v54, v55 offset0:2 offset1:3
	v_lshlrev_b32_e32 v52, 2, v56
	v_lshlrev_b32_e32 v53, 2, v61
	;; [unrolled: 1-line block ×4, first 2 shown]
	s_waitcnt lgkmcnt(0)
	; wave barrier
	s_waitcnt lgkmcnt(0)
	ds_read_b32 v52, v52
	ds_read_b32 v53, v53
	;; [unrolled: 1-line block ×4, first 2 shown]
	v_cndmask_b32_e64 v58, v68, v69, s[10:11]
	s_waitcnt lgkmcnt(0)
	; wave barrier
	s_waitcnt lgkmcnt(0)
	ds_write2_b32 v3, v57, v60 offset1:1
	ds_write2_b32 v3, v64, v58 offset0:2 offset1:3
	v_mov_b32_e32 v58, v46
	s_waitcnt lgkmcnt(0)
	; wave barrier
	s_waitcnt lgkmcnt(0)
	s_and_saveexec_b64 s[12:13], s[4:5]
	s_cbranch_execz .LBB7_54
; %bb.51:                               ;   in Loop: Header=BB7_2 Depth=1
	s_mov_b64 s[14:15], 0
	v_mov_b32_e32 v58, v46
	v_mov_b32_e32 v56, v41
.LBB7_52:                               ;   Parent Loop BB7_2 Depth=1
                                        ; =>  This Inner Loop Header: Depth=2
	v_sub_u32_e32 v57, v56, v58
	v_lshrrev_b32_e32 v59, 31, v57
	v_add_u32_e32 v57, v57, v59
	v_ashrrev_i32_e32 v57, 1, v57
	v_add_u32_e32 v57, v57, v58
	v_xad_u32 v60, v57, -1, v11
	v_lshl_add_u32 v59, v57, 2, v25
	v_lshl_add_u32 v60, v60, 2, v35
	ds_read_b32 v59, v59
	ds_read_b32 v60, v60
	v_add_u32_e32 v61, 1, v57
	s_waitcnt lgkmcnt(0)
	v_cmp_lt_i32_e64 s[10:11], v60, v59
	s_nop 1
	v_cndmask_b32_e64 v56, v56, v57, s[10:11]
	v_cndmask_b32_e64 v58, v61, v58, s[10:11]
	v_cmp_ge_i32_e64 s[10:11], v58, v56
	s_or_b64 s[14:15], s[10:11], s[14:15]
	s_andn2_b64 exec, exec, s[14:15]
	s_cbranch_execnz .LBB7_52
; %bb.53:                               ;   in Loop: Header=BB7_2 Depth=1
	s_or_b64 exec, exec, s[14:15]
.LBB7_54:                               ;   in Loop: Header=BB7_2 Depth=1
	s_or_b64 exec, exec, s[12:13]
	v_sub_u32_e32 v56, v36, v58
	v_lshl_add_u32 v63, v58, 2, v25
	v_lshlrev_b32_e32 v62, 2, v56
	ds_read_b32 v57, v63
	ds_read_b32 v59, v62
	v_add_u32_e32 v58, v58, v10
	v_cmp_le_i32_e64 s[12:13], v23, v58
	v_cmp_gt_i32_e64 s[10:11], v24, v56
                                        ; implicit-def: $vgpr60
                                        ; implicit-def: $vgpr61
	s_waitcnt lgkmcnt(0)
	v_cmp_lt_i32_e64 s[14:15], v59, v57
	s_or_b64 s[12:13], s[12:13], s[14:15]
	s_and_b64 s[10:11], s[10:11], s[12:13]
	s_xor_b64 s[12:13], s[10:11], -1
	s_and_saveexec_b64 s[14:15], s[12:13]
	s_xor_b64 s[12:13], exec, s[14:15]
	s_cbranch_execz .LBB7_56
; %bb.55:                               ;   in Loop: Header=BB7_2 Depth=1
	ds_read_b32 v61, v63 offset:4
	v_mov_b32_e32 v60, v59
                                        ; implicit-def: $vgpr62
.LBB7_56:                               ;   in Loop: Header=BB7_2 Depth=1
	s_andn2_saveexec_b64 s[12:13], s[12:13]
	s_cbranch_execz .LBB7_58
; %bb.57:                               ;   in Loop: Header=BB7_2 Depth=1
	ds_read_b32 v60, v62 offset:4
	s_waitcnt lgkmcnt(1)
	v_mov_b32_e32 v61, v57
.LBB7_58:                               ;   in Loop: Header=BB7_2 Depth=1
	s_or_b64 exec, exec, s[12:13]
	v_add_u32_e32 v63, 1, v58
	v_add_u32_e32 v62, 1, v56
	v_cndmask_b32_e64 v63, v63, v58, s[10:11]
	v_cndmask_b32_e64 v62, v56, v62, s[10:11]
	v_cmp_ge_i32_e64 s[14:15], v63, v23
	s_waitcnt lgkmcnt(0)
	v_cmp_lt_i32_e64 s[16:17], v60, v61
	v_cmp_lt_i32_e64 s[12:13], v62, v24
	s_or_b64 s[14:15], s[14:15], s[16:17]
	s_and_b64 s[12:13], s[12:13], s[14:15]
	s_xor_b64 s[14:15], s[12:13], -1
                                        ; implicit-def: $vgpr64
	s_and_saveexec_b64 s[16:17], s[14:15]
	s_xor_b64 s[14:15], exec, s[16:17]
	s_cbranch_execz .LBB7_60
; %bb.59:                               ;   in Loop: Header=BB7_2 Depth=1
	v_lshlrev_b32_e32 v64, 2, v63
	ds_read_b32 v64, v64 offset:4
.LBB7_60:                               ;   in Loop: Header=BB7_2 Depth=1
	s_or_saveexec_b64 s[14:15], s[14:15]
	v_mov_b32_e32 v65, v60
	s_xor_b64 exec, exec, s[14:15]
	s_cbranch_execz .LBB7_62
; %bb.61:                               ;   in Loop: Header=BB7_2 Depth=1
	s_waitcnt lgkmcnt(0)
	v_lshlrev_b32_e32 v64, 2, v62
	ds_read_b32 v65, v64 offset:4
	v_mov_b32_e32 v64, v61
.LBB7_62:                               ;   in Loop: Header=BB7_2 Depth=1
	s_or_b64 exec, exec, s[14:15]
	v_add_u32_e32 v67, 1, v63
	v_add_u32_e32 v66, 1, v62
	v_cndmask_b32_e64 v67, v67, v63, s[12:13]
	v_cndmask_b32_e64 v66, v62, v66, s[12:13]
	v_cmp_ge_i32_e64 s[16:17], v67, v23
	s_waitcnt lgkmcnt(0)
	v_cmp_lt_i32_e64 s[18:19], v65, v64
	v_cmp_lt_i32_e64 s[14:15], v66, v24
	s_or_b64 s[16:17], s[16:17], s[18:19]
	s_and_b64 s[14:15], s[14:15], s[16:17]
	s_xor_b64 s[16:17], s[14:15], -1
                                        ; implicit-def: $vgpr68
	s_and_saveexec_b64 s[18:19], s[16:17]
	s_xor_b64 s[16:17], exec, s[18:19]
	s_cbranch_execz .LBB7_64
; %bb.63:                               ;   in Loop: Header=BB7_2 Depth=1
	v_lshlrev_b32_e32 v68, 2, v67
	ds_read_b32 v68, v68 offset:4
.LBB7_64:                               ;   in Loop: Header=BB7_2 Depth=1
	s_or_saveexec_b64 s[16:17], s[16:17]
	v_mov_b32_e32 v69, v65
	s_xor_b64 exec, exec, s[16:17]
	s_cbranch_execz .LBB7_66
; %bb.65:                               ;   in Loop: Header=BB7_2 Depth=1
	s_waitcnt lgkmcnt(0)
	v_lshlrev_b32_e32 v68, 2, v66
	ds_read_b32 v69, v68 offset:4
	v_mov_b32_e32 v68, v64
.LBB7_66:                               ;   in Loop: Header=BB7_2 Depth=1
	s_or_b64 exec, exec, s[16:17]
	v_add_u32_e32 v70, 1, v67
	v_cndmask_b32_e64 v64, v64, v65, s[14:15]
	v_add_u32_e32 v65, 1, v66
	v_cndmask_b32_e64 v70, v70, v67, s[14:15]
	v_cndmask_b32_e64 v65, v66, v65, s[14:15]
	;; [unrolled: 1-line block ×5, first 2 shown]
	v_cmp_ge_i32_e64 s[12:13], v70, v23
	s_waitcnt lgkmcnt(0)
	v_cmp_lt_i32_e64 s[14:15], v69, v68
	v_cndmask_b32_e64 v57, v57, v59, s[10:11]
	v_cndmask_b32_e64 v56, v58, v56, s[10:11]
	v_cmp_lt_i32_e64 s[10:11], v65, v24
	s_or_b64 s[12:13], s[12:13], s[14:15]
	s_and_b64 s[10:11], s[10:11], s[12:13]
	v_cndmask_b32_e64 v59, v70, v65, s[10:11]
	s_waitcnt lgkmcnt(0)
	; wave barrier
	ds_write2_b32 v3, v52, v53 offset1:1
	ds_write2_b32 v3, v54, v55 offset0:2 offset1:3
	v_lshlrev_b32_e32 v52, 2, v56
	v_lshlrev_b32_e32 v53, 2, v61
	;; [unrolled: 1-line block ×4, first 2 shown]
	s_waitcnt lgkmcnt(0)
	; wave barrier
	s_waitcnt lgkmcnt(0)
	ds_read_b32 v52, v52
	ds_read_b32 v53, v53
	;; [unrolled: 1-line block ×4, first 2 shown]
	v_cndmask_b32_e64 v58, v68, v69, s[10:11]
	s_waitcnt lgkmcnt(0)
	; wave barrier
	s_waitcnt lgkmcnt(0)
	ds_write2_b32 v3, v57, v60 offset1:1
	ds_write2_b32 v3, v64, v58 offset0:2 offset1:3
	v_mov_b32_e32 v58, v47
	s_waitcnt lgkmcnt(0)
	; wave barrier
	s_waitcnt lgkmcnt(0)
	s_and_saveexec_b64 s[12:13], s[6:7]
	s_cbranch_execz .LBB7_70
; %bb.67:                               ;   in Loop: Header=BB7_2 Depth=1
	s_mov_b64 s[14:15], 0
	v_mov_b32_e32 v58, v47
	v_mov_b32_e32 v56, v42
.LBB7_68:                               ;   Parent Loop BB7_2 Depth=1
                                        ; =>  This Inner Loop Header: Depth=2
	v_sub_u32_e32 v57, v56, v58
	v_lshrrev_b32_e32 v59, 31, v57
	v_add_u32_e32 v57, v57, v59
	v_ashrrev_i32_e32 v57, 1, v57
	v_add_u32_e32 v57, v57, v58
	v_xad_u32 v60, v57, -1, v13
	v_lshl_add_u32 v59, v57, 2, v28
	v_lshl_add_u32 v60, v60, 2, v37
	ds_read_b32 v59, v59
	ds_read_b32 v60, v60
	v_add_u32_e32 v61, 1, v57
	s_waitcnt lgkmcnt(0)
	v_cmp_lt_i32_e64 s[10:11], v60, v59
	s_nop 1
	v_cndmask_b32_e64 v56, v56, v57, s[10:11]
	v_cndmask_b32_e64 v58, v61, v58, s[10:11]
	v_cmp_ge_i32_e64 s[10:11], v58, v56
	s_or_b64 s[14:15], s[10:11], s[14:15]
	s_andn2_b64 exec, exec, s[14:15]
	s_cbranch_execnz .LBB7_68
; %bb.69:                               ;   in Loop: Header=BB7_2 Depth=1
	s_or_b64 exec, exec, s[14:15]
.LBB7_70:                               ;   in Loop: Header=BB7_2 Depth=1
	s_or_b64 exec, exec, s[12:13]
	v_sub_u32_e32 v56, v48, v58
	v_lshl_add_u32 v63, v58, 2, v28
	v_lshlrev_b32_e32 v62, 2, v56
	ds_read_b32 v57, v63
	ds_read_b32 v59, v62
	v_add_u32_e32 v58, v58, v12
	v_cmp_le_i32_e64 s[12:13], v26, v58
	v_cmp_gt_i32_e64 s[10:11], v27, v56
                                        ; implicit-def: $vgpr60
                                        ; implicit-def: $vgpr61
	s_waitcnt lgkmcnt(0)
	v_cmp_lt_i32_e64 s[14:15], v59, v57
	s_or_b64 s[12:13], s[12:13], s[14:15]
	s_and_b64 s[10:11], s[10:11], s[12:13]
	s_xor_b64 s[12:13], s[10:11], -1
	s_and_saveexec_b64 s[14:15], s[12:13]
	s_xor_b64 s[12:13], exec, s[14:15]
	s_cbranch_execz .LBB7_72
; %bb.71:                               ;   in Loop: Header=BB7_2 Depth=1
	ds_read_b32 v61, v63 offset:4
	v_mov_b32_e32 v60, v59
                                        ; implicit-def: $vgpr62
.LBB7_72:                               ;   in Loop: Header=BB7_2 Depth=1
	s_andn2_saveexec_b64 s[12:13], s[12:13]
	s_cbranch_execz .LBB7_74
; %bb.73:                               ;   in Loop: Header=BB7_2 Depth=1
	ds_read_b32 v60, v62 offset:4
	s_waitcnt lgkmcnt(1)
	v_mov_b32_e32 v61, v57
.LBB7_74:                               ;   in Loop: Header=BB7_2 Depth=1
	s_or_b64 exec, exec, s[12:13]
	v_add_u32_e32 v63, 1, v58
	v_add_u32_e32 v62, 1, v56
	v_cndmask_b32_e64 v63, v63, v58, s[10:11]
	v_cndmask_b32_e64 v62, v56, v62, s[10:11]
	v_cmp_ge_i32_e64 s[14:15], v63, v26
	s_waitcnt lgkmcnt(0)
	v_cmp_lt_i32_e64 s[16:17], v60, v61
	v_cmp_lt_i32_e64 s[12:13], v62, v27
	s_or_b64 s[14:15], s[14:15], s[16:17]
	s_and_b64 s[12:13], s[12:13], s[14:15]
	s_xor_b64 s[14:15], s[12:13], -1
                                        ; implicit-def: $vgpr64
	s_and_saveexec_b64 s[16:17], s[14:15]
	s_xor_b64 s[14:15], exec, s[16:17]
	s_cbranch_execz .LBB7_76
; %bb.75:                               ;   in Loop: Header=BB7_2 Depth=1
	v_lshlrev_b32_e32 v64, 2, v63
	ds_read_b32 v64, v64 offset:4
.LBB7_76:                               ;   in Loop: Header=BB7_2 Depth=1
	s_or_saveexec_b64 s[14:15], s[14:15]
	v_mov_b32_e32 v65, v60
	s_xor_b64 exec, exec, s[14:15]
	s_cbranch_execz .LBB7_78
; %bb.77:                               ;   in Loop: Header=BB7_2 Depth=1
	s_waitcnt lgkmcnt(0)
	v_lshlrev_b32_e32 v64, 2, v62
	ds_read_b32 v65, v64 offset:4
	v_mov_b32_e32 v64, v61
.LBB7_78:                               ;   in Loop: Header=BB7_2 Depth=1
	s_or_b64 exec, exec, s[14:15]
	v_add_u32_e32 v67, 1, v63
	v_add_u32_e32 v66, 1, v62
	v_cndmask_b32_e64 v67, v67, v63, s[12:13]
	v_cndmask_b32_e64 v66, v62, v66, s[12:13]
	v_cmp_ge_i32_e64 s[16:17], v67, v26
	s_waitcnt lgkmcnt(0)
	v_cmp_lt_i32_e64 s[18:19], v65, v64
	v_cmp_lt_i32_e64 s[14:15], v66, v27
	s_or_b64 s[16:17], s[16:17], s[18:19]
	s_and_b64 s[14:15], s[14:15], s[16:17]
	s_xor_b64 s[16:17], s[14:15], -1
                                        ; implicit-def: $vgpr68
	s_and_saveexec_b64 s[18:19], s[16:17]
	s_xor_b64 s[16:17], exec, s[18:19]
	s_cbranch_execz .LBB7_80
; %bb.79:                               ;   in Loop: Header=BB7_2 Depth=1
	v_lshlrev_b32_e32 v68, 2, v67
	ds_read_b32 v68, v68 offset:4
.LBB7_80:                               ;   in Loop: Header=BB7_2 Depth=1
	s_or_saveexec_b64 s[16:17], s[16:17]
	v_mov_b32_e32 v69, v65
	s_xor_b64 exec, exec, s[16:17]
	s_cbranch_execz .LBB7_82
; %bb.81:                               ;   in Loop: Header=BB7_2 Depth=1
	s_waitcnt lgkmcnt(0)
	v_lshlrev_b32_e32 v68, 2, v66
	ds_read_b32 v69, v68 offset:4
	v_mov_b32_e32 v68, v64
.LBB7_82:                               ;   in Loop: Header=BB7_2 Depth=1
	s_or_b64 exec, exec, s[16:17]
	v_add_u32_e32 v70, 1, v67
	v_cndmask_b32_e64 v64, v64, v65, s[14:15]
	v_add_u32_e32 v65, 1, v66
	v_cndmask_b32_e64 v70, v70, v67, s[14:15]
	v_cndmask_b32_e64 v65, v66, v65, s[14:15]
	;; [unrolled: 1-line block ×5, first 2 shown]
	v_cmp_ge_i32_e64 s[12:13], v70, v26
	s_waitcnt lgkmcnt(0)
	v_cmp_lt_i32_e64 s[14:15], v69, v68
	v_cndmask_b32_e64 v57, v57, v59, s[10:11]
	v_cndmask_b32_e64 v56, v58, v56, s[10:11]
	v_cmp_lt_i32_e64 s[10:11], v65, v27
	s_or_b64 s[12:13], s[12:13], s[14:15]
	s_and_b64 s[10:11], s[10:11], s[12:13]
	v_cndmask_b32_e64 v59, v70, v65, s[10:11]
	s_waitcnt lgkmcnt(0)
	; wave barrier
	ds_write2_b32 v3, v52, v53 offset1:1
	ds_write2_b32 v3, v54, v55 offset0:2 offset1:3
	v_lshlrev_b32_e32 v52, 2, v56
	v_lshlrev_b32_e32 v53, 2, v61
	;; [unrolled: 1-line block ×4, first 2 shown]
	s_waitcnt lgkmcnt(0)
	; wave barrier
	s_waitcnt lgkmcnt(0)
	ds_read_b32 v52, v52
	ds_read_b32 v53, v53
	;; [unrolled: 1-line block ×4, first 2 shown]
	v_cndmask_b32_e64 v58, v68, v69, s[10:11]
	s_waitcnt lgkmcnt(0)
	; wave barrier
	s_waitcnt lgkmcnt(0)
	ds_write2_b32 v3, v57, v60 offset1:1
	ds_write2_b32 v3, v64, v58 offset0:2 offset1:3
	v_mov_b32_e32 v57, v49
	s_waitcnt lgkmcnt(0)
	; wave barrier
	s_waitcnt lgkmcnt(0)
	s_and_saveexec_b64 s[12:13], s[8:9]
	s_cbranch_execz .LBB7_86
; %bb.83:                               ;   in Loop: Header=BB7_2 Depth=1
	s_mov_b64 s[14:15], 0
	v_mov_b32_e32 v57, v49
	v_mov_b32_e32 v56, v50
.LBB7_84:                               ;   Parent Loop BB7_2 Depth=1
                                        ; =>  This Inner Loop Header: Depth=2
	v_sub_u32_e32 v58, v56, v57
	v_lshrrev_b32_e32 v59, 31, v58
	v_add_u32_e32 v58, v58, v59
	v_ashrrev_i32_e32 v58, 1, v58
	v_add_u32_e32 v58, v58, v57
	v_xad_u32 v60, v58, -1, v1
	v_mov_b32_e32 v61, 0x200
	v_lshlrev_b32_e32 v59, 2, v58
	v_lshl_add_u32 v60, v60, 2, v61
	ds_read_b32 v59, v59
	ds_read_b32 v60, v60
	v_add_u32_e32 v61, 1, v58
	s_waitcnt lgkmcnt(0)
	v_cmp_lt_i32_e64 s[10:11], v60, v59
	s_nop 1
	v_cndmask_b32_e64 v56, v56, v58, s[10:11]
	v_cndmask_b32_e64 v57, v61, v57, s[10:11]
	v_cmp_ge_i32_e64 s[10:11], v57, v56
	s_or_b64 s[14:15], s[10:11], s[14:15]
	s_andn2_b64 exec, exec, s[14:15]
	s_cbranch_execnz .LBB7_84
; %bb.85:                               ;   in Loop: Header=BB7_2 Depth=1
	s_or_b64 exec, exec, s[14:15]
.LBB7_86:                               ;   in Loop: Header=BB7_2 Depth=1
	s_or_b64 exec, exec, s[12:13]
	v_sub_u32_e32 v60, v51, v57
	v_lshlrev_b32_e32 v63, 2, v57
	v_lshlrev_b32_e32 v62, 2, v60
	ds_read_b32 v56, v63
	ds_read_b32 v61, v62
	v_cmp_le_i32_e64 s[12:13], v2, v57
	v_cmp_gt_i32_e64 s[10:11], s33, v60
                                        ; implicit-def: $vgpr58
                                        ; implicit-def: $vgpr59
	s_waitcnt lgkmcnt(0)
	v_cmp_lt_i32_e64 s[14:15], v61, v56
	s_or_b64 s[12:13], s[12:13], s[14:15]
	s_and_b64 s[10:11], s[10:11], s[12:13]
	s_xor_b64 s[12:13], s[10:11], -1
	s_and_saveexec_b64 s[14:15], s[12:13]
	s_xor_b64 s[12:13], exec, s[14:15]
	s_cbranch_execz .LBB7_88
; %bb.87:                               ;   in Loop: Header=BB7_2 Depth=1
	ds_read_b32 v59, v63 offset:4
	v_mov_b32_e32 v58, v61
                                        ; implicit-def: $vgpr62
.LBB7_88:                               ;   in Loop: Header=BB7_2 Depth=1
	s_andn2_saveexec_b64 s[12:13], s[12:13]
	s_cbranch_execz .LBB7_90
; %bb.89:                               ;   in Loop: Header=BB7_2 Depth=1
	ds_read_b32 v58, v62 offset:4
	s_waitcnt lgkmcnt(1)
	v_mov_b32_e32 v59, v56
.LBB7_90:                               ;   in Loop: Header=BB7_2 Depth=1
	s_or_b64 exec, exec, s[12:13]
	v_add_u32_e32 v63, 1, v57
	v_add_u32_e32 v62, 1, v60
	v_cndmask_b32_e64 v65, v63, v57, s[10:11]
	v_cndmask_b32_e64 v64, v60, v62, s[10:11]
	v_cmp_ge_i32_e64 s[14:15], v65, v2
	s_waitcnt lgkmcnt(0)
	v_cmp_lt_i32_e64 s[16:17], v58, v59
	v_cmp_gt_i32_e64 s[12:13], s33, v64
	s_or_b64 s[14:15], s[14:15], s[16:17]
	s_and_b64 s[12:13], s[12:13], s[14:15]
	s_xor_b64 s[14:15], s[12:13], -1
                                        ; implicit-def: $vgpr62
	s_and_saveexec_b64 s[16:17], s[14:15]
	s_xor_b64 s[14:15], exec, s[16:17]
	s_cbranch_execz .LBB7_92
; %bb.91:                               ;   in Loop: Header=BB7_2 Depth=1
	v_lshlrev_b32_e32 v62, 2, v65
	ds_read_b32 v62, v62 offset:4
.LBB7_92:                               ;   in Loop: Header=BB7_2 Depth=1
	s_or_saveexec_b64 s[14:15], s[14:15]
	v_mov_b32_e32 v63, v58
	s_xor_b64 exec, exec, s[14:15]
	s_cbranch_execz .LBB7_94
; %bb.93:                               ;   in Loop: Header=BB7_2 Depth=1
	s_waitcnt lgkmcnt(0)
	v_lshlrev_b32_e32 v62, 2, v64
	ds_read_b32 v63, v62 offset:4
	v_mov_b32_e32 v62, v59
.LBB7_94:                               ;   in Loop: Header=BB7_2 Depth=1
	s_or_b64 exec, exec, s[14:15]
	v_add_u32_e32 v67, 1, v65
	v_add_u32_e32 v66, 1, v64
	v_cndmask_b32_e64 v69, v67, v65, s[12:13]
	v_cndmask_b32_e64 v66, v64, v66, s[12:13]
	v_cmp_ge_i32_e64 s[16:17], v69, v2
	s_waitcnt lgkmcnt(0)
	v_cmp_lt_i32_e64 s[18:19], v63, v62
	v_cmp_gt_i32_e64 s[14:15], s33, v66
	s_or_b64 s[16:17], s[16:17], s[18:19]
	s_and_b64 s[14:15], s[14:15], s[16:17]
	s_xor_b64 s[16:17], s[14:15], -1
                                        ; implicit-def: $vgpr68
                                        ; implicit-def: $vgpr67
	s_and_saveexec_b64 s[18:19], s[16:17]
	s_xor_b64 s[16:17], exec, s[18:19]
	s_cbranch_execz .LBB7_96
; %bb.95:                               ;   in Loop: Header=BB7_2 Depth=1
	v_lshlrev_b32_e32 v67, 2, v69
	ds_read_b32 v68, v67 offset:4
	v_add_u32_e32 v67, 1, v69
.LBB7_96:                               ;   in Loop: Header=BB7_2 Depth=1
	s_or_saveexec_b64 s[16:17], s[16:17]
	v_mov_b32_e32 v70, v69
	v_mov_b32_e32 v71, v63
	s_xor_b64 exec, exec, s[16:17]
	s_cbranch_execz .LBB7_1
; %bb.97:                               ;   in Loop: Header=BB7_2 Depth=1
	v_lshlrev_b32_e32 v67, 2, v66
	ds_read_b32 v71, v67 offset:4
	s_waitcnt lgkmcnt(1)
	v_add_u32_e32 v68, 1, v66
	v_mov_b32_e32 v70, v66
	v_mov_b32_e32 v67, v69
	;; [unrolled: 1-line block ×4, first 2 shown]
	s_branch .LBB7_1
.LBB7_98:
	s_add_u32 s0, s38, s34
	s_waitcnt lgkmcnt(3)
	v_add_u32_e32 v1, v56, v52
	s_addc_u32 s1, s39, s35
	v_lshlrev_b32_e32 v0, 2, v0
	s_waitcnt lgkmcnt(2)
	v_add_u32_e32 v2, v59, v54
	s_waitcnt lgkmcnt(1)
	v_add_u32_e32 v3, v58, v53
	;; [unrolled: 2-line block ×3, first 2 shown]
	global_store_dword v0, v1, s[0:1]
	global_store_dword v0, v2, s[0:1] offset:256
	global_store_dword v0, v3, s[0:1] offset:512
	;; [unrolled: 1-line block ×3, first 2 shown]
	s_endpgm
	.section	.rodata,"a",@progbits
	.p2align	6, 0x0
	.amdhsa_kernel _Z17sort_pairs_kernelIiLj64ELj4EN10test_utils4lessELj10EEvPKT_PS2_T2_
		.amdhsa_group_segment_fixed_size 1028
		.amdhsa_private_segment_fixed_size 0
		.amdhsa_kernarg_size 20
		.amdhsa_user_sgpr_count 2
		.amdhsa_user_sgpr_dispatch_ptr 0
		.amdhsa_user_sgpr_queue_ptr 0
		.amdhsa_user_sgpr_kernarg_segment_ptr 1
		.amdhsa_user_sgpr_dispatch_id 0
		.amdhsa_user_sgpr_kernarg_preload_length 0
		.amdhsa_user_sgpr_kernarg_preload_offset 0
		.amdhsa_user_sgpr_private_segment_size 0
		.amdhsa_uses_dynamic_stack 0
		.amdhsa_enable_private_segment 0
		.amdhsa_system_sgpr_workgroup_id_x 1
		.amdhsa_system_sgpr_workgroup_id_y 0
		.amdhsa_system_sgpr_workgroup_id_z 0
		.amdhsa_system_sgpr_workgroup_info 0
		.amdhsa_system_vgpr_workitem_id 0
		.amdhsa_next_free_vgpr 72
		.amdhsa_next_free_sgpr 42
		.amdhsa_accum_offset 72
		.amdhsa_reserve_vcc 1
		.amdhsa_float_round_mode_32 0
		.amdhsa_float_round_mode_16_64 0
		.amdhsa_float_denorm_mode_32 3
		.amdhsa_float_denorm_mode_16_64 3
		.amdhsa_dx10_clamp 1
		.amdhsa_ieee_mode 1
		.amdhsa_fp16_overflow 0
		.amdhsa_tg_split 0
		.amdhsa_exception_fp_ieee_invalid_op 0
		.amdhsa_exception_fp_denorm_src 0
		.amdhsa_exception_fp_ieee_div_zero 0
		.amdhsa_exception_fp_ieee_overflow 0
		.amdhsa_exception_fp_ieee_underflow 0
		.amdhsa_exception_fp_ieee_inexact 0
		.amdhsa_exception_int_div_zero 0
	.end_amdhsa_kernel
	.section	.text._Z17sort_pairs_kernelIiLj64ELj4EN10test_utils4lessELj10EEvPKT_PS2_T2_,"axG",@progbits,_Z17sort_pairs_kernelIiLj64ELj4EN10test_utils4lessELj10EEvPKT_PS2_T2_,comdat
.Lfunc_end7:
	.size	_Z17sort_pairs_kernelIiLj64ELj4EN10test_utils4lessELj10EEvPKT_PS2_T2_, .Lfunc_end7-_Z17sort_pairs_kernelIiLj64ELj4EN10test_utils4lessELj10EEvPKT_PS2_T2_
                                        ; -- End function
	.section	.AMDGPU.csdata,"",@progbits
; Kernel info:
; codeLenInByte = 5404
; NumSgprs: 48
; NumVgprs: 72
; NumAgprs: 0
; TotalNumVgprs: 72
; ScratchSize: 0
; MemoryBound: 0
; FloatMode: 240
; IeeeMode: 1
; LDSByteSize: 1028 bytes/workgroup (compile time only)
; SGPRBlocks: 5
; VGPRBlocks: 8
; NumSGPRsForWavesPerEU: 48
; NumVGPRsForWavesPerEU: 72
; AccumOffset: 72
; Occupancy: 7
; WaveLimiterHint : 1
; COMPUTE_PGM_RSRC2:SCRATCH_EN: 0
; COMPUTE_PGM_RSRC2:USER_SGPR: 2
; COMPUTE_PGM_RSRC2:TRAP_HANDLER: 0
; COMPUTE_PGM_RSRC2:TGID_X_EN: 1
; COMPUTE_PGM_RSRC2:TGID_Y_EN: 0
; COMPUTE_PGM_RSRC2:TGID_Z_EN: 0
; COMPUTE_PGM_RSRC2:TIDIG_COMP_CNT: 0
; COMPUTE_PGM_RSRC3_GFX90A:ACCUM_OFFSET: 17
; COMPUTE_PGM_RSRC3_GFX90A:TG_SPLIT: 0
	.section	.text._Z16sort_keys_kernelIiLj64ELj8EN10test_utils4lessELj10EEvPKT_PS2_T2_,"axG",@progbits,_Z16sort_keys_kernelIiLj64ELj8EN10test_utils4lessELj10EEvPKT_PS2_T2_,comdat
	.protected	_Z16sort_keys_kernelIiLj64ELj8EN10test_utils4lessELj10EEvPKT_PS2_T2_ ; -- Begin function _Z16sort_keys_kernelIiLj64ELj8EN10test_utils4lessELj10EEvPKT_PS2_T2_
	.globl	_Z16sort_keys_kernelIiLj64ELj8EN10test_utils4lessELj10EEvPKT_PS2_T2_
	.p2align	8
	.type	_Z16sort_keys_kernelIiLj64ELj8EN10test_utils4lessELj10EEvPKT_PS2_T2_,@function
_Z16sort_keys_kernelIiLj64ELj8EN10test_utils4lessELj10EEvPKT_PS2_T2_: ; @_Z16sort_keys_kernelIiLj64ELj8EN10test_utils4lessELj10EEvPKT_PS2_T2_
; %bb.0:
	s_load_dwordx4 s[28:31], s[0:1], 0x0
	s_lshl_b32 s34, s2, 9
	s_mov_b32 s35, 0
	s_lshl_b64 s[36:37], s[34:35], 2
	v_lshlrev_b32_e32 v1, 2, v0
	s_waitcnt lgkmcnt(0)
	s_add_u32 s0, s28, s36
	s_addc_u32 s1, s29, s37
	global_load_dword v62, v1, s[0:1]
	global_load_dword v63, v1, s[0:1] offset:256
	global_load_dword v55, v1, s[0:1] offset:512
	global_load_dword v56, v1, s[0:1] offset:768
	global_load_dword v53, v1, s[0:1] offset:1024
	global_load_dword v54, v1, s[0:1] offset:1280
	global_load_dword v52, v1, s[0:1] offset:1536
	global_load_dword v57, v1, s[0:1] offset:1792
	v_lshlrev_b32_e32 v1, 3, v0
	v_and_b32_e32 v3, 0x1f0, v1
	v_and_b32_e32 v12, 0x1e0, v1
	;; [unrolled: 1-line block ×5, first 2 shown]
	v_or_b32_e32 v5, 8, v3
	v_add_u32_e32 v6, 16, v3
	v_or_b32_e32 v14, 16, v12
	v_add_u32_e32 v15, 32, v12
	;; [unrolled: 2-line block ×5, first 2 shown]
	v_and_b32_e32 v4, 8, v1
	v_sub_u32_e32 v9, v6, v5
	v_and_b32_e32 v13, 24, v1
	v_sub_u32_e32 v18, v15, v14
	;; [unrolled: 2-line block ×5, first 2 shown]
	v_sub_u32_e32 v10, v5, v3
	v_sub_u32_e32 v11, v4, v9
	v_cmp_ge_i32_e32 vcc, v4, v9
	v_sub_u32_e32 v19, v14, v12
	v_sub_u32_e32 v20, v13, v18
	v_cmp_ge_i32_e64 s[0:1], v13, v18
	v_sub_u32_e32 v28, v23, v21
	v_sub_u32_e32 v29, v22, v27
	v_cmp_ge_i32_e64 s[2:3], v22, v27
	;; [unrolled: 3-line block ×3, first 2 shown]
	v_mov_b32_e32 v39, 0x100
	v_sub_u32_e32 v47, v42, v40
	v_sub_u32_e32 v48, v41, v46
	v_cmp_ge_i32_e64 s[6:7], v41, v46
	v_cndmask_b32_e32 v9, 0, v11, vcc
	v_min_i32_e32 v10, v4, v10
	v_cndmask_b32_e64 v18, 0, v20, s[0:1]
	v_min_i32_e32 v19, v13, v19
	v_cndmask_b32_e64 v27, 0, v29, s[2:3]
	;; [unrolled: 2-line block ×4, first 2 shown]
	v_min_i32_e32 v47, v41, v47
	v_sub_u32_e64 v49, v1, v39 clamp
	v_min_i32_e32 v50, 0x100, v1
	v_lshlrev_b32_e32 v2, 5, v0
	v_lshlrev_b32_e32 v7, 2, v3
	v_lshlrev_b32_e32 v8, 2, v5
	v_cmp_lt_i32_e32 vcc, v9, v10
	v_add_u32_e32 v11, v5, v4
	v_lshlrev_b32_e32 v16, 2, v12
	v_lshlrev_b32_e32 v17, 2, v14
	v_cmp_lt_i32_e64 s[0:1], v18, v19
	v_add_u32_e32 v20, v14, v13
	v_lshlrev_b32_e32 v25, 2, v21
	v_lshlrev_b32_e32 v26, 2, v23
	v_cmp_lt_i32_e64 s[2:3], v27, v28
	;; [unrolled: 4-line block ×4, first 2 shown]
	v_add_u32_e32 v48, v42, v41
	v_cmp_lt_i32_e64 s[8:9], v49, v50
	s_movk_i32 s28, 0x200
	v_add_u32_e32 v51, 0x100, v1
	s_branch .LBB8_2
.LBB8_1:                                ;   in Loop: Header=BB8_2 Depth=1
	s_or_b64 exec, exec, s[24:25]
	v_cndmask_b32_e64 v63, v55, v54, s[12:13]
	v_cndmask_b32_e64 v55, v56, v57, s[14:15]
	v_cmp_ge_i32_e64 s[12:13], v70, v39
	s_waitcnt lgkmcnt(0)
	v_cmp_lt_i32_e64 s[14:15], v71, v69
	v_cndmask_b32_e64 v62, v52, v53, s[10:11]
	v_cmp_gt_i32_e64 s[10:11], s28, v68
	s_or_b64 s[12:13], s[12:13], s[14:15]
	s_add_i32 s35, s35, 1
	s_and_b64 s[10:11], s[10:11], s[12:13]
	v_cndmask_b32_e64 v56, v58, v59, s[16:17]
	v_cndmask_b32_e64 v53, v60, v61, s[18:19]
	;; [unrolled: 1-line block ×4, first 2 shown]
	s_cmp_eq_u32 s35, 10
	v_cndmask_b32_e64 v57, v69, v71, s[10:11]
	s_cbranch_scc1 .LBB8_194
.LBB8_2:                                ; =>This Loop Header: Depth=1
                                        ;     Child Loop BB8_4 Depth 2
                                        ;     Child Loop BB8_36 Depth 2
	;; [unrolled: 1-line block ×6, first 2 shown]
	s_waitcnt vmcnt(6)
	v_cmp_lt_i32_e64 s[10:11], v63, v62
	v_min_i32_e32 v60, v63, v62
	v_max_i32_e32 v61, v63, v62
	v_cndmask_b32_e64 v58, v62, v63, s[10:11]
	v_cndmask_b32_e64 v59, v63, v62, s[10:11]
	s_waitcnt vmcnt(4)
	v_cmp_lt_i32_e64 s[10:11], v56, v55
	v_max_i32_e32 v64, v56, v55
	s_waitcnt vmcnt(2)
	v_max_i32_e32 v66, v54, v53
	v_cndmask_b32_e64 v62, v56, v55, s[10:11]
	v_cndmask_b32_e64 v63, v55, v56, s[10:11]
	v_cmp_lt_i32_e64 s[10:11], v54, v53
	v_min_i32_e32 v55, v56, v55
	s_waitcnt vmcnt(0)
	v_max_i32_e32 v68, v57, v52
	v_cndmask_b32_e64 v56, v54, v53, s[10:11]
	v_cndmask_b32_e64 v65, v53, v54, s[10:11]
	v_cmp_lt_i32_e64 s[10:11], v57, v52
	v_min_i32_e32 v53, v54, v53
	v_max_i32_e32 v69, v53, v64
	v_cndmask_b32_e64 v54, v57, v52, s[10:11]
	v_cndmask_b32_e64 v67, v52, v57, s[10:11]
	v_cmp_lt_i32_e64 s[10:11], v55, v61
	v_min_i32_e32 v52, v57, v52
	s_nop 0
	v_cndmask_b32_e64 v57, v63, v61, s[10:11]
	v_cndmask_b32_e64 v59, v59, v55, s[10:11]
	v_cmp_lt_i32_e64 s[10:11], v53, v64
	v_max_i32_e32 v63, v55, v61
	v_min_i32_e32 v61, v55, v61
	v_cndmask_b32_e64 v65, v65, v64, s[10:11]
	v_cndmask_b32_e64 v62, v62, v53, s[10:11]
	v_cmp_lt_i32_e64 s[10:11], v52, v66
	v_min_i32_e32 v53, v53, v64
	; wave barrier
	s_nop 0
	v_cndmask_b32_e64 v64, v67, v66, s[10:11]
	v_cndmask_b32_e64 v56, v56, v52, s[10:11]
	v_cmp_lt_i32_e64 s[10:11], v55, v60
	v_max_i32_e32 v67, v52, v66
	v_min_i32_e32 v52, v52, v66
	v_cndmask_b32_e64 v55, v58, v61, s[10:11]
	v_cndmask_b32_e64 v58, v59, v60, s[10:11]
	;; [unrolled: 1-line block ×4, first 2 shown]
	v_cmp_lt_i32_e64 s[10:11], v53, v63
	s_nop 1
	v_cndmask_b32_e64 v61, v62, v63, s[10:11]
	v_cndmask_b32_e64 v57, v57, v53, s[10:11]
	v_cmp_lt_i32_e64 s[10:11], v52, v69
	v_max_i32_e32 v62, v53, v63
	v_min_i32_e32 v53, v53, v63
	v_cndmask_b32_e64 v56, v56, v69, s[10:11]
	v_cndmask_b32_e64 v63, v65, v52, s[10:11]
	v_cmp_gt_i32_e64 s[10:11], v66, v68
	v_max_i32_e32 v65, v52, v69
	v_min_i32_e32 v52, v52, v69
	v_cndmask_b32_e64 v54, v54, v67, s[10:11]
	v_cndmask_b32_e64 v64, v64, v68, s[10:11]
	;; [unrolled: 1-line block ×4, first 2 shown]
	v_cmp_lt_i32_e64 s[10:11], v53, v60
	v_max_i32_e32 v68, v53, v60
	s_nop 0
	v_cndmask_b32_e64 v57, v57, v60, s[10:11]
	v_cndmask_b32_e64 v58, v58, v53, s[10:11]
	v_cmp_lt_i32_e64 s[10:11], v52, v62
	v_min_i32_e32 v53, v53, v60
	s_nop 0
	v_cndmask_b32_e64 v60, v63, v62, s[10:11]
	v_cndmask_b32_e64 v61, v61, v52, s[10:11]
	v_cmp_lt_i32_e64 s[10:11], v67, v65
	v_max_i32_e32 v63, v52, v62
	v_min_i32_e32 v52, v52, v62
	v_cndmask_b32_e64 v62, v64, v65, s[10:11]
	v_cndmask_b32_e64 v56, v56, v67, s[10:11]
	v_cmp_lt_i32_e64 s[10:11], v53, v59
	v_max_i32_e32 v64, v67, v65
	v_min_i32_e32 v65, v67, v65
	v_cndmask_b32_e64 v55, v55, v53, s[10:11]
	v_cndmask_b32_e64 v58, v58, v59, s[10:11]
	v_cmp_lt_i32_e64 s[10:11], v52, v68
	v_min_i32_e32 v67, v53, v59
	v_max_i32_e32 v53, v53, v59
	v_cndmask_b32_e64 v59, v61, v68, s[10:11]
	v_cndmask_b32_e64 v57, v57, v52, s[10:11]
	v_cmp_lt_i32_e64 s[10:11], v65, v63
	v_max_i32_e32 v61, v52, v68
	v_min_i32_e32 v52, v52, v68
	v_cndmask_b32_e64 v56, v56, v63, s[10:11]
	v_cndmask_b32_e64 v60, v60, v65, s[10:11]
	v_cmp_lt_i32_e64 s[10:11], v66, v64
	v_max_i32_e32 v68, v65, v63
	v_min_i32_e32 v63, v65, v63
	;; [unrolled: 5-line block ×6, first 2 shown]
	v_cndmask_b32_e64 v52, v55, v53, s[10:11]
	v_cndmask_b32_e64 v55, v58, v67, s[10:11]
	;; [unrolled: 1-line block ×3, first 2 shown]
	v_cmp_lt_i32_e64 s[10:11], v61, v66
	s_nop 1
	v_cndmask_b32_e64 v57, v57, v61, s[10:11]
	v_cndmask_b32_e64 v58, v59, v66, s[10:11]
	v_cmp_lt_i32_e64 s[10:11], v64, v69
	v_max_i32_e32 v59, v61, v66
	v_min_i32_e32 v61, v61, v66
	v_cndmask_b32_e64 v56, v56, v69, s[10:11]
	v_cndmask_b32_e64 v60, v60, v64, s[10:11]
	v_cmp_gt_i32_e64 s[10:11], v68, v65
	v_max_i32_e32 v66, v64, v69
	v_min_i32_e32 v64, v64, v69
	v_cndmask_b32_e64 v54, v54, v63, s[10:11]
	v_cndmask_b32_e64 v62, v62, v65, s[10:11]
	v_cndmask_b32_e64 v63, v63, v65, s[10:11]
	v_cmp_lt_i32_e64 s[10:11], v61, v53
	s_nop 1
	v_cndmask_b32_e64 v53, v57, v53, s[10:11]
	v_cndmask_b32_e64 v55, v55, v61, s[10:11]
	v_cmp_lt_i32_e64 s[10:11], v64, v59
	s_nop 1
	v_cndmask_b32_e64 v57, v60, v59, s[10:11]
	v_cndmask_b32_e64 v58, v58, v64, s[10:11]
	;; [unrolled: 4-line block ×3, first 2 shown]
	ds_write2_b32 v2, v52, v55 offset1:1
	ds_write2_b32 v2, v53, v58 offset0:2 offset1:3
	ds_write2_b32 v2, v57, v56 offset0:4 offset1:5
	;; [unrolled: 1-line block ×3, first 2 shown]
	v_mov_b32_e32 v54, v9
	s_waitcnt lgkmcnt(0)
	; wave barrier
	s_waitcnt lgkmcnt(0)
	s_and_saveexec_b64 s[12:13], vcc
	s_cbranch_execz .LBB8_6
; %bb.3:                                ;   in Loop: Header=BB8_2 Depth=1
	s_mov_b64 s[14:15], 0
	v_mov_b32_e32 v54, v9
	v_mov_b32_e32 v52, v10
.LBB8_4:                                ;   Parent Loop BB8_2 Depth=1
                                        ; =>  This Inner Loop Header: Depth=2
	v_sub_u32_e32 v53, v52, v54
	v_lshrrev_b32_e32 v55, 31, v53
	v_add_u32_e32 v53, v53, v55
	v_ashrrev_i32_e32 v53, 1, v53
	v_add_u32_e32 v53, v53, v54
	v_xad_u32 v56, v53, -1, v4
	v_lshl_add_u32 v55, v53, 2, v7
	v_lshl_add_u32 v56, v56, 2, v8
	ds_read_b32 v55, v55
	ds_read_b32 v56, v56
	v_add_u32_e32 v57, 1, v53
	s_waitcnt lgkmcnt(0)
	v_cmp_lt_i32_e64 s[10:11], v56, v55
	s_nop 1
	v_cndmask_b32_e64 v52, v52, v53, s[10:11]
	v_cndmask_b32_e64 v54, v57, v54, s[10:11]
	v_cmp_ge_i32_e64 s[10:11], v54, v52
	s_or_b64 s[14:15], s[10:11], s[14:15]
	s_andn2_b64 exec, exec, s[14:15]
	s_cbranch_execnz .LBB8_4
; %bb.5:                                ;   in Loop: Header=BB8_2 Depth=1
	s_or_b64 exec, exec, s[14:15]
.LBB8_6:                                ;   in Loop: Header=BB8_2 Depth=1
	s_or_b64 exec, exec, s[12:13]
	v_sub_u32_e32 v56, v11, v54
	v_lshl_add_u32 v59, v54, 2, v7
	v_lshlrev_b32_e32 v58, 2, v56
	ds_read_b32 v52, v59
	ds_read_b32 v53, v58
	v_add_u32_e32 v57, v54, v3
	v_cmp_le_i32_e64 s[12:13], v5, v57
	v_cmp_gt_i32_e64 s[10:11], v6, v56
                                        ; implicit-def: $vgpr54
                                        ; implicit-def: $vgpr55
	s_waitcnt lgkmcnt(0)
	v_cmp_lt_i32_e64 s[14:15], v53, v52
	s_or_b64 s[12:13], s[12:13], s[14:15]
	s_and_b64 s[10:11], s[10:11], s[12:13]
	s_xor_b64 s[12:13], s[10:11], -1
	s_and_saveexec_b64 s[14:15], s[12:13]
	s_xor_b64 s[12:13], exec, s[14:15]
	s_cbranch_execz .LBB8_8
; %bb.7:                                ;   in Loop: Header=BB8_2 Depth=1
	ds_read_b32 v55, v59 offset:4
	v_mov_b32_e32 v54, v53
                                        ; implicit-def: $vgpr58
.LBB8_8:                                ;   in Loop: Header=BB8_2 Depth=1
	s_andn2_saveexec_b64 s[12:13], s[12:13]
	s_cbranch_execz .LBB8_10
; %bb.9:                                ;   in Loop: Header=BB8_2 Depth=1
	ds_read_b32 v54, v58 offset:4
	s_waitcnt lgkmcnt(1)
	v_mov_b32_e32 v55, v52
.LBB8_10:                               ;   in Loop: Header=BB8_2 Depth=1
	s_or_b64 exec, exec, s[12:13]
	v_add_u32_e32 v59, 1, v57
	v_add_u32_e32 v58, 1, v56
	v_cndmask_b32_e64 v59, v59, v57, s[10:11]
	v_cndmask_b32_e64 v58, v56, v58, s[10:11]
	v_cmp_ge_i32_e64 s[14:15], v59, v5
	s_waitcnt lgkmcnt(0)
	v_cmp_lt_i32_e64 s[16:17], v54, v55
	v_cmp_lt_i32_e64 s[12:13], v58, v6
	s_or_b64 s[14:15], s[14:15], s[16:17]
	s_and_b64 s[12:13], s[12:13], s[14:15]
	s_xor_b64 s[14:15], s[12:13], -1
                                        ; implicit-def: $vgpr56
	s_and_saveexec_b64 s[16:17], s[14:15]
	s_xor_b64 s[14:15], exec, s[16:17]
	s_cbranch_execz .LBB8_12
; %bb.11:                               ;   in Loop: Header=BB8_2 Depth=1
	v_lshlrev_b32_e32 v56, 2, v59
	ds_read_b32 v56, v56 offset:4
.LBB8_12:                               ;   in Loop: Header=BB8_2 Depth=1
	s_or_saveexec_b64 s[14:15], s[14:15]
	v_mov_b32_e32 v57, v54
	s_xor_b64 exec, exec, s[14:15]
	s_cbranch_execz .LBB8_14
; %bb.13:                               ;   in Loop: Header=BB8_2 Depth=1
	s_waitcnt lgkmcnt(0)
	v_lshlrev_b32_e32 v56, 2, v58
	ds_read_b32 v57, v56 offset:4
	v_mov_b32_e32 v56, v55
.LBB8_14:                               ;   in Loop: Header=BB8_2 Depth=1
	s_or_b64 exec, exec, s[14:15]
	v_add_u32_e32 v61, 1, v59
	v_add_u32_e32 v60, 1, v58
	v_cndmask_b32_e64 v61, v61, v59, s[12:13]
	v_cndmask_b32_e64 v60, v58, v60, s[12:13]
	v_cmp_ge_i32_e64 s[16:17], v61, v5
	s_waitcnt lgkmcnt(0)
	v_cmp_lt_i32_e64 s[18:19], v57, v56
	v_cmp_lt_i32_e64 s[14:15], v60, v6
	s_or_b64 s[16:17], s[16:17], s[18:19]
	s_and_b64 s[14:15], s[14:15], s[16:17]
	s_xor_b64 s[16:17], s[14:15], -1
                                        ; implicit-def: $vgpr58
	s_and_saveexec_b64 s[18:19], s[16:17]
	s_xor_b64 s[16:17], exec, s[18:19]
	s_cbranch_execz .LBB8_16
; %bb.15:                               ;   in Loop: Header=BB8_2 Depth=1
	v_lshlrev_b32_e32 v58, 2, v61
	ds_read_b32 v58, v58 offset:4
.LBB8_16:                               ;   in Loop: Header=BB8_2 Depth=1
	s_or_saveexec_b64 s[16:17], s[16:17]
	v_mov_b32_e32 v59, v57
	s_xor_b64 exec, exec, s[16:17]
	s_cbranch_execz .LBB8_18
; %bb.17:                               ;   in Loop: Header=BB8_2 Depth=1
	s_waitcnt lgkmcnt(0)
	v_lshlrev_b32_e32 v58, 2, v60
	ds_read_b32 v59, v58 offset:4
	v_mov_b32_e32 v58, v56
.LBB8_18:                               ;   in Loop: Header=BB8_2 Depth=1
	s_or_b64 exec, exec, s[16:17]
	v_add_u32_e32 v63, 1, v61
	v_add_u32_e32 v62, 1, v60
	v_cndmask_b32_e64 v63, v63, v61, s[14:15]
	v_cndmask_b32_e64 v62, v60, v62, s[14:15]
	v_cmp_ge_i32_e64 s[18:19], v63, v5
	s_waitcnt lgkmcnt(0)
	v_cmp_lt_i32_e64 s[20:21], v59, v58
	v_cmp_lt_i32_e64 s[16:17], v62, v6
	s_or_b64 s[18:19], s[18:19], s[20:21]
	s_and_b64 s[16:17], s[16:17], s[18:19]
	s_xor_b64 s[18:19], s[16:17], -1
                                        ; implicit-def: $vgpr60
	s_and_saveexec_b64 s[20:21], s[18:19]
	s_xor_b64 s[18:19], exec, s[20:21]
	s_cbranch_execz .LBB8_20
; %bb.19:                               ;   in Loop: Header=BB8_2 Depth=1
	v_lshlrev_b32_e32 v60, 2, v63
	ds_read_b32 v60, v60 offset:4
.LBB8_20:                               ;   in Loop: Header=BB8_2 Depth=1
	s_or_saveexec_b64 s[18:19], s[18:19]
	v_mov_b32_e32 v61, v59
	s_xor_b64 exec, exec, s[18:19]
	s_cbranch_execz .LBB8_22
; %bb.21:                               ;   in Loop: Header=BB8_2 Depth=1
	s_waitcnt lgkmcnt(0)
	v_lshlrev_b32_e32 v60, 2, v62
	ds_read_b32 v61, v60 offset:4
	v_mov_b32_e32 v60, v58
.LBB8_22:                               ;   in Loop: Header=BB8_2 Depth=1
	s_or_b64 exec, exec, s[18:19]
	v_add_u32_e32 v65, 1, v63
	v_add_u32_e32 v64, 1, v62
	v_cndmask_b32_e64 v65, v65, v63, s[16:17]
	v_cndmask_b32_e64 v64, v62, v64, s[16:17]
	v_cmp_ge_i32_e64 s[20:21], v65, v5
	s_waitcnt lgkmcnt(0)
	v_cmp_lt_i32_e64 s[22:23], v61, v60
	v_cmp_lt_i32_e64 s[18:19], v64, v6
	s_or_b64 s[20:21], s[20:21], s[22:23]
	s_and_b64 s[18:19], s[18:19], s[20:21]
	s_xor_b64 s[20:21], s[18:19], -1
                                        ; implicit-def: $vgpr62
	s_and_saveexec_b64 s[22:23], s[20:21]
	s_xor_b64 s[20:21], exec, s[22:23]
	s_cbranch_execz .LBB8_24
; %bb.23:                               ;   in Loop: Header=BB8_2 Depth=1
	v_lshlrev_b32_e32 v62, 2, v65
	ds_read_b32 v62, v62 offset:4
.LBB8_24:                               ;   in Loop: Header=BB8_2 Depth=1
	s_or_saveexec_b64 s[20:21], s[20:21]
	v_mov_b32_e32 v63, v61
	s_xor_b64 exec, exec, s[20:21]
	s_cbranch_execz .LBB8_26
; %bb.25:                               ;   in Loop: Header=BB8_2 Depth=1
	s_waitcnt lgkmcnt(0)
	v_lshlrev_b32_e32 v62, 2, v64
	ds_read_b32 v63, v62 offset:4
	v_mov_b32_e32 v62, v60
.LBB8_26:                               ;   in Loop: Header=BB8_2 Depth=1
	s_or_b64 exec, exec, s[20:21]
	v_add_u32_e32 v67, 1, v65
	v_add_u32_e32 v66, 1, v64
	v_cndmask_b32_e64 v67, v67, v65, s[18:19]
	v_cndmask_b32_e64 v66, v64, v66, s[18:19]
	v_cmp_ge_i32_e64 s[22:23], v67, v5
	s_waitcnt lgkmcnt(0)
	v_cmp_lt_i32_e64 s[24:25], v63, v62
	v_cmp_lt_i32_e64 s[20:21], v66, v6
	s_or_b64 s[22:23], s[22:23], s[24:25]
	s_and_b64 s[20:21], s[20:21], s[22:23]
	s_xor_b64 s[22:23], s[20:21], -1
                                        ; implicit-def: $vgpr64
	s_and_saveexec_b64 s[24:25], s[22:23]
	s_xor_b64 s[22:23], exec, s[24:25]
	s_cbranch_execz .LBB8_28
; %bb.27:                               ;   in Loop: Header=BB8_2 Depth=1
	v_lshlrev_b32_e32 v64, 2, v67
	ds_read_b32 v64, v64 offset:4
.LBB8_28:                               ;   in Loop: Header=BB8_2 Depth=1
	s_or_saveexec_b64 s[22:23], s[22:23]
	v_mov_b32_e32 v65, v63
	s_xor_b64 exec, exec, s[22:23]
	s_cbranch_execz .LBB8_30
; %bb.29:                               ;   in Loop: Header=BB8_2 Depth=1
	s_waitcnt lgkmcnt(0)
	v_lshlrev_b32_e32 v64, 2, v66
	ds_read_b32 v65, v64 offset:4
	v_mov_b32_e32 v64, v62
.LBB8_30:                               ;   in Loop: Header=BB8_2 Depth=1
	s_or_b64 exec, exec, s[22:23]
	v_add_u32_e32 v69, 1, v67
	v_add_u32_e32 v68, 1, v66
	v_cndmask_b32_e64 v67, v69, v67, s[20:21]
	v_cndmask_b32_e64 v66, v66, v68, s[20:21]
	v_cmp_ge_i32_e64 s[24:25], v67, v5
	s_waitcnt lgkmcnt(0)
	v_cmp_lt_i32_e64 s[26:27], v65, v64
	v_cmp_lt_i32_e64 s[22:23], v66, v6
	s_or_b64 s[24:25], s[24:25], s[26:27]
	s_and_b64 s[22:23], s[22:23], s[24:25]
	s_xor_b64 s[24:25], s[22:23], -1
                                        ; implicit-def: $vgpr68
	s_and_saveexec_b64 s[26:27], s[24:25]
	s_xor_b64 s[24:25], exec, s[26:27]
	s_cbranch_execz .LBB8_32
; %bb.31:                               ;   in Loop: Header=BB8_2 Depth=1
	v_lshlrev_b32_e32 v68, 2, v67
	ds_read_b32 v68, v68 offset:4
.LBB8_32:                               ;   in Loop: Header=BB8_2 Depth=1
	s_or_saveexec_b64 s[24:25], s[24:25]
	v_mov_b32_e32 v69, v65
	s_xor_b64 exec, exec, s[24:25]
	s_cbranch_execz .LBB8_34
; %bb.33:                               ;   in Loop: Header=BB8_2 Depth=1
	s_waitcnt lgkmcnt(0)
	v_lshlrev_b32_e32 v68, 2, v66
	ds_read_b32 v69, v68 offset:4
	v_mov_b32_e32 v68, v64
.LBB8_34:                               ;   in Loop: Header=BB8_2 Depth=1
	s_or_b64 exec, exec, s[24:25]
	v_cndmask_b32_e64 v64, v64, v65, s[22:23]
	v_add_u32_e32 v65, 1, v66
	v_add_u32_e32 v70, 1, v67
	v_cndmask_b32_e64 v65, v66, v65, s[22:23]
	v_cndmask_b32_e64 v66, v70, v67, s[22:23]
	v_cndmask_b32_e64 v56, v56, v57, s[14:15]
	v_cndmask_b32_e64 v54, v55, v54, s[12:13]
	v_cmp_ge_i32_e64 s[12:13], v66, v5
	s_waitcnt lgkmcnt(0)
	v_cmp_lt_i32_e64 s[14:15], v69, v68
	v_cndmask_b32_e64 v52, v52, v53, s[10:11]
	v_cmp_lt_i32_e64 s[10:11], v65, v6
	s_or_b64 s[12:13], s[12:13], s[14:15]
	s_and_b64 s[10:11], s[10:11], s[12:13]
	v_cndmask_b32_e64 v62, v62, v63, s[20:21]
	v_cndmask_b32_e64 v60, v60, v61, s[18:19]
	;; [unrolled: 1-line block ×4, first 2 shown]
	s_waitcnt lgkmcnt(0)
	; wave barrier
	ds_write2_b32 v2, v52, v54 offset1:1
	ds_write2_b32 v2, v56, v58 offset0:2 offset1:3
	ds_write2_b32 v2, v60, v62 offset0:4 offset1:5
	;; [unrolled: 1-line block ×3, first 2 shown]
	v_mov_b32_e32 v54, v18
	s_waitcnt lgkmcnt(0)
	; wave barrier
	s_waitcnt lgkmcnt(0)
	s_and_saveexec_b64 s[12:13], s[0:1]
	s_cbranch_execz .LBB8_38
; %bb.35:                               ;   in Loop: Header=BB8_2 Depth=1
	s_mov_b64 s[14:15], 0
	v_mov_b32_e32 v54, v18
	v_mov_b32_e32 v52, v19
.LBB8_36:                               ;   Parent Loop BB8_2 Depth=1
                                        ; =>  This Inner Loop Header: Depth=2
	v_sub_u32_e32 v53, v52, v54
	v_lshrrev_b32_e32 v55, 31, v53
	v_add_u32_e32 v53, v53, v55
	v_ashrrev_i32_e32 v53, 1, v53
	v_add_u32_e32 v53, v53, v54
	v_xad_u32 v56, v53, -1, v13
	v_lshl_add_u32 v55, v53, 2, v16
	v_lshl_add_u32 v56, v56, 2, v17
	ds_read_b32 v55, v55
	ds_read_b32 v56, v56
	v_add_u32_e32 v57, 1, v53
	s_waitcnt lgkmcnt(0)
	v_cmp_lt_i32_e64 s[10:11], v56, v55
	s_nop 1
	v_cndmask_b32_e64 v52, v52, v53, s[10:11]
	v_cndmask_b32_e64 v54, v57, v54, s[10:11]
	v_cmp_ge_i32_e64 s[10:11], v54, v52
	s_or_b64 s[14:15], s[10:11], s[14:15]
	s_andn2_b64 exec, exec, s[14:15]
	s_cbranch_execnz .LBB8_36
; %bb.37:                               ;   in Loop: Header=BB8_2 Depth=1
	s_or_b64 exec, exec, s[14:15]
.LBB8_38:                               ;   in Loop: Header=BB8_2 Depth=1
	s_or_b64 exec, exec, s[12:13]
	v_sub_u32_e32 v56, v20, v54
	v_lshl_add_u32 v59, v54, 2, v16
	v_lshlrev_b32_e32 v58, 2, v56
	ds_read_b32 v52, v59
	ds_read_b32 v53, v58
	v_add_u32_e32 v57, v54, v12
	v_cmp_le_i32_e64 s[12:13], v14, v57
	v_cmp_gt_i32_e64 s[10:11], v15, v56
                                        ; implicit-def: $vgpr54
                                        ; implicit-def: $vgpr55
	s_waitcnt lgkmcnt(0)
	v_cmp_lt_i32_e64 s[14:15], v53, v52
	s_or_b64 s[12:13], s[12:13], s[14:15]
	s_and_b64 s[10:11], s[10:11], s[12:13]
	s_xor_b64 s[12:13], s[10:11], -1
	s_and_saveexec_b64 s[14:15], s[12:13]
	s_xor_b64 s[12:13], exec, s[14:15]
	s_cbranch_execz .LBB8_40
; %bb.39:                               ;   in Loop: Header=BB8_2 Depth=1
	ds_read_b32 v55, v59 offset:4
	v_mov_b32_e32 v54, v53
                                        ; implicit-def: $vgpr58
.LBB8_40:                               ;   in Loop: Header=BB8_2 Depth=1
	s_andn2_saveexec_b64 s[12:13], s[12:13]
	s_cbranch_execz .LBB8_42
; %bb.41:                               ;   in Loop: Header=BB8_2 Depth=1
	ds_read_b32 v54, v58 offset:4
	s_waitcnt lgkmcnt(1)
	v_mov_b32_e32 v55, v52
.LBB8_42:                               ;   in Loop: Header=BB8_2 Depth=1
	s_or_b64 exec, exec, s[12:13]
	v_add_u32_e32 v59, 1, v57
	v_add_u32_e32 v58, 1, v56
	v_cndmask_b32_e64 v59, v59, v57, s[10:11]
	v_cndmask_b32_e64 v58, v56, v58, s[10:11]
	v_cmp_ge_i32_e64 s[14:15], v59, v14
	s_waitcnt lgkmcnt(0)
	v_cmp_lt_i32_e64 s[16:17], v54, v55
	v_cmp_lt_i32_e64 s[12:13], v58, v15
	s_or_b64 s[14:15], s[14:15], s[16:17]
	s_and_b64 s[12:13], s[12:13], s[14:15]
	s_xor_b64 s[14:15], s[12:13], -1
                                        ; implicit-def: $vgpr56
	s_and_saveexec_b64 s[16:17], s[14:15]
	s_xor_b64 s[14:15], exec, s[16:17]
	s_cbranch_execz .LBB8_44
; %bb.43:                               ;   in Loop: Header=BB8_2 Depth=1
	v_lshlrev_b32_e32 v56, 2, v59
	ds_read_b32 v56, v56 offset:4
.LBB8_44:                               ;   in Loop: Header=BB8_2 Depth=1
	s_or_saveexec_b64 s[14:15], s[14:15]
	v_mov_b32_e32 v57, v54
	s_xor_b64 exec, exec, s[14:15]
	s_cbranch_execz .LBB8_46
; %bb.45:                               ;   in Loop: Header=BB8_2 Depth=1
	s_waitcnt lgkmcnt(0)
	v_lshlrev_b32_e32 v56, 2, v58
	ds_read_b32 v57, v56 offset:4
	v_mov_b32_e32 v56, v55
.LBB8_46:                               ;   in Loop: Header=BB8_2 Depth=1
	s_or_b64 exec, exec, s[14:15]
	v_add_u32_e32 v61, 1, v59
	v_add_u32_e32 v60, 1, v58
	v_cndmask_b32_e64 v61, v61, v59, s[12:13]
	v_cndmask_b32_e64 v60, v58, v60, s[12:13]
	v_cmp_ge_i32_e64 s[16:17], v61, v14
	s_waitcnt lgkmcnt(0)
	v_cmp_lt_i32_e64 s[18:19], v57, v56
	v_cmp_lt_i32_e64 s[14:15], v60, v15
	s_or_b64 s[16:17], s[16:17], s[18:19]
	s_and_b64 s[14:15], s[14:15], s[16:17]
	s_xor_b64 s[16:17], s[14:15], -1
                                        ; implicit-def: $vgpr58
	s_and_saveexec_b64 s[18:19], s[16:17]
	s_xor_b64 s[16:17], exec, s[18:19]
	s_cbranch_execz .LBB8_48
; %bb.47:                               ;   in Loop: Header=BB8_2 Depth=1
	v_lshlrev_b32_e32 v58, 2, v61
	ds_read_b32 v58, v58 offset:4
.LBB8_48:                               ;   in Loop: Header=BB8_2 Depth=1
	s_or_saveexec_b64 s[16:17], s[16:17]
	v_mov_b32_e32 v59, v57
	s_xor_b64 exec, exec, s[16:17]
	s_cbranch_execz .LBB8_50
; %bb.49:                               ;   in Loop: Header=BB8_2 Depth=1
	s_waitcnt lgkmcnt(0)
	v_lshlrev_b32_e32 v58, 2, v60
	ds_read_b32 v59, v58 offset:4
	v_mov_b32_e32 v58, v56
.LBB8_50:                               ;   in Loop: Header=BB8_2 Depth=1
	s_or_b64 exec, exec, s[16:17]
	v_add_u32_e32 v63, 1, v61
	v_add_u32_e32 v62, 1, v60
	v_cndmask_b32_e64 v63, v63, v61, s[14:15]
	v_cndmask_b32_e64 v62, v60, v62, s[14:15]
	v_cmp_ge_i32_e64 s[18:19], v63, v14
	s_waitcnt lgkmcnt(0)
	v_cmp_lt_i32_e64 s[20:21], v59, v58
	v_cmp_lt_i32_e64 s[16:17], v62, v15
	s_or_b64 s[18:19], s[18:19], s[20:21]
	s_and_b64 s[16:17], s[16:17], s[18:19]
	s_xor_b64 s[18:19], s[16:17], -1
                                        ; implicit-def: $vgpr60
	s_and_saveexec_b64 s[20:21], s[18:19]
	s_xor_b64 s[18:19], exec, s[20:21]
	s_cbranch_execz .LBB8_52
; %bb.51:                               ;   in Loop: Header=BB8_2 Depth=1
	v_lshlrev_b32_e32 v60, 2, v63
	ds_read_b32 v60, v60 offset:4
.LBB8_52:                               ;   in Loop: Header=BB8_2 Depth=1
	s_or_saveexec_b64 s[18:19], s[18:19]
	v_mov_b32_e32 v61, v59
	s_xor_b64 exec, exec, s[18:19]
	s_cbranch_execz .LBB8_54
; %bb.53:                               ;   in Loop: Header=BB8_2 Depth=1
	s_waitcnt lgkmcnt(0)
	v_lshlrev_b32_e32 v60, 2, v62
	ds_read_b32 v61, v60 offset:4
	v_mov_b32_e32 v60, v58
.LBB8_54:                               ;   in Loop: Header=BB8_2 Depth=1
	s_or_b64 exec, exec, s[18:19]
	v_add_u32_e32 v65, 1, v63
	v_add_u32_e32 v64, 1, v62
	v_cndmask_b32_e64 v65, v65, v63, s[16:17]
	v_cndmask_b32_e64 v64, v62, v64, s[16:17]
	v_cmp_ge_i32_e64 s[20:21], v65, v14
	s_waitcnt lgkmcnt(0)
	v_cmp_lt_i32_e64 s[22:23], v61, v60
	v_cmp_lt_i32_e64 s[18:19], v64, v15
	s_or_b64 s[20:21], s[20:21], s[22:23]
	s_and_b64 s[18:19], s[18:19], s[20:21]
	s_xor_b64 s[20:21], s[18:19], -1
                                        ; implicit-def: $vgpr62
	s_and_saveexec_b64 s[22:23], s[20:21]
	s_xor_b64 s[20:21], exec, s[22:23]
	s_cbranch_execz .LBB8_56
; %bb.55:                               ;   in Loop: Header=BB8_2 Depth=1
	v_lshlrev_b32_e32 v62, 2, v65
	ds_read_b32 v62, v62 offset:4
.LBB8_56:                               ;   in Loop: Header=BB8_2 Depth=1
	s_or_saveexec_b64 s[20:21], s[20:21]
	v_mov_b32_e32 v63, v61
	s_xor_b64 exec, exec, s[20:21]
	s_cbranch_execz .LBB8_58
; %bb.57:                               ;   in Loop: Header=BB8_2 Depth=1
	s_waitcnt lgkmcnt(0)
	v_lshlrev_b32_e32 v62, 2, v64
	ds_read_b32 v63, v62 offset:4
	v_mov_b32_e32 v62, v60
.LBB8_58:                               ;   in Loop: Header=BB8_2 Depth=1
	s_or_b64 exec, exec, s[20:21]
	v_add_u32_e32 v67, 1, v65
	v_add_u32_e32 v66, 1, v64
	v_cndmask_b32_e64 v67, v67, v65, s[18:19]
	v_cndmask_b32_e64 v66, v64, v66, s[18:19]
	v_cmp_ge_i32_e64 s[22:23], v67, v14
	s_waitcnt lgkmcnt(0)
	v_cmp_lt_i32_e64 s[24:25], v63, v62
	v_cmp_lt_i32_e64 s[20:21], v66, v15
	s_or_b64 s[22:23], s[22:23], s[24:25]
	s_and_b64 s[20:21], s[20:21], s[22:23]
	s_xor_b64 s[22:23], s[20:21], -1
                                        ; implicit-def: $vgpr64
	s_and_saveexec_b64 s[24:25], s[22:23]
	s_xor_b64 s[22:23], exec, s[24:25]
	s_cbranch_execz .LBB8_60
; %bb.59:                               ;   in Loop: Header=BB8_2 Depth=1
	v_lshlrev_b32_e32 v64, 2, v67
	ds_read_b32 v64, v64 offset:4
.LBB8_60:                               ;   in Loop: Header=BB8_2 Depth=1
	s_or_saveexec_b64 s[22:23], s[22:23]
	v_mov_b32_e32 v65, v63
	s_xor_b64 exec, exec, s[22:23]
	s_cbranch_execz .LBB8_62
; %bb.61:                               ;   in Loop: Header=BB8_2 Depth=1
	s_waitcnt lgkmcnt(0)
	v_lshlrev_b32_e32 v64, 2, v66
	ds_read_b32 v65, v64 offset:4
	v_mov_b32_e32 v64, v62
.LBB8_62:                               ;   in Loop: Header=BB8_2 Depth=1
	s_or_b64 exec, exec, s[22:23]
	v_add_u32_e32 v69, 1, v67
	v_add_u32_e32 v68, 1, v66
	v_cndmask_b32_e64 v67, v69, v67, s[20:21]
	v_cndmask_b32_e64 v66, v66, v68, s[20:21]
	v_cmp_ge_i32_e64 s[24:25], v67, v14
	s_waitcnt lgkmcnt(0)
	v_cmp_lt_i32_e64 s[26:27], v65, v64
	v_cmp_lt_i32_e64 s[22:23], v66, v15
	s_or_b64 s[24:25], s[24:25], s[26:27]
	s_and_b64 s[22:23], s[22:23], s[24:25]
	s_xor_b64 s[24:25], s[22:23], -1
                                        ; implicit-def: $vgpr68
	s_and_saveexec_b64 s[26:27], s[24:25]
	s_xor_b64 s[24:25], exec, s[26:27]
	s_cbranch_execz .LBB8_64
; %bb.63:                               ;   in Loop: Header=BB8_2 Depth=1
	v_lshlrev_b32_e32 v68, 2, v67
	ds_read_b32 v68, v68 offset:4
.LBB8_64:                               ;   in Loop: Header=BB8_2 Depth=1
	s_or_saveexec_b64 s[24:25], s[24:25]
	v_mov_b32_e32 v69, v65
	s_xor_b64 exec, exec, s[24:25]
	s_cbranch_execz .LBB8_66
; %bb.65:                               ;   in Loop: Header=BB8_2 Depth=1
	s_waitcnt lgkmcnt(0)
	v_lshlrev_b32_e32 v68, 2, v66
	ds_read_b32 v69, v68 offset:4
	v_mov_b32_e32 v68, v64
.LBB8_66:                               ;   in Loop: Header=BB8_2 Depth=1
	s_or_b64 exec, exec, s[24:25]
	v_cndmask_b32_e64 v64, v64, v65, s[22:23]
	v_add_u32_e32 v65, 1, v66
	v_add_u32_e32 v70, 1, v67
	v_cndmask_b32_e64 v65, v66, v65, s[22:23]
	v_cndmask_b32_e64 v66, v70, v67, s[22:23]
	;; [unrolled: 1-line block ×4, first 2 shown]
	v_cmp_ge_i32_e64 s[12:13], v66, v14
	s_waitcnt lgkmcnt(0)
	v_cmp_lt_i32_e64 s[14:15], v69, v68
	v_cndmask_b32_e64 v52, v52, v53, s[10:11]
	v_cmp_lt_i32_e64 s[10:11], v65, v15
	s_or_b64 s[12:13], s[12:13], s[14:15]
	s_and_b64 s[10:11], s[10:11], s[12:13]
	v_cndmask_b32_e64 v62, v62, v63, s[20:21]
	v_cndmask_b32_e64 v60, v60, v61, s[18:19]
	;; [unrolled: 1-line block ×4, first 2 shown]
	s_waitcnt lgkmcnt(0)
	; wave barrier
	ds_write2_b32 v2, v52, v54 offset1:1
	ds_write2_b32 v2, v56, v58 offset0:2 offset1:3
	ds_write2_b32 v2, v60, v62 offset0:4 offset1:5
	;; [unrolled: 1-line block ×3, first 2 shown]
	v_mov_b32_e32 v54, v27
	s_waitcnt lgkmcnt(0)
	; wave barrier
	s_waitcnt lgkmcnt(0)
	s_and_saveexec_b64 s[12:13], s[2:3]
	s_cbranch_execz .LBB8_70
; %bb.67:                               ;   in Loop: Header=BB8_2 Depth=1
	s_mov_b64 s[14:15], 0
	v_mov_b32_e32 v54, v27
	v_mov_b32_e32 v52, v28
.LBB8_68:                               ;   Parent Loop BB8_2 Depth=1
                                        ; =>  This Inner Loop Header: Depth=2
	v_sub_u32_e32 v53, v52, v54
	v_lshrrev_b32_e32 v55, 31, v53
	v_add_u32_e32 v53, v53, v55
	v_ashrrev_i32_e32 v53, 1, v53
	v_add_u32_e32 v53, v53, v54
	v_xad_u32 v56, v53, -1, v22
	v_lshl_add_u32 v55, v53, 2, v25
	v_lshl_add_u32 v56, v56, 2, v26
	ds_read_b32 v55, v55
	ds_read_b32 v56, v56
	v_add_u32_e32 v57, 1, v53
	s_waitcnt lgkmcnt(0)
	v_cmp_lt_i32_e64 s[10:11], v56, v55
	s_nop 1
	v_cndmask_b32_e64 v52, v52, v53, s[10:11]
	v_cndmask_b32_e64 v54, v57, v54, s[10:11]
	v_cmp_ge_i32_e64 s[10:11], v54, v52
	s_or_b64 s[14:15], s[10:11], s[14:15]
	s_andn2_b64 exec, exec, s[14:15]
	s_cbranch_execnz .LBB8_68
; %bb.69:                               ;   in Loop: Header=BB8_2 Depth=1
	s_or_b64 exec, exec, s[14:15]
.LBB8_70:                               ;   in Loop: Header=BB8_2 Depth=1
	s_or_b64 exec, exec, s[12:13]
	v_sub_u32_e32 v56, v29, v54
	v_lshl_add_u32 v59, v54, 2, v25
	v_lshlrev_b32_e32 v58, 2, v56
	ds_read_b32 v52, v59
	ds_read_b32 v53, v58
	v_add_u32_e32 v57, v54, v21
	v_cmp_le_i32_e64 s[12:13], v23, v57
	v_cmp_gt_i32_e64 s[10:11], v24, v56
                                        ; implicit-def: $vgpr54
                                        ; implicit-def: $vgpr55
	s_waitcnt lgkmcnt(0)
	v_cmp_lt_i32_e64 s[14:15], v53, v52
	s_or_b64 s[12:13], s[12:13], s[14:15]
	s_and_b64 s[10:11], s[10:11], s[12:13]
	s_xor_b64 s[12:13], s[10:11], -1
	s_and_saveexec_b64 s[14:15], s[12:13]
	s_xor_b64 s[12:13], exec, s[14:15]
	s_cbranch_execz .LBB8_72
; %bb.71:                               ;   in Loop: Header=BB8_2 Depth=1
	ds_read_b32 v55, v59 offset:4
	v_mov_b32_e32 v54, v53
                                        ; implicit-def: $vgpr58
.LBB8_72:                               ;   in Loop: Header=BB8_2 Depth=1
	s_andn2_saveexec_b64 s[12:13], s[12:13]
	s_cbranch_execz .LBB8_74
; %bb.73:                               ;   in Loop: Header=BB8_2 Depth=1
	ds_read_b32 v54, v58 offset:4
	s_waitcnt lgkmcnt(1)
	v_mov_b32_e32 v55, v52
.LBB8_74:                               ;   in Loop: Header=BB8_2 Depth=1
	s_or_b64 exec, exec, s[12:13]
	v_add_u32_e32 v59, 1, v57
	v_add_u32_e32 v58, 1, v56
	v_cndmask_b32_e64 v59, v59, v57, s[10:11]
	v_cndmask_b32_e64 v58, v56, v58, s[10:11]
	v_cmp_ge_i32_e64 s[14:15], v59, v23
	s_waitcnt lgkmcnt(0)
	v_cmp_lt_i32_e64 s[16:17], v54, v55
	v_cmp_lt_i32_e64 s[12:13], v58, v24
	s_or_b64 s[14:15], s[14:15], s[16:17]
	s_and_b64 s[12:13], s[12:13], s[14:15]
	s_xor_b64 s[14:15], s[12:13], -1
                                        ; implicit-def: $vgpr56
	s_and_saveexec_b64 s[16:17], s[14:15]
	s_xor_b64 s[14:15], exec, s[16:17]
	s_cbranch_execz .LBB8_76
; %bb.75:                               ;   in Loop: Header=BB8_2 Depth=1
	v_lshlrev_b32_e32 v56, 2, v59
	ds_read_b32 v56, v56 offset:4
.LBB8_76:                               ;   in Loop: Header=BB8_2 Depth=1
	s_or_saveexec_b64 s[14:15], s[14:15]
	v_mov_b32_e32 v57, v54
	s_xor_b64 exec, exec, s[14:15]
	s_cbranch_execz .LBB8_78
; %bb.77:                               ;   in Loop: Header=BB8_2 Depth=1
	s_waitcnt lgkmcnt(0)
	v_lshlrev_b32_e32 v56, 2, v58
	ds_read_b32 v57, v56 offset:4
	v_mov_b32_e32 v56, v55
.LBB8_78:                               ;   in Loop: Header=BB8_2 Depth=1
	s_or_b64 exec, exec, s[14:15]
	v_add_u32_e32 v61, 1, v59
	v_add_u32_e32 v60, 1, v58
	v_cndmask_b32_e64 v61, v61, v59, s[12:13]
	v_cndmask_b32_e64 v60, v58, v60, s[12:13]
	v_cmp_ge_i32_e64 s[16:17], v61, v23
	s_waitcnt lgkmcnt(0)
	v_cmp_lt_i32_e64 s[18:19], v57, v56
	v_cmp_lt_i32_e64 s[14:15], v60, v24
	s_or_b64 s[16:17], s[16:17], s[18:19]
	s_and_b64 s[14:15], s[14:15], s[16:17]
	s_xor_b64 s[16:17], s[14:15], -1
                                        ; implicit-def: $vgpr58
	s_and_saveexec_b64 s[18:19], s[16:17]
	s_xor_b64 s[16:17], exec, s[18:19]
	s_cbranch_execz .LBB8_80
; %bb.79:                               ;   in Loop: Header=BB8_2 Depth=1
	v_lshlrev_b32_e32 v58, 2, v61
	ds_read_b32 v58, v58 offset:4
.LBB8_80:                               ;   in Loop: Header=BB8_2 Depth=1
	s_or_saveexec_b64 s[16:17], s[16:17]
	v_mov_b32_e32 v59, v57
	s_xor_b64 exec, exec, s[16:17]
	s_cbranch_execz .LBB8_82
; %bb.81:                               ;   in Loop: Header=BB8_2 Depth=1
	s_waitcnt lgkmcnt(0)
	v_lshlrev_b32_e32 v58, 2, v60
	ds_read_b32 v59, v58 offset:4
	v_mov_b32_e32 v58, v56
.LBB8_82:                               ;   in Loop: Header=BB8_2 Depth=1
	s_or_b64 exec, exec, s[16:17]
	v_add_u32_e32 v63, 1, v61
	v_add_u32_e32 v62, 1, v60
	v_cndmask_b32_e64 v63, v63, v61, s[14:15]
	v_cndmask_b32_e64 v62, v60, v62, s[14:15]
	v_cmp_ge_i32_e64 s[18:19], v63, v23
	s_waitcnt lgkmcnt(0)
	v_cmp_lt_i32_e64 s[20:21], v59, v58
	v_cmp_lt_i32_e64 s[16:17], v62, v24
	s_or_b64 s[18:19], s[18:19], s[20:21]
	s_and_b64 s[16:17], s[16:17], s[18:19]
	s_xor_b64 s[18:19], s[16:17], -1
                                        ; implicit-def: $vgpr60
	s_and_saveexec_b64 s[20:21], s[18:19]
	s_xor_b64 s[18:19], exec, s[20:21]
	s_cbranch_execz .LBB8_84
; %bb.83:                               ;   in Loop: Header=BB8_2 Depth=1
	v_lshlrev_b32_e32 v60, 2, v63
	ds_read_b32 v60, v60 offset:4
.LBB8_84:                               ;   in Loop: Header=BB8_2 Depth=1
	s_or_saveexec_b64 s[18:19], s[18:19]
	v_mov_b32_e32 v61, v59
	s_xor_b64 exec, exec, s[18:19]
	s_cbranch_execz .LBB8_86
; %bb.85:                               ;   in Loop: Header=BB8_2 Depth=1
	s_waitcnt lgkmcnt(0)
	v_lshlrev_b32_e32 v60, 2, v62
	ds_read_b32 v61, v60 offset:4
	v_mov_b32_e32 v60, v58
.LBB8_86:                               ;   in Loop: Header=BB8_2 Depth=1
	s_or_b64 exec, exec, s[18:19]
	v_add_u32_e32 v65, 1, v63
	v_add_u32_e32 v64, 1, v62
	v_cndmask_b32_e64 v65, v65, v63, s[16:17]
	v_cndmask_b32_e64 v64, v62, v64, s[16:17]
	v_cmp_ge_i32_e64 s[20:21], v65, v23
	s_waitcnt lgkmcnt(0)
	v_cmp_lt_i32_e64 s[22:23], v61, v60
	v_cmp_lt_i32_e64 s[18:19], v64, v24
	s_or_b64 s[20:21], s[20:21], s[22:23]
	s_and_b64 s[18:19], s[18:19], s[20:21]
	s_xor_b64 s[20:21], s[18:19], -1
                                        ; implicit-def: $vgpr62
	s_and_saveexec_b64 s[22:23], s[20:21]
	s_xor_b64 s[20:21], exec, s[22:23]
	s_cbranch_execz .LBB8_88
; %bb.87:                               ;   in Loop: Header=BB8_2 Depth=1
	v_lshlrev_b32_e32 v62, 2, v65
	ds_read_b32 v62, v62 offset:4
.LBB8_88:                               ;   in Loop: Header=BB8_2 Depth=1
	s_or_saveexec_b64 s[20:21], s[20:21]
	v_mov_b32_e32 v63, v61
	s_xor_b64 exec, exec, s[20:21]
	s_cbranch_execz .LBB8_90
; %bb.89:                               ;   in Loop: Header=BB8_2 Depth=1
	s_waitcnt lgkmcnt(0)
	v_lshlrev_b32_e32 v62, 2, v64
	ds_read_b32 v63, v62 offset:4
	v_mov_b32_e32 v62, v60
.LBB8_90:                               ;   in Loop: Header=BB8_2 Depth=1
	s_or_b64 exec, exec, s[20:21]
	v_add_u32_e32 v67, 1, v65
	v_add_u32_e32 v66, 1, v64
	v_cndmask_b32_e64 v67, v67, v65, s[18:19]
	v_cndmask_b32_e64 v66, v64, v66, s[18:19]
	v_cmp_ge_i32_e64 s[22:23], v67, v23
	s_waitcnt lgkmcnt(0)
	v_cmp_lt_i32_e64 s[24:25], v63, v62
	v_cmp_lt_i32_e64 s[20:21], v66, v24
	s_or_b64 s[22:23], s[22:23], s[24:25]
	s_and_b64 s[20:21], s[20:21], s[22:23]
	s_xor_b64 s[22:23], s[20:21], -1
                                        ; implicit-def: $vgpr64
	s_and_saveexec_b64 s[24:25], s[22:23]
	s_xor_b64 s[22:23], exec, s[24:25]
	s_cbranch_execz .LBB8_92
; %bb.91:                               ;   in Loop: Header=BB8_2 Depth=1
	v_lshlrev_b32_e32 v64, 2, v67
	ds_read_b32 v64, v64 offset:4
.LBB8_92:                               ;   in Loop: Header=BB8_2 Depth=1
	s_or_saveexec_b64 s[22:23], s[22:23]
	v_mov_b32_e32 v65, v63
	s_xor_b64 exec, exec, s[22:23]
	s_cbranch_execz .LBB8_94
; %bb.93:                               ;   in Loop: Header=BB8_2 Depth=1
	s_waitcnt lgkmcnt(0)
	v_lshlrev_b32_e32 v64, 2, v66
	ds_read_b32 v65, v64 offset:4
	v_mov_b32_e32 v64, v62
.LBB8_94:                               ;   in Loop: Header=BB8_2 Depth=1
	s_or_b64 exec, exec, s[22:23]
	v_add_u32_e32 v69, 1, v67
	v_add_u32_e32 v68, 1, v66
	v_cndmask_b32_e64 v67, v69, v67, s[20:21]
	v_cndmask_b32_e64 v66, v66, v68, s[20:21]
	v_cmp_ge_i32_e64 s[24:25], v67, v23
	s_waitcnt lgkmcnt(0)
	v_cmp_lt_i32_e64 s[26:27], v65, v64
	v_cmp_lt_i32_e64 s[22:23], v66, v24
	s_or_b64 s[24:25], s[24:25], s[26:27]
	s_and_b64 s[22:23], s[22:23], s[24:25]
	s_xor_b64 s[24:25], s[22:23], -1
                                        ; implicit-def: $vgpr68
	s_and_saveexec_b64 s[26:27], s[24:25]
	s_xor_b64 s[24:25], exec, s[26:27]
	s_cbranch_execz .LBB8_96
; %bb.95:                               ;   in Loop: Header=BB8_2 Depth=1
	v_lshlrev_b32_e32 v68, 2, v67
	ds_read_b32 v68, v68 offset:4
.LBB8_96:                               ;   in Loop: Header=BB8_2 Depth=1
	s_or_saveexec_b64 s[24:25], s[24:25]
	v_mov_b32_e32 v69, v65
	s_xor_b64 exec, exec, s[24:25]
	s_cbranch_execz .LBB8_98
; %bb.97:                               ;   in Loop: Header=BB8_2 Depth=1
	s_waitcnt lgkmcnt(0)
	v_lshlrev_b32_e32 v68, 2, v66
	ds_read_b32 v69, v68 offset:4
	v_mov_b32_e32 v68, v64
.LBB8_98:                               ;   in Loop: Header=BB8_2 Depth=1
	s_or_b64 exec, exec, s[24:25]
	v_cndmask_b32_e64 v64, v64, v65, s[22:23]
	v_add_u32_e32 v65, 1, v66
	v_add_u32_e32 v70, 1, v67
	v_cndmask_b32_e64 v65, v66, v65, s[22:23]
	v_cndmask_b32_e64 v66, v70, v67, s[22:23]
	;; [unrolled: 1-line block ×4, first 2 shown]
	v_cmp_ge_i32_e64 s[12:13], v66, v23
	s_waitcnt lgkmcnt(0)
	v_cmp_lt_i32_e64 s[14:15], v69, v68
	v_cndmask_b32_e64 v52, v52, v53, s[10:11]
	v_cmp_lt_i32_e64 s[10:11], v65, v24
	s_or_b64 s[12:13], s[12:13], s[14:15]
	s_and_b64 s[10:11], s[10:11], s[12:13]
	v_cndmask_b32_e64 v62, v62, v63, s[20:21]
	v_cndmask_b32_e64 v60, v60, v61, s[18:19]
	;; [unrolled: 1-line block ×4, first 2 shown]
	s_waitcnt lgkmcnt(0)
	; wave barrier
	ds_write2_b32 v2, v52, v54 offset1:1
	ds_write2_b32 v2, v56, v58 offset0:2 offset1:3
	ds_write2_b32 v2, v60, v62 offset0:4 offset1:5
	;; [unrolled: 1-line block ×3, first 2 shown]
	v_mov_b32_e32 v54, v36
	s_waitcnt lgkmcnt(0)
	; wave barrier
	s_waitcnt lgkmcnt(0)
	s_and_saveexec_b64 s[12:13], s[4:5]
	s_cbranch_execz .LBB8_102
; %bb.99:                               ;   in Loop: Header=BB8_2 Depth=1
	s_mov_b64 s[14:15], 0
	v_mov_b32_e32 v54, v36
	v_mov_b32_e32 v52, v37
.LBB8_100:                              ;   Parent Loop BB8_2 Depth=1
                                        ; =>  This Inner Loop Header: Depth=2
	v_sub_u32_e32 v53, v52, v54
	v_lshrrev_b32_e32 v55, 31, v53
	v_add_u32_e32 v53, v53, v55
	v_ashrrev_i32_e32 v53, 1, v53
	v_add_u32_e32 v53, v53, v54
	v_xad_u32 v56, v53, -1, v31
	v_lshl_add_u32 v55, v53, 2, v34
	v_lshl_add_u32 v56, v56, 2, v35
	ds_read_b32 v55, v55
	ds_read_b32 v56, v56
	v_add_u32_e32 v57, 1, v53
	s_waitcnt lgkmcnt(0)
	v_cmp_lt_i32_e64 s[10:11], v56, v55
	s_nop 1
	v_cndmask_b32_e64 v52, v52, v53, s[10:11]
	v_cndmask_b32_e64 v54, v57, v54, s[10:11]
	v_cmp_ge_i32_e64 s[10:11], v54, v52
	s_or_b64 s[14:15], s[10:11], s[14:15]
	s_andn2_b64 exec, exec, s[14:15]
	s_cbranch_execnz .LBB8_100
; %bb.101:                              ;   in Loop: Header=BB8_2 Depth=1
	s_or_b64 exec, exec, s[14:15]
.LBB8_102:                              ;   in Loop: Header=BB8_2 Depth=1
	s_or_b64 exec, exec, s[12:13]
	v_sub_u32_e32 v56, v38, v54
	v_lshl_add_u32 v59, v54, 2, v34
	v_lshlrev_b32_e32 v58, 2, v56
	ds_read_b32 v52, v59
	ds_read_b32 v53, v58
	v_add_u32_e32 v57, v54, v30
	v_cmp_le_i32_e64 s[12:13], v32, v57
	v_cmp_gt_i32_e64 s[10:11], v33, v56
                                        ; implicit-def: $vgpr54
                                        ; implicit-def: $vgpr55
	s_waitcnt lgkmcnt(0)
	v_cmp_lt_i32_e64 s[14:15], v53, v52
	s_or_b64 s[12:13], s[12:13], s[14:15]
	s_and_b64 s[10:11], s[10:11], s[12:13]
	s_xor_b64 s[12:13], s[10:11], -1
	s_and_saveexec_b64 s[14:15], s[12:13]
	s_xor_b64 s[12:13], exec, s[14:15]
	s_cbranch_execz .LBB8_104
; %bb.103:                              ;   in Loop: Header=BB8_2 Depth=1
	ds_read_b32 v55, v59 offset:4
	v_mov_b32_e32 v54, v53
                                        ; implicit-def: $vgpr58
.LBB8_104:                              ;   in Loop: Header=BB8_2 Depth=1
	s_andn2_saveexec_b64 s[12:13], s[12:13]
	s_cbranch_execz .LBB8_106
; %bb.105:                              ;   in Loop: Header=BB8_2 Depth=1
	ds_read_b32 v54, v58 offset:4
	s_waitcnt lgkmcnt(1)
	v_mov_b32_e32 v55, v52
.LBB8_106:                              ;   in Loop: Header=BB8_2 Depth=1
	s_or_b64 exec, exec, s[12:13]
	v_add_u32_e32 v59, 1, v57
	v_add_u32_e32 v58, 1, v56
	v_cndmask_b32_e64 v59, v59, v57, s[10:11]
	v_cndmask_b32_e64 v58, v56, v58, s[10:11]
	v_cmp_ge_i32_e64 s[14:15], v59, v32
	s_waitcnt lgkmcnt(0)
	v_cmp_lt_i32_e64 s[16:17], v54, v55
	v_cmp_lt_i32_e64 s[12:13], v58, v33
	s_or_b64 s[14:15], s[14:15], s[16:17]
	s_and_b64 s[12:13], s[12:13], s[14:15]
	s_xor_b64 s[14:15], s[12:13], -1
                                        ; implicit-def: $vgpr56
	s_and_saveexec_b64 s[16:17], s[14:15]
	s_xor_b64 s[14:15], exec, s[16:17]
	s_cbranch_execz .LBB8_108
; %bb.107:                              ;   in Loop: Header=BB8_2 Depth=1
	v_lshlrev_b32_e32 v56, 2, v59
	ds_read_b32 v56, v56 offset:4
.LBB8_108:                              ;   in Loop: Header=BB8_2 Depth=1
	s_or_saveexec_b64 s[14:15], s[14:15]
	v_mov_b32_e32 v57, v54
	s_xor_b64 exec, exec, s[14:15]
	s_cbranch_execz .LBB8_110
; %bb.109:                              ;   in Loop: Header=BB8_2 Depth=1
	s_waitcnt lgkmcnt(0)
	v_lshlrev_b32_e32 v56, 2, v58
	ds_read_b32 v57, v56 offset:4
	v_mov_b32_e32 v56, v55
.LBB8_110:                              ;   in Loop: Header=BB8_2 Depth=1
	s_or_b64 exec, exec, s[14:15]
	v_add_u32_e32 v61, 1, v59
	v_add_u32_e32 v60, 1, v58
	v_cndmask_b32_e64 v61, v61, v59, s[12:13]
	v_cndmask_b32_e64 v60, v58, v60, s[12:13]
	v_cmp_ge_i32_e64 s[16:17], v61, v32
	s_waitcnt lgkmcnt(0)
	v_cmp_lt_i32_e64 s[18:19], v57, v56
	v_cmp_lt_i32_e64 s[14:15], v60, v33
	s_or_b64 s[16:17], s[16:17], s[18:19]
	s_and_b64 s[14:15], s[14:15], s[16:17]
	s_xor_b64 s[16:17], s[14:15], -1
                                        ; implicit-def: $vgpr58
	s_and_saveexec_b64 s[18:19], s[16:17]
	s_xor_b64 s[16:17], exec, s[18:19]
	s_cbranch_execz .LBB8_112
; %bb.111:                              ;   in Loop: Header=BB8_2 Depth=1
	v_lshlrev_b32_e32 v58, 2, v61
	ds_read_b32 v58, v58 offset:4
.LBB8_112:                              ;   in Loop: Header=BB8_2 Depth=1
	s_or_saveexec_b64 s[16:17], s[16:17]
	v_mov_b32_e32 v59, v57
	s_xor_b64 exec, exec, s[16:17]
	s_cbranch_execz .LBB8_114
; %bb.113:                              ;   in Loop: Header=BB8_2 Depth=1
	s_waitcnt lgkmcnt(0)
	v_lshlrev_b32_e32 v58, 2, v60
	ds_read_b32 v59, v58 offset:4
	v_mov_b32_e32 v58, v56
.LBB8_114:                              ;   in Loop: Header=BB8_2 Depth=1
	s_or_b64 exec, exec, s[16:17]
	v_add_u32_e32 v63, 1, v61
	v_add_u32_e32 v62, 1, v60
	v_cndmask_b32_e64 v63, v63, v61, s[14:15]
	v_cndmask_b32_e64 v62, v60, v62, s[14:15]
	v_cmp_ge_i32_e64 s[18:19], v63, v32
	s_waitcnt lgkmcnt(0)
	v_cmp_lt_i32_e64 s[20:21], v59, v58
	v_cmp_lt_i32_e64 s[16:17], v62, v33
	s_or_b64 s[18:19], s[18:19], s[20:21]
	s_and_b64 s[16:17], s[16:17], s[18:19]
	s_xor_b64 s[18:19], s[16:17], -1
                                        ; implicit-def: $vgpr60
	s_and_saveexec_b64 s[20:21], s[18:19]
	s_xor_b64 s[18:19], exec, s[20:21]
	s_cbranch_execz .LBB8_116
; %bb.115:                              ;   in Loop: Header=BB8_2 Depth=1
	v_lshlrev_b32_e32 v60, 2, v63
	ds_read_b32 v60, v60 offset:4
.LBB8_116:                              ;   in Loop: Header=BB8_2 Depth=1
	s_or_saveexec_b64 s[18:19], s[18:19]
	v_mov_b32_e32 v61, v59
	s_xor_b64 exec, exec, s[18:19]
	s_cbranch_execz .LBB8_118
; %bb.117:                              ;   in Loop: Header=BB8_2 Depth=1
	s_waitcnt lgkmcnt(0)
	v_lshlrev_b32_e32 v60, 2, v62
	ds_read_b32 v61, v60 offset:4
	v_mov_b32_e32 v60, v58
.LBB8_118:                              ;   in Loop: Header=BB8_2 Depth=1
	s_or_b64 exec, exec, s[18:19]
	v_add_u32_e32 v65, 1, v63
	v_add_u32_e32 v64, 1, v62
	v_cndmask_b32_e64 v65, v65, v63, s[16:17]
	v_cndmask_b32_e64 v64, v62, v64, s[16:17]
	v_cmp_ge_i32_e64 s[20:21], v65, v32
	s_waitcnt lgkmcnt(0)
	v_cmp_lt_i32_e64 s[22:23], v61, v60
	v_cmp_lt_i32_e64 s[18:19], v64, v33
	s_or_b64 s[20:21], s[20:21], s[22:23]
	s_and_b64 s[18:19], s[18:19], s[20:21]
	s_xor_b64 s[20:21], s[18:19], -1
                                        ; implicit-def: $vgpr62
	s_and_saveexec_b64 s[22:23], s[20:21]
	s_xor_b64 s[20:21], exec, s[22:23]
	s_cbranch_execz .LBB8_120
; %bb.119:                              ;   in Loop: Header=BB8_2 Depth=1
	v_lshlrev_b32_e32 v62, 2, v65
	ds_read_b32 v62, v62 offset:4
.LBB8_120:                              ;   in Loop: Header=BB8_2 Depth=1
	s_or_saveexec_b64 s[20:21], s[20:21]
	v_mov_b32_e32 v63, v61
	s_xor_b64 exec, exec, s[20:21]
	s_cbranch_execz .LBB8_122
; %bb.121:                              ;   in Loop: Header=BB8_2 Depth=1
	s_waitcnt lgkmcnt(0)
	v_lshlrev_b32_e32 v62, 2, v64
	ds_read_b32 v63, v62 offset:4
	v_mov_b32_e32 v62, v60
.LBB8_122:                              ;   in Loop: Header=BB8_2 Depth=1
	s_or_b64 exec, exec, s[20:21]
	v_add_u32_e32 v67, 1, v65
	v_add_u32_e32 v66, 1, v64
	v_cndmask_b32_e64 v67, v67, v65, s[18:19]
	v_cndmask_b32_e64 v66, v64, v66, s[18:19]
	v_cmp_ge_i32_e64 s[22:23], v67, v32
	s_waitcnt lgkmcnt(0)
	v_cmp_lt_i32_e64 s[24:25], v63, v62
	v_cmp_lt_i32_e64 s[20:21], v66, v33
	s_or_b64 s[22:23], s[22:23], s[24:25]
	s_and_b64 s[20:21], s[20:21], s[22:23]
	s_xor_b64 s[22:23], s[20:21], -1
                                        ; implicit-def: $vgpr64
	s_and_saveexec_b64 s[24:25], s[22:23]
	s_xor_b64 s[22:23], exec, s[24:25]
	s_cbranch_execz .LBB8_124
; %bb.123:                              ;   in Loop: Header=BB8_2 Depth=1
	v_lshlrev_b32_e32 v64, 2, v67
	ds_read_b32 v64, v64 offset:4
.LBB8_124:                              ;   in Loop: Header=BB8_2 Depth=1
	s_or_saveexec_b64 s[22:23], s[22:23]
	v_mov_b32_e32 v65, v63
	s_xor_b64 exec, exec, s[22:23]
	s_cbranch_execz .LBB8_126
; %bb.125:                              ;   in Loop: Header=BB8_2 Depth=1
	s_waitcnt lgkmcnt(0)
	v_lshlrev_b32_e32 v64, 2, v66
	ds_read_b32 v65, v64 offset:4
	v_mov_b32_e32 v64, v62
.LBB8_126:                              ;   in Loop: Header=BB8_2 Depth=1
	s_or_b64 exec, exec, s[22:23]
	v_add_u32_e32 v69, 1, v67
	v_add_u32_e32 v68, 1, v66
	v_cndmask_b32_e64 v67, v69, v67, s[20:21]
	v_cndmask_b32_e64 v66, v66, v68, s[20:21]
	v_cmp_ge_i32_e64 s[24:25], v67, v32
	s_waitcnt lgkmcnt(0)
	v_cmp_lt_i32_e64 s[26:27], v65, v64
	v_cmp_lt_i32_e64 s[22:23], v66, v33
	s_or_b64 s[24:25], s[24:25], s[26:27]
	s_and_b64 s[22:23], s[22:23], s[24:25]
	s_xor_b64 s[24:25], s[22:23], -1
                                        ; implicit-def: $vgpr68
	s_and_saveexec_b64 s[26:27], s[24:25]
	s_xor_b64 s[24:25], exec, s[26:27]
	s_cbranch_execz .LBB8_128
; %bb.127:                              ;   in Loop: Header=BB8_2 Depth=1
	v_lshlrev_b32_e32 v68, 2, v67
	ds_read_b32 v68, v68 offset:4
.LBB8_128:                              ;   in Loop: Header=BB8_2 Depth=1
	s_or_saveexec_b64 s[24:25], s[24:25]
	v_mov_b32_e32 v69, v65
	s_xor_b64 exec, exec, s[24:25]
	s_cbranch_execz .LBB8_130
; %bb.129:                              ;   in Loop: Header=BB8_2 Depth=1
	s_waitcnt lgkmcnt(0)
	v_lshlrev_b32_e32 v68, 2, v66
	ds_read_b32 v69, v68 offset:4
	v_mov_b32_e32 v68, v64
.LBB8_130:                              ;   in Loop: Header=BB8_2 Depth=1
	s_or_b64 exec, exec, s[24:25]
	v_cndmask_b32_e64 v64, v64, v65, s[22:23]
	v_add_u32_e32 v65, 1, v66
	v_add_u32_e32 v70, 1, v67
	v_cndmask_b32_e64 v65, v66, v65, s[22:23]
	v_cndmask_b32_e64 v66, v70, v67, s[22:23]
	;; [unrolled: 1-line block ×4, first 2 shown]
	v_cmp_ge_i32_e64 s[12:13], v66, v32
	s_waitcnt lgkmcnt(0)
	v_cmp_lt_i32_e64 s[14:15], v69, v68
	v_cndmask_b32_e64 v52, v52, v53, s[10:11]
	v_cmp_lt_i32_e64 s[10:11], v65, v33
	s_or_b64 s[12:13], s[12:13], s[14:15]
	s_and_b64 s[10:11], s[10:11], s[12:13]
	v_cndmask_b32_e64 v62, v62, v63, s[20:21]
	v_cndmask_b32_e64 v60, v60, v61, s[18:19]
	;; [unrolled: 1-line block ×4, first 2 shown]
	s_waitcnt lgkmcnt(0)
	; wave barrier
	ds_write2_b32 v2, v52, v54 offset1:1
	ds_write2_b32 v2, v56, v58 offset0:2 offset1:3
	ds_write2_b32 v2, v60, v62 offset0:4 offset1:5
	;; [unrolled: 1-line block ×3, first 2 shown]
	v_mov_b32_e32 v54, v46
	s_waitcnt lgkmcnt(0)
	; wave barrier
	s_waitcnt lgkmcnt(0)
	s_and_saveexec_b64 s[12:13], s[6:7]
	s_cbranch_execz .LBB8_134
; %bb.131:                              ;   in Loop: Header=BB8_2 Depth=1
	s_mov_b64 s[14:15], 0
	v_mov_b32_e32 v54, v46
	v_mov_b32_e32 v52, v47
.LBB8_132:                              ;   Parent Loop BB8_2 Depth=1
                                        ; =>  This Inner Loop Header: Depth=2
	v_sub_u32_e32 v53, v52, v54
	v_lshrrev_b32_e32 v55, 31, v53
	v_add_u32_e32 v53, v53, v55
	v_ashrrev_i32_e32 v53, 1, v53
	v_add_u32_e32 v53, v53, v54
	v_xad_u32 v56, v53, -1, v41
	v_lshl_add_u32 v55, v53, 2, v44
	v_lshl_add_u32 v56, v56, 2, v45
	ds_read_b32 v55, v55
	ds_read_b32 v56, v56
	v_add_u32_e32 v57, 1, v53
	s_waitcnt lgkmcnt(0)
	v_cmp_lt_i32_e64 s[10:11], v56, v55
	s_nop 1
	v_cndmask_b32_e64 v52, v52, v53, s[10:11]
	v_cndmask_b32_e64 v54, v57, v54, s[10:11]
	v_cmp_ge_i32_e64 s[10:11], v54, v52
	s_or_b64 s[14:15], s[10:11], s[14:15]
	s_andn2_b64 exec, exec, s[14:15]
	s_cbranch_execnz .LBB8_132
; %bb.133:                              ;   in Loop: Header=BB8_2 Depth=1
	s_or_b64 exec, exec, s[14:15]
.LBB8_134:                              ;   in Loop: Header=BB8_2 Depth=1
	s_or_b64 exec, exec, s[12:13]
	v_sub_u32_e32 v56, v48, v54
	v_lshl_add_u32 v59, v54, 2, v44
	v_lshlrev_b32_e32 v58, 2, v56
	ds_read_b32 v52, v59
	ds_read_b32 v53, v58
	v_add_u32_e32 v57, v54, v40
	v_cmp_le_i32_e64 s[12:13], v42, v57
	v_cmp_gt_i32_e64 s[10:11], v43, v56
                                        ; implicit-def: $vgpr54
                                        ; implicit-def: $vgpr55
	s_waitcnt lgkmcnt(0)
	v_cmp_lt_i32_e64 s[14:15], v53, v52
	s_or_b64 s[12:13], s[12:13], s[14:15]
	s_and_b64 s[10:11], s[10:11], s[12:13]
	s_xor_b64 s[12:13], s[10:11], -1
	s_and_saveexec_b64 s[14:15], s[12:13]
	s_xor_b64 s[12:13], exec, s[14:15]
	s_cbranch_execz .LBB8_136
; %bb.135:                              ;   in Loop: Header=BB8_2 Depth=1
	ds_read_b32 v55, v59 offset:4
	v_mov_b32_e32 v54, v53
                                        ; implicit-def: $vgpr58
.LBB8_136:                              ;   in Loop: Header=BB8_2 Depth=1
	s_andn2_saveexec_b64 s[12:13], s[12:13]
	s_cbranch_execz .LBB8_138
; %bb.137:                              ;   in Loop: Header=BB8_2 Depth=1
	ds_read_b32 v54, v58 offset:4
	s_waitcnt lgkmcnt(1)
	v_mov_b32_e32 v55, v52
.LBB8_138:                              ;   in Loop: Header=BB8_2 Depth=1
	s_or_b64 exec, exec, s[12:13]
	v_add_u32_e32 v59, 1, v57
	v_add_u32_e32 v58, 1, v56
	v_cndmask_b32_e64 v59, v59, v57, s[10:11]
	v_cndmask_b32_e64 v58, v56, v58, s[10:11]
	v_cmp_ge_i32_e64 s[14:15], v59, v42
	s_waitcnt lgkmcnt(0)
	v_cmp_lt_i32_e64 s[16:17], v54, v55
	v_cmp_lt_i32_e64 s[12:13], v58, v43
	s_or_b64 s[14:15], s[14:15], s[16:17]
	s_and_b64 s[12:13], s[12:13], s[14:15]
	s_xor_b64 s[14:15], s[12:13], -1
                                        ; implicit-def: $vgpr56
	s_and_saveexec_b64 s[16:17], s[14:15]
	s_xor_b64 s[14:15], exec, s[16:17]
	s_cbranch_execz .LBB8_140
; %bb.139:                              ;   in Loop: Header=BB8_2 Depth=1
	v_lshlrev_b32_e32 v56, 2, v59
	ds_read_b32 v56, v56 offset:4
.LBB8_140:                              ;   in Loop: Header=BB8_2 Depth=1
	s_or_saveexec_b64 s[14:15], s[14:15]
	v_mov_b32_e32 v57, v54
	s_xor_b64 exec, exec, s[14:15]
	s_cbranch_execz .LBB8_142
; %bb.141:                              ;   in Loop: Header=BB8_2 Depth=1
	s_waitcnt lgkmcnt(0)
	v_lshlrev_b32_e32 v56, 2, v58
	ds_read_b32 v57, v56 offset:4
	v_mov_b32_e32 v56, v55
.LBB8_142:                              ;   in Loop: Header=BB8_2 Depth=1
	s_or_b64 exec, exec, s[14:15]
	v_add_u32_e32 v61, 1, v59
	v_add_u32_e32 v60, 1, v58
	v_cndmask_b32_e64 v61, v61, v59, s[12:13]
	v_cndmask_b32_e64 v60, v58, v60, s[12:13]
	v_cmp_ge_i32_e64 s[16:17], v61, v42
	s_waitcnt lgkmcnt(0)
	v_cmp_lt_i32_e64 s[18:19], v57, v56
	v_cmp_lt_i32_e64 s[14:15], v60, v43
	s_or_b64 s[16:17], s[16:17], s[18:19]
	s_and_b64 s[14:15], s[14:15], s[16:17]
	s_xor_b64 s[16:17], s[14:15], -1
                                        ; implicit-def: $vgpr58
	s_and_saveexec_b64 s[18:19], s[16:17]
	s_xor_b64 s[16:17], exec, s[18:19]
	s_cbranch_execz .LBB8_144
; %bb.143:                              ;   in Loop: Header=BB8_2 Depth=1
	v_lshlrev_b32_e32 v58, 2, v61
	ds_read_b32 v58, v58 offset:4
.LBB8_144:                              ;   in Loop: Header=BB8_2 Depth=1
	s_or_saveexec_b64 s[16:17], s[16:17]
	v_mov_b32_e32 v59, v57
	s_xor_b64 exec, exec, s[16:17]
	s_cbranch_execz .LBB8_146
; %bb.145:                              ;   in Loop: Header=BB8_2 Depth=1
	s_waitcnt lgkmcnt(0)
	v_lshlrev_b32_e32 v58, 2, v60
	ds_read_b32 v59, v58 offset:4
	v_mov_b32_e32 v58, v56
.LBB8_146:                              ;   in Loop: Header=BB8_2 Depth=1
	s_or_b64 exec, exec, s[16:17]
	v_add_u32_e32 v63, 1, v61
	v_add_u32_e32 v62, 1, v60
	v_cndmask_b32_e64 v63, v63, v61, s[14:15]
	v_cndmask_b32_e64 v62, v60, v62, s[14:15]
	v_cmp_ge_i32_e64 s[18:19], v63, v42
	s_waitcnt lgkmcnt(0)
	v_cmp_lt_i32_e64 s[20:21], v59, v58
	v_cmp_lt_i32_e64 s[16:17], v62, v43
	s_or_b64 s[18:19], s[18:19], s[20:21]
	s_and_b64 s[16:17], s[16:17], s[18:19]
	s_xor_b64 s[18:19], s[16:17], -1
                                        ; implicit-def: $vgpr60
	s_and_saveexec_b64 s[20:21], s[18:19]
	s_xor_b64 s[18:19], exec, s[20:21]
	s_cbranch_execz .LBB8_148
; %bb.147:                              ;   in Loop: Header=BB8_2 Depth=1
	v_lshlrev_b32_e32 v60, 2, v63
	ds_read_b32 v60, v60 offset:4
.LBB8_148:                              ;   in Loop: Header=BB8_2 Depth=1
	s_or_saveexec_b64 s[18:19], s[18:19]
	v_mov_b32_e32 v61, v59
	s_xor_b64 exec, exec, s[18:19]
	s_cbranch_execz .LBB8_150
; %bb.149:                              ;   in Loop: Header=BB8_2 Depth=1
	s_waitcnt lgkmcnt(0)
	v_lshlrev_b32_e32 v60, 2, v62
	ds_read_b32 v61, v60 offset:4
	v_mov_b32_e32 v60, v58
.LBB8_150:                              ;   in Loop: Header=BB8_2 Depth=1
	s_or_b64 exec, exec, s[18:19]
	v_add_u32_e32 v65, 1, v63
	v_add_u32_e32 v64, 1, v62
	v_cndmask_b32_e64 v65, v65, v63, s[16:17]
	v_cndmask_b32_e64 v64, v62, v64, s[16:17]
	v_cmp_ge_i32_e64 s[20:21], v65, v42
	s_waitcnt lgkmcnt(0)
	v_cmp_lt_i32_e64 s[22:23], v61, v60
	v_cmp_lt_i32_e64 s[18:19], v64, v43
	s_or_b64 s[20:21], s[20:21], s[22:23]
	s_and_b64 s[18:19], s[18:19], s[20:21]
	s_xor_b64 s[20:21], s[18:19], -1
                                        ; implicit-def: $vgpr62
	s_and_saveexec_b64 s[22:23], s[20:21]
	s_xor_b64 s[20:21], exec, s[22:23]
	s_cbranch_execz .LBB8_152
; %bb.151:                              ;   in Loop: Header=BB8_2 Depth=1
	v_lshlrev_b32_e32 v62, 2, v65
	ds_read_b32 v62, v62 offset:4
.LBB8_152:                              ;   in Loop: Header=BB8_2 Depth=1
	s_or_saveexec_b64 s[20:21], s[20:21]
	v_mov_b32_e32 v63, v61
	s_xor_b64 exec, exec, s[20:21]
	s_cbranch_execz .LBB8_154
; %bb.153:                              ;   in Loop: Header=BB8_2 Depth=1
	s_waitcnt lgkmcnt(0)
	v_lshlrev_b32_e32 v62, 2, v64
	ds_read_b32 v63, v62 offset:4
	v_mov_b32_e32 v62, v60
.LBB8_154:                              ;   in Loop: Header=BB8_2 Depth=1
	s_or_b64 exec, exec, s[20:21]
	v_add_u32_e32 v67, 1, v65
	v_add_u32_e32 v66, 1, v64
	v_cndmask_b32_e64 v67, v67, v65, s[18:19]
	v_cndmask_b32_e64 v66, v64, v66, s[18:19]
	v_cmp_ge_i32_e64 s[22:23], v67, v42
	s_waitcnt lgkmcnt(0)
	v_cmp_lt_i32_e64 s[24:25], v63, v62
	v_cmp_lt_i32_e64 s[20:21], v66, v43
	s_or_b64 s[22:23], s[22:23], s[24:25]
	s_and_b64 s[20:21], s[20:21], s[22:23]
	s_xor_b64 s[22:23], s[20:21], -1
                                        ; implicit-def: $vgpr64
	s_and_saveexec_b64 s[24:25], s[22:23]
	s_xor_b64 s[22:23], exec, s[24:25]
	s_cbranch_execz .LBB8_156
; %bb.155:                              ;   in Loop: Header=BB8_2 Depth=1
	v_lshlrev_b32_e32 v64, 2, v67
	ds_read_b32 v64, v64 offset:4
.LBB8_156:                              ;   in Loop: Header=BB8_2 Depth=1
	s_or_saveexec_b64 s[22:23], s[22:23]
	v_mov_b32_e32 v65, v63
	s_xor_b64 exec, exec, s[22:23]
	s_cbranch_execz .LBB8_158
; %bb.157:                              ;   in Loop: Header=BB8_2 Depth=1
	s_waitcnt lgkmcnt(0)
	v_lshlrev_b32_e32 v64, 2, v66
	ds_read_b32 v65, v64 offset:4
	v_mov_b32_e32 v64, v62
.LBB8_158:                              ;   in Loop: Header=BB8_2 Depth=1
	s_or_b64 exec, exec, s[22:23]
	v_add_u32_e32 v69, 1, v67
	v_add_u32_e32 v68, 1, v66
	v_cndmask_b32_e64 v67, v69, v67, s[20:21]
	v_cndmask_b32_e64 v66, v66, v68, s[20:21]
	v_cmp_ge_i32_e64 s[24:25], v67, v42
	s_waitcnt lgkmcnt(0)
	v_cmp_lt_i32_e64 s[26:27], v65, v64
	v_cmp_lt_i32_e64 s[22:23], v66, v43
	s_or_b64 s[24:25], s[24:25], s[26:27]
	s_and_b64 s[22:23], s[22:23], s[24:25]
	s_xor_b64 s[24:25], s[22:23], -1
                                        ; implicit-def: $vgpr68
	s_and_saveexec_b64 s[26:27], s[24:25]
	s_xor_b64 s[24:25], exec, s[26:27]
	s_cbranch_execz .LBB8_160
; %bb.159:                              ;   in Loop: Header=BB8_2 Depth=1
	v_lshlrev_b32_e32 v68, 2, v67
	ds_read_b32 v68, v68 offset:4
.LBB8_160:                              ;   in Loop: Header=BB8_2 Depth=1
	s_or_saveexec_b64 s[24:25], s[24:25]
	v_mov_b32_e32 v69, v65
	s_xor_b64 exec, exec, s[24:25]
	s_cbranch_execz .LBB8_162
; %bb.161:                              ;   in Loop: Header=BB8_2 Depth=1
	s_waitcnt lgkmcnt(0)
	v_lshlrev_b32_e32 v68, 2, v66
	ds_read_b32 v69, v68 offset:4
	v_mov_b32_e32 v68, v64
.LBB8_162:                              ;   in Loop: Header=BB8_2 Depth=1
	s_or_b64 exec, exec, s[24:25]
	v_cndmask_b32_e64 v64, v64, v65, s[22:23]
	v_add_u32_e32 v65, 1, v66
	v_add_u32_e32 v70, 1, v67
	v_cndmask_b32_e64 v65, v66, v65, s[22:23]
	v_cndmask_b32_e64 v66, v70, v67, s[22:23]
	;; [unrolled: 1-line block ×4, first 2 shown]
	v_cmp_ge_i32_e64 s[12:13], v66, v42
	s_waitcnt lgkmcnt(0)
	v_cmp_lt_i32_e64 s[14:15], v69, v68
	v_cndmask_b32_e64 v52, v52, v53, s[10:11]
	v_cmp_lt_i32_e64 s[10:11], v65, v43
	s_or_b64 s[12:13], s[12:13], s[14:15]
	s_and_b64 s[10:11], s[10:11], s[12:13]
	v_cndmask_b32_e64 v62, v62, v63, s[20:21]
	v_cndmask_b32_e64 v60, v60, v61, s[18:19]
	;; [unrolled: 1-line block ×4, first 2 shown]
	s_waitcnt lgkmcnt(0)
	; wave barrier
	ds_write2_b32 v2, v52, v54 offset1:1
	ds_write2_b32 v2, v56, v58 offset0:2 offset1:3
	ds_write2_b32 v2, v60, v62 offset0:4 offset1:5
	ds_write2_b32 v2, v64, v53 offset0:6 offset1:7
	v_mov_b32_e32 v56, v49
	s_waitcnt lgkmcnt(0)
	; wave barrier
	s_waitcnt lgkmcnt(0)
	s_and_saveexec_b64 s[12:13], s[8:9]
	s_cbranch_execz .LBB8_166
; %bb.163:                              ;   in Loop: Header=BB8_2 Depth=1
	s_mov_b64 s[14:15], 0
	v_mov_b32_e32 v56, v49
	v_mov_b32_e32 v52, v50
.LBB8_164:                              ;   Parent Loop BB8_2 Depth=1
                                        ; =>  This Inner Loop Header: Depth=2
	v_sub_u32_e32 v53, v52, v56
	v_lshrrev_b32_e32 v54, 31, v53
	v_add_u32_e32 v53, v53, v54
	v_ashrrev_i32_e32 v53, 1, v53
	v_add_u32_e32 v53, v53, v56
	v_xad_u32 v55, v53, -1, v1
	v_mov_b32_e32 v57, 0x400
	v_lshlrev_b32_e32 v54, 2, v53
	v_lshl_add_u32 v55, v55, 2, v57
	ds_read_b32 v54, v54
	ds_read_b32 v55, v55
	v_add_u32_e32 v57, 1, v53
	s_waitcnt lgkmcnt(0)
	v_cmp_lt_i32_e64 s[10:11], v55, v54
	s_nop 1
	v_cndmask_b32_e64 v52, v52, v53, s[10:11]
	v_cndmask_b32_e64 v56, v57, v56, s[10:11]
	v_cmp_ge_i32_e64 s[10:11], v56, v52
	s_or_b64 s[14:15], s[10:11], s[14:15]
	s_andn2_b64 exec, exec, s[14:15]
	s_cbranch_execnz .LBB8_164
; %bb.165:                              ;   in Loop: Header=BB8_2 Depth=1
	s_or_b64 exec, exec, s[14:15]
.LBB8_166:                              ;   in Loop: Header=BB8_2 Depth=1
	s_or_b64 exec, exec, s[12:13]
	v_sub_u32_e32 v57, v51, v56
	v_lshlrev_b32_e32 v59, 2, v56
	v_lshlrev_b32_e32 v58, 2, v57
	ds_read_b32 v52, v59
	ds_read_b32 v53, v58
	v_cmp_le_i32_e64 s[12:13], v39, v56
	v_cmp_gt_i32_e64 s[10:11], s28, v57
                                        ; implicit-def: $vgpr54
                                        ; implicit-def: $vgpr55
	s_waitcnt lgkmcnt(0)
	v_cmp_lt_i32_e64 s[14:15], v53, v52
	s_or_b64 s[12:13], s[12:13], s[14:15]
	s_and_b64 s[10:11], s[10:11], s[12:13]
	s_xor_b64 s[12:13], s[10:11], -1
	s_and_saveexec_b64 s[14:15], s[12:13]
	s_xor_b64 s[12:13], exec, s[14:15]
	s_cbranch_execz .LBB8_168
; %bb.167:                              ;   in Loop: Header=BB8_2 Depth=1
	ds_read_b32 v55, v59 offset:4
	v_mov_b32_e32 v54, v53
                                        ; implicit-def: $vgpr58
.LBB8_168:                              ;   in Loop: Header=BB8_2 Depth=1
	s_andn2_saveexec_b64 s[12:13], s[12:13]
	s_cbranch_execz .LBB8_170
; %bb.169:                              ;   in Loop: Header=BB8_2 Depth=1
	ds_read_b32 v54, v58 offset:4
	s_waitcnt lgkmcnt(1)
	v_mov_b32_e32 v55, v52
.LBB8_170:                              ;   in Loop: Header=BB8_2 Depth=1
	s_or_b64 exec, exec, s[12:13]
	v_add_u32_e32 v59, 1, v56
	v_add_u32_e32 v58, 1, v57
	v_cndmask_b32_e64 v59, v59, v56, s[10:11]
	v_cndmask_b32_e64 v58, v57, v58, s[10:11]
	v_cmp_ge_i32_e64 s[14:15], v59, v39
	s_waitcnt lgkmcnt(0)
	v_cmp_lt_i32_e64 s[16:17], v54, v55
	v_cmp_gt_i32_e64 s[12:13], s28, v58
	s_or_b64 s[14:15], s[14:15], s[16:17]
	s_and_b64 s[12:13], s[12:13], s[14:15]
	s_xor_b64 s[14:15], s[12:13], -1
                                        ; implicit-def: $vgpr56
	s_and_saveexec_b64 s[16:17], s[14:15]
	s_xor_b64 s[14:15], exec, s[16:17]
	s_cbranch_execz .LBB8_172
; %bb.171:                              ;   in Loop: Header=BB8_2 Depth=1
	v_lshlrev_b32_e32 v56, 2, v59
	ds_read_b32 v56, v56 offset:4
.LBB8_172:                              ;   in Loop: Header=BB8_2 Depth=1
	s_or_saveexec_b64 s[14:15], s[14:15]
	v_mov_b32_e32 v57, v54
	s_xor_b64 exec, exec, s[14:15]
	s_cbranch_execz .LBB8_174
; %bb.173:                              ;   in Loop: Header=BB8_2 Depth=1
	s_waitcnt lgkmcnt(0)
	v_lshlrev_b32_e32 v56, 2, v58
	ds_read_b32 v57, v56 offset:4
	v_mov_b32_e32 v56, v55
.LBB8_174:                              ;   in Loop: Header=BB8_2 Depth=1
	s_or_b64 exec, exec, s[14:15]
	v_add_u32_e32 v61, 1, v59
	v_add_u32_e32 v60, 1, v58
	v_cndmask_b32_e64 v61, v61, v59, s[12:13]
	v_cndmask_b32_e64 v60, v58, v60, s[12:13]
	v_cmp_ge_i32_e64 s[16:17], v61, v39
	s_waitcnt lgkmcnt(0)
	v_cmp_lt_i32_e64 s[18:19], v57, v56
	v_cmp_gt_i32_e64 s[14:15], s28, v60
	s_or_b64 s[16:17], s[16:17], s[18:19]
	s_and_b64 s[14:15], s[14:15], s[16:17]
	s_xor_b64 s[16:17], s[14:15], -1
                                        ; implicit-def: $vgpr58
	s_and_saveexec_b64 s[18:19], s[16:17]
	s_xor_b64 s[16:17], exec, s[18:19]
	s_cbranch_execz .LBB8_176
; %bb.175:                              ;   in Loop: Header=BB8_2 Depth=1
	v_lshlrev_b32_e32 v58, 2, v61
	ds_read_b32 v58, v58 offset:4
.LBB8_176:                              ;   in Loop: Header=BB8_2 Depth=1
	s_or_saveexec_b64 s[16:17], s[16:17]
	v_mov_b32_e32 v59, v57
	s_xor_b64 exec, exec, s[16:17]
	s_cbranch_execz .LBB8_178
; %bb.177:                              ;   in Loop: Header=BB8_2 Depth=1
	s_waitcnt lgkmcnt(0)
	v_lshlrev_b32_e32 v58, 2, v60
	ds_read_b32 v59, v58 offset:4
	v_mov_b32_e32 v58, v56
.LBB8_178:                              ;   in Loop: Header=BB8_2 Depth=1
	s_or_b64 exec, exec, s[16:17]
	v_add_u32_e32 v63, 1, v61
	v_add_u32_e32 v62, 1, v60
	v_cndmask_b32_e64 v63, v63, v61, s[14:15]
	v_cndmask_b32_e64 v62, v60, v62, s[14:15]
	v_cmp_ge_i32_e64 s[18:19], v63, v39
	s_waitcnt lgkmcnt(0)
	v_cmp_lt_i32_e64 s[20:21], v59, v58
	v_cmp_gt_i32_e64 s[16:17], s28, v62
	s_or_b64 s[18:19], s[18:19], s[20:21]
	s_and_b64 s[16:17], s[16:17], s[18:19]
	s_xor_b64 s[18:19], s[16:17], -1
                                        ; implicit-def: $vgpr60
	s_and_saveexec_b64 s[20:21], s[18:19]
	s_xor_b64 s[18:19], exec, s[20:21]
	s_cbranch_execz .LBB8_180
; %bb.179:                              ;   in Loop: Header=BB8_2 Depth=1
	v_lshlrev_b32_e32 v60, 2, v63
	ds_read_b32 v60, v60 offset:4
.LBB8_180:                              ;   in Loop: Header=BB8_2 Depth=1
	s_or_saveexec_b64 s[18:19], s[18:19]
	v_mov_b32_e32 v61, v59
	s_xor_b64 exec, exec, s[18:19]
	s_cbranch_execz .LBB8_182
; %bb.181:                              ;   in Loop: Header=BB8_2 Depth=1
	s_waitcnt lgkmcnt(0)
	v_lshlrev_b32_e32 v60, 2, v62
	ds_read_b32 v61, v60 offset:4
	v_mov_b32_e32 v60, v58
.LBB8_182:                              ;   in Loop: Header=BB8_2 Depth=1
	s_or_b64 exec, exec, s[18:19]
	v_add_u32_e32 v65, 1, v63
	v_add_u32_e32 v64, 1, v62
	v_cndmask_b32_e64 v63, v65, v63, s[16:17]
	v_cndmask_b32_e64 v62, v62, v64, s[16:17]
	v_cmp_ge_i32_e64 s[20:21], v63, v39
	s_waitcnt lgkmcnt(0)
	v_cmp_lt_i32_e64 s[22:23], v61, v60
	v_cmp_gt_i32_e64 s[18:19], s28, v62
	s_or_b64 s[20:21], s[20:21], s[22:23]
	s_and_b64 s[18:19], s[18:19], s[20:21]
	s_xor_b64 s[20:21], s[18:19], -1
                                        ; implicit-def: $vgpr64
	s_and_saveexec_b64 s[22:23], s[20:21]
	s_xor_b64 s[20:21], exec, s[22:23]
	s_cbranch_execz .LBB8_184
; %bb.183:                              ;   in Loop: Header=BB8_2 Depth=1
	v_lshlrev_b32_e32 v64, 2, v63
	ds_read_b32 v64, v64 offset:4
.LBB8_184:                              ;   in Loop: Header=BB8_2 Depth=1
	s_or_saveexec_b64 s[20:21], s[20:21]
	v_mov_b32_e32 v65, v61
	s_xor_b64 exec, exec, s[20:21]
	s_cbranch_execz .LBB8_186
; %bb.185:                              ;   in Loop: Header=BB8_2 Depth=1
	s_waitcnt lgkmcnt(0)
	v_lshlrev_b32_e32 v64, 2, v62
	ds_read_b32 v65, v64 offset:4
	v_mov_b32_e32 v64, v60
.LBB8_186:                              ;   in Loop: Header=BB8_2 Depth=1
	s_or_b64 exec, exec, s[20:21]
	v_add_u32_e32 v67, 1, v63
	v_add_u32_e32 v66, 1, v62
	v_cndmask_b32_e64 v63, v67, v63, s[18:19]
	v_cndmask_b32_e64 v62, v62, v66, s[18:19]
	v_cmp_ge_i32_e64 s[22:23], v63, v39
	s_waitcnt lgkmcnt(0)
	v_cmp_lt_i32_e64 s[24:25], v65, v64
	v_cmp_gt_i32_e64 s[20:21], s28, v62
	s_or_b64 s[22:23], s[22:23], s[24:25]
	s_and_b64 s[20:21], s[20:21], s[22:23]
	s_xor_b64 s[22:23], s[20:21], -1
                                        ; implicit-def: $vgpr66
	s_and_saveexec_b64 s[24:25], s[22:23]
	s_xor_b64 s[22:23], exec, s[24:25]
	s_cbranch_execz .LBB8_188
; %bb.187:                              ;   in Loop: Header=BB8_2 Depth=1
	v_lshlrev_b32_e32 v66, 2, v63
	ds_read_b32 v66, v66 offset:4
.LBB8_188:                              ;   in Loop: Header=BB8_2 Depth=1
	s_or_saveexec_b64 s[22:23], s[22:23]
	v_mov_b32_e32 v67, v65
	s_xor_b64 exec, exec, s[22:23]
	s_cbranch_execz .LBB8_190
; %bb.189:                              ;   in Loop: Header=BB8_2 Depth=1
	s_waitcnt lgkmcnt(0)
	v_lshlrev_b32_e32 v66, 2, v62
	ds_read_b32 v67, v66 offset:4
	v_mov_b32_e32 v66, v64
.LBB8_190:                              ;   in Loop: Header=BB8_2 Depth=1
	s_or_b64 exec, exec, s[22:23]
	v_add_u32_e32 v68, 1, v62
	v_add_u32_e32 v69, 1, v63
	v_cndmask_b32_e64 v68, v62, v68, s[20:21]
	v_cndmask_b32_e64 v62, v69, v63, s[20:21]
	v_cmp_ge_i32_e64 s[24:25], v62, v39
	s_waitcnt lgkmcnt(0)
	v_cmp_lt_i32_e64 s[26:27], v67, v66
	v_cmp_gt_i32_e64 s[22:23], s28, v68
	s_or_b64 s[24:25], s[24:25], s[26:27]
	s_and_b64 s[22:23], s[22:23], s[24:25]
	s_xor_b64 s[24:25], s[22:23], -1
                                        ; implicit-def: $vgpr69
                                        ; implicit-def: $vgpr70
	s_and_saveexec_b64 s[26:27], s[24:25]
	s_xor_b64 s[24:25], exec, s[26:27]
	s_cbranch_execz .LBB8_192
; %bb.191:                              ;   in Loop: Header=BB8_2 Depth=1
	v_lshlrev_b32_e32 v63, 2, v62
	ds_read_b32 v69, v63 offset:4
	v_add_u32_e32 v70, 1, v62
                                        ; implicit-def: $vgpr62
.LBB8_192:                              ;   in Loop: Header=BB8_2 Depth=1
	s_or_saveexec_b64 s[24:25], s[24:25]
	v_mov_b32_e32 v71, v67
	s_xor_b64 exec, exec, s[24:25]
	s_cbranch_execz .LBB8_1
; %bb.193:                              ;   in Loop: Header=BB8_2 Depth=1
	v_lshlrev_b32_e32 v63, 2, v68
	ds_read_b32 v71, v63 offset:4
	v_add_u32_e32 v68, 1, v68
	v_mov_b32_e32 v70, v62
	s_waitcnt lgkmcnt(1)
	v_mov_b32_e32 v69, v66
	s_branch .LBB8_1
.LBB8_194:
	s_add_u32 s0, s30, s36
	s_addc_u32 s1, s31, s37
	v_lshlrev_b32_e32 v0, 2, v0
	global_store_dword v0, v62, s[0:1]
	global_store_dword v0, v63, s[0:1] offset:256
	global_store_dword v0, v55, s[0:1] offset:512
	;; [unrolled: 1-line block ×7, first 2 shown]
	s_endpgm
	.section	.rodata,"a",@progbits
	.p2align	6, 0x0
	.amdhsa_kernel _Z16sort_keys_kernelIiLj64ELj8EN10test_utils4lessELj10EEvPKT_PS2_T2_
		.amdhsa_group_segment_fixed_size 2052
		.amdhsa_private_segment_fixed_size 0
		.amdhsa_kernarg_size 20
		.amdhsa_user_sgpr_count 2
		.amdhsa_user_sgpr_dispatch_ptr 0
		.amdhsa_user_sgpr_queue_ptr 0
		.amdhsa_user_sgpr_kernarg_segment_ptr 1
		.amdhsa_user_sgpr_dispatch_id 0
		.amdhsa_user_sgpr_kernarg_preload_length 0
		.amdhsa_user_sgpr_kernarg_preload_offset 0
		.amdhsa_user_sgpr_private_segment_size 0
		.amdhsa_uses_dynamic_stack 0
		.amdhsa_enable_private_segment 0
		.amdhsa_system_sgpr_workgroup_id_x 1
		.amdhsa_system_sgpr_workgroup_id_y 0
		.amdhsa_system_sgpr_workgroup_id_z 0
		.amdhsa_system_sgpr_workgroup_info 0
		.amdhsa_system_vgpr_workitem_id 0
		.amdhsa_next_free_vgpr 72
		.amdhsa_next_free_sgpr 38
		.amdhsa_accum_offset 72
		.amdhsa_reserve_vcc 1
		.amdhsa_float_round_mode_32 0
		.amdhsa_float_round_mode_16_64 0
		.amdhsa_float_denorm_mode_32 3
		.amdhsa_float_denorm_mode_16_64 3
		.amdhsa_dx10_clamp 1
		.amdhsa_ieee_mode 1
		.amdhsa_fp16_overflow 0
		.amdhsa_tg_split 0
		.amdhsa_exception_fp_ieee_invalid_op 0
		.amdhsa_exception_fp_denorm_src 0
		.amdhsa_exception_fp_ieee_div_zero 0
		.amdhsa_exception_fp_ieee_overflow 0
		.amdhsa_exception_fp_ieee_underflow 0
		.amdhsa_exception_fp_ieee_inexact 0
		.amdhsa_exception_int_div_zero 0
	.end_amdhsa_kernel
	.section	.text._Z16sort_keys_kernelIiLj64ELj8EN10test_utils4lessELj10EEvPKT_PS2_T2_,"axG",@progbits,_Z16sort_keys_kernelIiLj64ELj8EN10test_utils4lessELj10EEvPKT_PS2_T2_,comdat
.Lfunc_end8:
	.size	_Z16sort_keys_kernelIiLj64ELj8EN10test_utils4lessELj10EEvPKT_PS2_T2_, .Lfunc_end8-_Z16sort_keys_kernelIiLj64ELj8EN10test_utils4lessELj10EEvPKT_PS2_T2_
                                        ; -- End function
	.section	.AMDGPU.csdata,"",@progbits
; Kernel info:
; codeLenInByte = 8812
; NumSgprs: 44
; NumVgprs: 72
; NumAgprs: 0
; TotalNumVgprs: 72
; ScratchSize: 0
; MemoryBound: 0
; FloatMode: 240
; IeeeMode: 1
; LDSByteSize: 2052 bytes/workgroup (compile time only)
; SGPRBlocks: 5
; VGPRBlocks: 8
; NumSGPRsForWavesPerEU: 44
; NumVGPRsForWavesPerEU: 72
; AccumOffset: 72
; Occupancy: 7
; WaveLimiterHint : 1
; COMPUTE_PGM_RSRC2:SCRATCH_EN: 0
; COMPUTE_PGM_RSRC2:USER_SGPR: 2
; COMPUTE_PGM_RSRC2:TRAP_HANDLER: 0
; COMPUTE_PGM_RSRC2:TGID_X_EN: 1
; COMPUTE_PGM_RSRC2:TGID_Y_EN: 0
; COMPUTE_PGM_RSRC2:TGID_Z_EN: 0
; COMPUTE_PGM_RSRC2:TIDIG_COMP_CNT: 0
; COMPUTE_PGM_RSRC3_GFX90A:ACCUM_OFFSET: 17
; COMPUTE_PGM_RSRC3_GFX90A:TG_SPLIT: 0
	.section	.text._Z17sort_pairs_kernelIiLj64ELj8EN10test_utils4lessELj10EEvPKT_PS2_T2_,"axG",@progbits,_Z17sort_pairs_kernelIiLj64ELj8EN10test_utils4lessELj10EEvPKT_PS2_T2_,comdat
	.protected	_Z17sort_pairs_kernelIiLj64ELj8EN10test_utils4lessELj10EEvPKT_PS2_T2_ ; -- Begin function _Z17sort_pairs_kernelIiLj64ELj8EN10test_utils4lessELj10EEvPKT_PS2_T2_
	.globl	_Z17sort_pairs_kernelIiLj64ELj8EN10test_utils4lessELj10EEvPKT_PS2_T2_
	.p2align	8
	.type	_Z17sort_pairs_kernelIiLj64ELj8EN10test_utils4lessELj10EEvPKT_PS2_T2_,@function
_Z17sort_pairs_kernelIiLj64ELj8EN10test_utils4lessELj10EEvPKT_PS2_T2_: ; @_Z17sort_pairs_kernelIiLj64ELj8EN10test_utils4lessELj10EEvPKT_PS2_T2_
; %bb.0:
	s_load_dwordx4 s[84:87], s[0:1], 0x0
	s_lshl_b32 s90, s2, 9
	s_mov_b32 s91, 0
	s_lshl_b64 s[88:89], s[90:91], 2
	v_lshlrev_b32_e32 v1, 2, v0
	s_waitcnt lgkmcnt(0)
	s_add_u32 s0, s84, s88
	s_addc_u32 s1, s85, s89
	global_load_dword v69, v1, s[0:1]
	global_load_dword v66, v1, s[0:1] offset:256
	global_load_dword v64, v1, s[0:1] offset:512
	global_load_dword v65, v1, s[0:1] offset:768
	global_load_dword v63, v1, s[0:1] offset:1024
	global_load_dword v62, v1, s[0:1] offset:1280
	global_load_dword v67, v1, s[0:1] offset:1536
	global_load_dword v61, v1, s[0:1] offset:1792
	v_lshlrev_b32_e32 v2, 3, v0
	v_and_b32_e32 v4, 0x1f0, v2
	v_and_b32_e32 v6, 0x1e0, v2
	v_or_b32_e32 v14, 8, v4
	v_add_u32_e32 v15, 16, v4
	v_and_b32_e32 v5, 8, v2
	v_and_b32_e32 v8, 0x1c0, v2
	v_or_b32_e32 v17, 16, v6
	v_add_u32_e32 v18, 32, v6
	v_sub_u32_e32 v35, v15, v14
	v_and_b32_e32 v7, 24, v2
	v_and_b32_e32 v10, 0x180, v2
	v_or_b32_e32 v20, 32, v8
	v_add_u32_e32 v21, 64, v8
	v_sub_u32_e32 v36, v18, v17
	v_sub_u32_e32 v41, v5, v35
	v_cmp_ge_i32_e32 vcc, v5, v35
	v_and_b32_e32 v9, 56, v2
	v_and_b32_e32 v12, 0x100, v2
	v_or_b32_e32 v23, 64, v10
	v_add_u32_e32 v24, 0x80, v10
	v_sub_u32_e32 v37, v21, v20
	v_sub_u32_e32 v42, v7, v36
	v_cndmask_b32_e32 v35, 0, v41, vcc
	v_cmp_ge_i32_e32 vcc, v7, v36
	v_and_b32_e32 v11, 0x78, v2
	v_or_b32_e32 v25, 0x80, v12
	v_add_u32_e32 v26, 0x100, v12
	v_sub_u32_e32 v38, v24, v23
	v_sub_u32_e32 v43, v9, v37
	v_cndmask_b32_e32 v36, 0, v42, vcc
	v_cmp_ge_i32_e32 vcc, v9, v37
	v_and_b32_e32 v13, 0xf8, v2
	v_sub_u32_e32 v39, v26, v25
	v_sub_u32_e32 v44, v11, v38
	v_cndmask_b32_e32 v37, 0, v43, vcc
	v_cmp_ge_i32_e32 vcc, v11, v38
	v_mov_b32_e32 v1, 0x100
	v_sub_u32_e32 v31, v14, v4
	v_sub_u32_e32 v32, v17, v6
	;; [unrolled: 1-line block ×6, first 2 shown]
	v_cndmask_b32_e32 v38, 0, v44, vcc
	v_cmp_ge_i32_e32 vcc, v13, v39
	v_min_i32_e32 v31, v5, v31
	v_min_i32_e32 v32, v7, v32
	;; [unrolled: 1-line block ×4, first 2 shown]
	v_cndmask_b32_e32 v39, 0, v45, vcc
	v_min_i32_e32 v40, v13, v40
	v_sub_u32_e64 v41, v2, v1 clamp
	v_min_i32_e32 v42, 0x100, v2
	v_lshlrev_b32_e32 v3, 5, v0
	v_lshlrev_b32_e32 v16, 2, v4
	;; [unrolled: 1-line block ×5, first 2 shown]
	v_add_u32_e32 v28, v14, v5
	v_lshlrev_b32_e32 v29, 2, v17
	v_add_u32_e32 v30, v17, v7
	v_cmp_lt_i32_e32 vcc, v35, v31
	v_cmp_lt_i32_e64 s[0:1], v36, v32
	v_cmp_lt_i32_e64 s[2:3], v37, v33
	;; [unrolled: 1-line block ×5, first 2 shown]
	s_movk_i32 s33, 0x200
	v_lshlrev_b32_e32 v43, 2, v20
	v_add_u32_e32 v44, v20, v9
	v_lshlrev_b32_e32 v45, 2, v10
	s_waitcnt vmcnt(7)
	v_add_u32_e32 v53, 1, v69
	s_waitcnt vmcnt(6)
	v_add_u32_e32 v57, 1, v66
	;; [unrolled: 2-line block ×8, first 2 shown]
	v_lshlrev_b32_e32 v46, 2, v23
	v_add_u32_e32 v47, v23, v11
	v_lshlrev_b32_e32 v48, 2, v12
	v_lshlrev_b32_e32 v49, 2, v25
	v_add_u32_e32 v50, v25, v13
	v_mov_b32_e32 v51, 0x400
	v_add_u32_e32 v52, 0x100, v2
	s_branch .LBB9_2
.LBB9_1:                                ;   in Loop: Header=BB9_2 Depth=1
	s_or_b64 exec, exec, s[24:25]
	v_cndmask_b32_e64 v69, v63, v64, s[10:11]
	v_cndmask_b32_e64 v66, v66, v65, s[12:13]
	;; [unrolled: 1-line block ×5, first 2 shown]
	v_cmp_ge_i32_e64 s[12:13], v90, v1
	s_waitcnt lgkmcnt(0)
	v_cmp_lt_i32_e64 s[14:15], v92, v91
	v_cndmask_b32_e64 v62, v61, v62, s[10:11]
	v_cmp_gt_i32_e64 s[10:11], s33, v88
	s_or_b64 s[12:13], s[12:13], s[14:15]
	v_cndmask_b32_e64 v65, v74, v75, s[16:17]
	v_cndmask_b32_e64 v70, v87, v86, s[18:19]
	;; [unrolled: 1-line block ×4, first 2 shown]
	s_and_b64 s[10:11], s[10:11], s[12:13]
	v_cndmask_b32_e64 v68, v90, v88, s[10:11]
	s_waitcnt lgkmcnt(0)
	; wave barrier
	ds_write2_b32 v3, v53, v54 offset1:1
	ds_write2_b32 v3, v55, v56 offset0:2 offset1:3
	ds_write2_b32 v3, v57, v58 offset0:4 offset1:5
	;; [unrolled: 1-line block ×3, first 2 shown]
	v_lshlrev_b32_e32 v53, 2, v62
	v_lshlrev_b32_e32 v54, 2, v67
	;; [unrolled: 1-line block ×6, first 2 shown]
	s_waitcnt lgkmcnt(0)
	; wave barrier
	s_waitcnt lgkmcnt(0)
	v_lshlrev_b32_e32 v62, 2, v89
	v_lshlrev_b32_e32 v67, 2, v68
	ds_read_b32 v53, v53
	ds_read_b32 v57, v54
	;; [unrolled: 1-line block ×8, first 2 shown]
	s_add_i32 s91, s91, 1
	v_cndmask_b32_e64 v63, v79, v81, s[20:21]
	v_cndmask_b32_e64 v61, v91, v92, s[10:11]
	;; [unrolled: 1-line block ×3, first 2 shown]
	s_cmp_eq_u32 s91, 10
	v_cndmask_b32_e64 v67, v84, v85, s[22:23]
	s_cbranch_scc1 .LBB9_194
.LBB9_2:                                ; =>This Loop Header: Depth=1
                                        ;     Child Loop BB9_4 Depth 2
                                        ;     Child Loop BB9_36 Depth 2
	;; [unrolled: 1-line block ×6, first 2 shown]
	v_cmp_lt_i32_e64 s[10:11], v66, v69
	v_cmp_lt_i32_e64 s[12:13], v65, v64
	v_cmp_lt_i32_e64 s[14:15], v62, v63
	v_cmp_lt_i32_e64 s[16:17], v61, v67
	v_cndmask_b32_e64 v68, v69, v66, s[10:11]
	v_cndmask_b32_e64 v66, v66, v69, s[10:11]
	v_cndmask_b32_e64 v69, v65, v64, s[12:13]
	v_cndmask_b32_e64 v64, v64, v65, s[12:13]
	v_cndmask_b32_e64 v65, v62, v63, s[14:15]
	v_cndmask_b32_e64 v62, v63, v62, s[14:15]
	v_cndmask_b32_e64 v63, v61, v67, s[16:17]
	v_cndmask_b32_e64 v61, v67, v61, s[16:17]
	v_cmp_lt_i32_e64 s[18:19], v64, v66
	v_cmp_lt_i32_e64 s[20:21], v62, v69
	v_cmp_lt_i32_e64 s[22:23], v61, v65
	v_cndmask_b32_e64 v67, v64, v66, s[18:19]
	v_cndmask_b32_e64 v64, v66, v64, s[18:19]
	v_cndmask_b32_e64 v66, v62, v69, s[20:21]
	v_cndmask_b32_e64 v62, v69, v62, s[20:21]
	v_cndmask_b32_e64 v69, v61, v65, s[22:23]
	v_cndmask_b32_e64 v61, v65, v61, s[22:23]
	v_cmp_lt_i32_e64 s[24:25], v64, v68
	v_cmp_lt_i32_e64 s[26:27], v62, v67
	v_cmp_lt_i32_e64 s[28:29], v61, v66
	v_cmp_lt_i32_e64 s[30:31], v63, v69
	v_cndmask_b32_e64 v65, v68, v64, s[24:25]
	v_cndmask_b32_e64 v64, v64, v68, s[24:25]
	v_cndmask_b32_e64 v68, v62, v67, s[26:27]
	v_cndmask_b32_e64 v62, v67, v62, s[26:27]
	v_cndmask_b32_e64 v67, v61, v66, s[28:29]
	v_cndmask_b32_e64 v61, v66, v61, s[28:29]
	v_cndmask_b32_e64 v66, v63, v69, s[30:31]
	v_cndmask_b32_e64 v63, v69, v63, s[30:31]
	v_cmp_lt_i32_e64 s[34:35], v62, v64
	v_cmp_lt_i32_e64 s[36:37], v61, v68
	v_cmp_lt_i32_e64 s[38:39], v63, v67
	v_cndmask_b32_e64 v69, v62, v64, s[34:35]
	v_cndmask_b32_e64 v62, v64, v62, s[34:35]
	v_cndmask_b32_e64 v64, v61, v68, s[36:37]
	v_cndmask_b32_e64 v61, v68, v61, s[36:37]
	v_cndmask_b32_e64 v68, v63, v67, s[38:39]
	v_cndmask_b32_e64 v63, v67, v63, s[38:39]
	;; [unrolled: 21-line block ×3, first 2 shown]
	v_cmp_lt_i32_e64 s[54:55], v61, v67
	v_cmp_lt_i32_e64 s[56:57], v63, v68
	;; [unrolled: 1-line block ×3, first 2 shown]
	v_cndmask_b32_e64 v69, v67, v61, s[54:55]
	v_cndmask_b32_e64 v61, v61, v67, s[54:55]
	;; [unrolled: 1-line block ×6, first 2 shown]
	v_cmp_lt_i32_e64 s[60:61], v64, v65
	v_cmp_lt_i32_e64 s[62:63], v63, v61
	;; [unrolled: 1-line block ×3, first 2 shown]
	v_cndmask_b32_e64 v66, v64, v65, s[60:61]
	v_cndmask_b32_e64 v64, v65, v64, s[60:61]
	;; [unrolled: 1-line block ×5, first 2 shown]
	v_cmp_lt_i32_e64 s[66:67], v64, v68
	v_cndmask_b32_e64 v62, v67, v62, s[64:65]
	s_nop 0
	v_cndmask_b32_e64 v67, v64, v68, s[66:67]
	v_cndmask_b32_e64 v64, v68, v64, s[66:67]
	; wave barrier
	ds_write2_b32 v3, v69, v61 offset1:1
	ds_write2_b32 v3, v65, v62 offset0:2 offset1:3
	ds_write2_b32 v3, v63, v64 offset0:4 offset1:5
	;; [unrolled: 1-line block ×3, first 2 shown]
	v_mov_b32_e32 v63, v35
	s_waitcnt lgkmcnt(0)
	; wave barrier
	s_waitcnt lgkmcnt(0)
	s_and_saveexec_b64 s[70:71], vcc
	s_cbranch_execz .LBB9_6
; %bb.3:                                ;   in Loop: Header=BB9_2 Depth=1
	s_mov_b64 s[72:73], 0
	v_mov_b32_e32 v63, v35
	v_mov_b32_e32 v61, v31
.LBB9_4:                                ;   Parent Loop BB9_2 Depth=1
                                        ; =>  This Inner Loop Header: Depth=2
	v_sub_u32_e32 v62, v61, v63
	v_lshrrev_b32_e32 v64, 31, v62
	v_add_u32_e32 v62, v62, v64
	v_ashrrev_i32_e32 v62, 1, v62
	v_add_u32_e32 v62, v62, v63
	v_xad_u32 v65, v62, -1, v5
	v_lshl_add_u32 v64, v62, 2, v16
	v_lshl_add_u32 v65, v65, 2, v27
	ds_read_b32 v64, v64
	ds_read_b32 v65, v65
	v_add_u32_e32 v66, 1, v62
	s_waitcnt lgkmcnt(0)
	v_cmp_lt_i32_e64 s[68:69], v65, v64
	s_nop 1
	v_cndmask_b32_e64 v61, v61, v62, s[68:69]
	v_cndmask_b32_e64 v63, v66, v63, s[68:69]
	v_cmp_ge_i32_e64 s[68:69], v63, v61
	s_or_b64 s[72:73], s[68:69], s[72:73]
	s_andn2_b64 exec, exec, s[72:73]
	s_cbranch_execnz .LBB9_4
; %bb.5:                                ;   in Loop: Header=BB9_2 Depth=1
	s_or_b64 exec, exec, s[72:73]
.LBB9_6:                                ;   in Loop: Header=BB9_2 Depth=1
	s_or_b64 exec, exec, s[70:71]
	v_sub_u32_e32 v61, v28, v63
	v_lshl_add_u32 v68, v63, 2, v16
	v_lshlrev_b32_e32 v67, 2, v61
	ds_read_b32 v62, v68
	ds_read_b32 v64, v67
	v_add_u32_e32 v63, v63, v4
	v_cmp_le_i32_e64 s[70:71], v14, v63
	v_cmp_gt_i32_e64 s[68:69], v15, v61
                                        ; implicit-def: $vgpr65
                                        ; implicit-def: $vgpr66
	s_waitcnt lgkmcnt(0)
	v_cmp_lt_i32_e64 s[72:73], v64, v62
	s_or_b64 s[70:71], s[70:71], s[72:73]
	s_and_b64 s[68:69], s[68:69], s[70:71]
	s_xor_b64 s[70:71], s[68:69], -1
	s_and_saveexec_b64 s[72:73], s[70:71]
	s_xor_b64 s[70:71], exec, s[72:73]
	s_cbranch_execz .LBB9_8
; %bb.7:                                ;   in Loop: Header=BB9_2 Depth=1
	ds_read_b32 v66, v68 offset:4
	v_mov_b32_e32 v65, v64
                                        ; implicit-def: $vgpr67
.LBB9_8:                                ;   in Loop: Header=BB9_2 Depth=1
	s_andn2_saveexec_b64 s[70:71], s[70:71]
	s_cbranch_execz .LBB9_10
; %bb.9:                                ;   in Loop: Header=BB9_2 Depth=1
	ds_read_b32 v65, v67 offset:4
	s_waitcnt lgkmcnt(1)
	v_mov_b32_e32 v66, v62
.LBB9_10:                               ;   in Loop: Header=BB9_2 Depth=1
	s_or_b64 exec, exec, s[70:71]
	v_add_u32_e32 v68, 1, v63
	v_add_u32_e32 v67, 1, v61
	v_cndmask_b32_e64 v68, v68, v63, s[68:69]
	v_cndmask_b32_e64 v67, v61, v67, s[68:69]
	v_cmp_ge_i32_e64 s[72:73], v68, v14
	s_waitcnt lgkmcnt(0)
	v_cmp_lt_i32_e64 s[74:75], v65, v66
	v_cmp_lt_i32_e64 s[70:71], v67, v15
	s_or_b64 s[72:73], s[72:73], s[74:75]
	s_and_b64 s[70:71], s[70:71], s[72:73]
	s_xor_b64 s[72:73], s[70:71], -1
                                        ; implicit-def: $vgpr69
	s_and_saveexec_b64 s[74:75], s[72:73]
	s_xor_b64 s[72:73], exec, s[74:75]
	s_cbranch_execz .LBB9_12
; %bb.11:                               ;   in Loop: Header=BB9_2 Depth=1
	v_lshlrev_b32_e32 v69, 2, v68
	ds_read_b32 v69, v69 offset:4
.LBB9_12:                               ;   in Loop: Header=BB9_2 Depth=1
	s_or_saveexec_b64 s[72:73], s[72:73]
	v_mov_b32_e32 v70, v65
	s_xor_b64 exec, exec, s[72:73]
	s_cbranch_execz .LBB9_14
; %bb.13:                               ;   in Loop: Header=BB9_2 Depth=1
	s_waitcnt lgkmcnt(0)
	v_lshlrev_b32_e32 v69, 2, v67
	ds_read_b32 v70, v69 offset:4
	v_mov_b32_e32 v69, v66
.LBB9_14:                               ;   in Loop: Header=BB9_2 Depth=1
	s_or_b64 exec, exec, s[72:73]
	v_add_u32_e32 v72, 1, v68
	v_add_u32_e32 v71, 1, v67
	v_cndmask_b32_e64 v72, v72, v68, s[70:71]
	v_cndmask_b32_e64 v71, v67, v71, s[70:71]
	v_cmp_ge_i32_e64 s[74:75], v72, v14
	s_waitcnt lgkmcnt(0)
	v_cmp_lt_i32_e64 s[76:77], v70, v69
	v_cmp_lt_i32_e64 s[72:73], v71, v15
	s_or_b64 s[74:75], s[74:75], s[76:77]
	s_and_b64 s[72:73], s[72:73], s[74:75]
	s_xor_b64 s[74:75], s[72:73], -1
                                        ; implicit-def: $vgpr73
	s_and_saveexec_b64 s[76:77], s[74:75]
	s_xor_b64 s[74:75], exec, s[76:77]
	s_cbranch_execz .LBB9_16
; %bb.15:                               ;   in Loop: Header=BB9_2 Depth=1
	v_lshlrev_b32_e32 v73, 2, v72
	ds_read_b32 v73, v73 offset:4
.LBB9_16:                               ;   in Loop: Header=BB9_2 Depth=1
	s_or_saveexec_b64 s[74:75], s[74:75]
	v_mov_b32_e32 v74, v70
	s_xor_b64 exec, exec, s[74:75]
	s_cbranch_execz .LBB9_18
; %bb.17:                               ;   in Loop: Header=BB9_2 Depth=1
	s_waitcnt lgkmcnt(0)
	v_lshlrev_b32_e32 v73, 2, v71
	ds_read_b32 v74, v73 offset:4
	v_mov_b32_e32 v73, v69
.LBB9_18:                               ;   in Loop: Header=BB9_2 Depth=1
	s_or_b64 exec, exec, s[74:75]
	v_add_u32_e32 v76, 1, v72
	v_add_u32_e32 v75, 1, v71
	v_cndmask_b32_e64 v76, v76, v72, s[72:73]
	v_cndmask_b32_e64 v75, v71, v75, s[72:73]
	v_cmp_ge_i32_e64 s[76:77], v76, v14
	s_waitcnt lgkmcnt(0)
	v_cmp_lt_i32_e64 s[78:79], v74, v73
	v_cmp_lt_i32_e64 s[74:75], v75, v15
	s_or_b64 s[76:77], s[76:77], s[78:79]
	s_and_b64 s[74:75], s[74:75], s[76:77]
	s_xor_b64 s[76:77], s[74:75], -1
                                        ; implicit-def: $vgpr77
	s_and_saveexec_b64 s[78:79], s[76:77]
	s_xor_b64 s[76:77], exec, s[78:79]
	s_cbranch_execz .LBB9_20
; %bb.19:                               ;   in Loop: Header=BB9_2 Depth=1
	v_lshlrev_b32_e32 v77, 2, v76
	ds_read_b32 v77, v77 offset:4
.LBB9_20:                               ;   in Loop: Header=BB9_2 Depth=1
	s_or_saveexec_b64 s[76:77], s[76:77]
	v_mov_b32_e32 v78, v74
	s_xor_b64 exec, exec, s[76:77]
	s_cbranch_execz .LBB9_22
; %bb.21:                               ;   in Loop: Header=BB9_2 Depth=1
	s_waitcnt lgkmcnt(0)
	v_lshlrev_b32_e32 v77, 2, v75
	ds_read_b32 v78, v77 offset:4
	v_mov_b32_e32 v77, v73
.LBB9_22:                               ;   in Loop: Header=BB9_2 Depth=1
	s_or_b64 exec, exec, s[76:77]
	v_add_u32_e32 v80, 1, v76
	v_add_u32_e32 v79, 1, v75
	v_cndmask_b32_e64 v80, v80, v76, s[74:75]
	v_cndmask_b32_e64 v79, v75, v79, s[74:75]
	v_cmp_ge_i32_e64 s[78:79], v80, v14
	s_waitcnt lgkmcnt(0)
	v_cmp_lt_i32_e64 s[80:81], v78, v77
	v_cmp_lt_i32_e64 s[76:77], v79, v15
	s_or_b64 s[78:79], s[78:79], s[80:81]
	s_and_b64 s[76:77], s[76:77], s[78:79]
	s_xor_b64 s[78:79], s[76:77], -1
                                        ; implicit-def: $vgpr81
	s_and_saveexec_b64 s[80:81], s[78:79]
	s_xor_b64 s[78:79], exec, s[80:81]
	s_cbranch_execz .LBB9_24
; %bb.23:                               ;   in Loop: Header=BB9_2 Depth=1
	v_lshlrev_b32_e32 v81, 2, v80
	ds_read_b32 v81, v81 offset:4
.LBB9_24:                               ;   in Loop: Header=BB9_2 Depth=1
	s_or_saveexec_b64 s[78:79], s[78:79]
	v_mov_b32_e32 v83, v78
	s_xor_b64 exec, exec, s[78:79]
	s_cbranch_execz .LBB9_26
; %bb.25:                               ;   in Loop: Header=BB9_2 Depth=1
	s_waitcnt lgkmcnt(0)
	v_lshlrev_b32_e32 v81, 2, v79
	ds_read_b32 v83, v81 offset:4
	v_mov_b32_e32 v81, v77
.LBB9_26:                               ;   in Loop: Header=BB9_2 Depth=1
	s_or_b64 exec, exec, s[78:79]
	v_add_u32_e32 v85, 1, v80
	v_add_u32_e32 v82, 1, v79
	v_cndmask_b32_e64 v85, v85, v80, s[76:77]
	v_cndmask_b32_e64 v84, v79, v82, s[76:77]
	v_cmp_ge_i32_e64 s[80:81], v85, v14
	s_waitcnt lgkmcnt(0)
	v_cmp_lt_i32_e64 s[82:83], v83, v81
	v_cmp_lt_i32_e64 s[78:79], v84, v15
	s_or_b64 s[80:81], s[80:81], s[82:83]
	s_and_b64 s[78:79], s[78:79], s[80:81]
	s_xor_b64 s[80:81], s[78:79], -1
                                        ; implicit-def: $vgpr87
	s_and_saveexec_b64 s[82:83], s[80:81]
	s_xor_b64 s[80:81], exec, s[82:83]
	s_cbranch_execz .LBB9_28
; %bb.27:                               ;   in Loop: Header=BB9_2 Depth=1
	v_lshlrev_b32_e32 v82, 2, v85
	ds_read_b32 v87, v82 offset:4
.LBB9_28:                               ;   in Loop: Header=BB9_2 Depth=1
	s_or_saveexec_b64 s[80:81], s[80:81]
	v_mov_b32_e32 v88, v83
	s_xor_b64 exec, exec, s[80:81]
	s_cbranch_execz .LBB9_30
; %bb.29:                               ;   in Loop: Header=BB9_2 Depth=1
	v_lshlrev_b32_e32 v82, 2, v84
	ds_read_b32 v88, v82 offset:4
	s_waitcnt lgkmcnt(1)
	v_mov_b32_e32 v87, v81
.LBB9_30:                               ;   in Loop: Header=BB9_2 Depth=1
	s_or_b64 exec, exec, s[80:81]
	v_add_u32_e32 v86, 1, v85
	v_add_u32_e32 v82, 1, v84
	v_cndmask_b32_e64 v90, v86, v85, s[78:79]
	v_cndmask_b32_e64 v89, v84, v82, s[78:79]
	v_cmp_ge_i32_e64 s[82:83], v90, v14
	s_waitcnt lgkmcnt(0)
	v_cmp_lt_i32_e64 s[84:85], v88, v87
	v_cmp_lt_i32_e64 s[80:81], v89, v15
	s_or_b64 s[82:83], s[82:83], s[84:85]
	s_and_b64 s[80:81], s[80:81], s[82:83]
	s_xor_b64 s[82:83], s[80:81], -1
                                        ; implicit-def: $vgpr82
	s_and_saveexec_b64 s[84:85], s[82:83]
	s_xor_b64 s[82:83], exec, s[84:85]
	s_cbranch_execz .LBB9_32
; %bb.31:                               ;   in Loop: Header=BB9_2 Depth=1
	v_lshlrev_b32_e32 v82, 2, v90
	ds_read_b32 v82, v82 offset:4
.LBB9_32:                               ;   in Loop: Header=BB9_2 Depth=1
	s_or_saveexec_b64 s[82:83], s[82:83]
	v_mov_b32_e32 v86, v88
	s_xor_b64 exec, exec, s[82:83]
	s_cbranch_execz .LBB9_34
; %bb.33:                               ;   in Loop: Header=BB9_2 Depth=1
	s_waitcnt lgkmcnt(0)
	v_lshlrev_b32_e32 v82, 2, v89
	ds_read_b32 v86, v82 offset:4
	v_mov_b32_e32 v82, v87
.LBB9_34:                               ;   in Loop: Header=BB9_2 Depth=1
	s_or_b64 exec, exec, s[82:83]
	v_cndmask_b32_e64 v61, v63, v61, s[68:69]
	v_cndmask_b32_e64 v63, v53, v57, s[10:11]
	;; [unrolled: 1-line block ×15, first 2 shown]
	v_add_u32_e32 v91, 1, v90
	v_cndmask_b32_e64 v58, v63, v53, s[24:25]
	v_cndmask_b32_e64 v53, v53, v63, s[24:25]
	;; [unrolled: 1-line block ×9, first 2 shown]
	v_add_u32_e32 v88, 1, v89
	v_cndmask_b32_e64 v91, v91, v90, s[80:81]
	v_cndmask_b32_e64 v59, v55, v53, s[34:35]
	;; [unrolled: 1-line block ×16, first 2 shown]
	v_cmp_ge_i32_e64 s[12:13], v91, v14
	s_waitcnt lgkmcnt(0)
	v_cmp_lt_i32_e64 s[14:15], v86, v82
	v_cndmask_b32_e64 v63, v54, v53, s[48:49]
	v_cndmask_b32_e64 v53, v53, v54, s[48:49]
	;; [unrolled: 1-line block ×6, first 2 shown]
	v_cmp_lt_i32_e64 s[10:11], v88, v15
	s_or_b64 s[12:13], s[12:13], s[14:15]
	v_cndmask_b32_e64 v59, v60, v53, s[54:55]
	v_cndmask_b32_e64 v53, v53, v60, s[54:55]
	;; [unrolled: 1-line block ×8, first 2 shown]
	s_and_b64 s[10:11], s[10:11], s[12:13]
	v_cndmask_b32_e64 v89, v90, v89, s[80:81]
	v_cndmask_b32_e64 v81, v81, v83, s[78:79]
	;; [unrolled: 1-line block ×19, first 2 shown]
	s_waitcnt lgkmcnt(0)
	; wave barrier
	ds_write2_b32 v3, v59, v53 offset1:1
	ds_write2_b32 v3, v58, v54 offset0:2 offset1:3
	ds_write2_b32 v3, v55, v57 offset0:4 offset1:5
	;; [unrolled: 1-line block ×3, first 2 shown]
	v_lshlrev_b32_e32 v53, 2, v61
	v_lshlrev_b32_e32 v54, 2, v66
	;; [unrolled: 1-line block ×8, first 2 shown]
	s_waitcnt lgkmcnt(0)
	; wave barrier
	s_waitcnt lgkmcnt(0)
	ds_read_b32 v53, v53
	ds_read_b32 v54, v54
	;; [unrolled: 1-line block ×8, first 2 shown]
	v_cndmask_b32_e64 v63, v82, v86, s[10:11]
	s_waitcnt lgkmcnt(0)
	; wave barrier
	s_waitcnt lgkmcnt(0)
	ds_write2_b32 v3, v62, v65 offset1:1
	ds_write2_b32 v3, v69, v73 offset0:2 offset1:3
	ds_write2_b32 v3, v77, v81 offset0:4 offset1:5
	;; [unrolled: 1-line block ×3, first 2 shown]
	v_mov_b32_e32 v63, v36
	s_waitcnt lgkmcnt(0)
	; wave barrier
	s_waitcnt lgkmcnt(0)
	s_and_saveexec_b64 s[12:13], s[0:1]
	s_cbranch_execz .LBB9_38
; %bb.35:                               ;   in Loop: Header=BB9_2 Depth=1
	s_mov_b64 s[14:15], 0
	v_mov_b32_e32 v63, v36
	v_mov_b32_e32 v61, v32
.LBB9_36:                               ;   Parent Loop BB9_2 Depth=1
                                        ; =>  This Inner Loop Header: Depth=2
	v_sub_u32_e32 v62, v61, v63
	v_lshrrev_b32_e32 v64, 31, v62
	v_add_u32_e32 v62, v62, v64
	v_ashrrev_i32_e32 v62, 1, v62
	v_add_u32_e32 v62, v62, v63
	v_xad_u32 v65, v62, -1, v7
	v_lshl_add_u32 v64, v62, 2, v19
	v_lshl_add_u32 v65, v65, 2, v29
	ds_read_b32 v64, v64
	ds_read_b32 v65, v65
	v_add_u32_e32 v66, 1, v62
	s_waitcnt lgkmcnt(0)
	v_cmp_lt_i32_e64 s[10:11], v65, v64
	s_nop 1
	v_cndmask_b32_e64 v61, v61, v62, s[10:11]
	v_cndmask_b32_e64 v63, v66, v63, s[10:11]
	v_cmp_ge_i32_e64 s[10:11], v63, v61
	s_or_b64 s[14:15], s[10:11], s[14:15]
	s_andn2_b64 exec, exec, s[14:15]
	s_cbranch_execnz .LBB9_36
; %bb.37:                               ;   in Loop: Header=BB9_2 Depth=1
	s_or_b64 exec, exec, s[14:15]
.LBB9_38:                               ;   in Loop: Header=BB9_2 Depth=1
	s_or_b64 exec, exec, s[12:13]
	v_sub_u32_e32 v61, v30, v63
	v_lshl_add_u32 v68, v63, 2, v19
	v_lshlrev_b32_e32 v67, 2, v61
	ds_read_b32 v62, v68
	ds_read_b32 v64, v67
	v_add_u32_e32 v63, v63, v6
	v_cmp_le_i32_e64 s[12:13], v17, v63
	v_cmp_gt_i32_e64 s[10:11], v18, v61
                                        ; implicit-def: $vgpr65
                                        ; implicit-def: $vgpr66
	s_waitcnt lgkmcnt(0)
	v_cmp_lt_i32_e64 s[14:15], v64, v62
	s_or_b64 s[12:13], s[12:13], s[14:15]
	s_and_b64 s[10:11], s[10:11], s[12:13]
	s_xor_b64 s[12:13], s[10:11], -1
	s_and_saveexec_b64 s[14:15], s[12:13]
	s_xor_b64 s[12:13], exec, s[14:15]
	s_cbranch_execz .LBB9_40
; %bb.39:                               ;   in Loop: Header=BB9_2 Depth=1
	ds_read_b32 v66, v68 offset:4
	v_mov_b32_e32 v65, v64
                                        ; implicit-def: $vgpr67
.LBB9_40:                               ;   in Loop: Header=BB9_2 Depth=1
	s_andn2_saveexec_b64 s[12:13], s[12:13]
	s_cbranch_execz .LBB9_42
; %bb.41:                               ;   in Loop: Header=BB9_2 Depth=1
	ds_read_b32 v65, v67 offset:4
	s_waitcnt lgkmcnt(1)
	v_mov_b32_e32 v66, v62
.LBB9_42:                               ;   in Loop: Header=BB9_2 Depth=1
	s_or_b64 exec, exec, s[12:13]
	v_add_u32_e32 v68, 1, v63
	v_add_u32_e32 v67, 1, v61
	v_cndmask_b32_e64 v68, v68, v63, s[10:11]
	v_cndmask_b32_e64 v67, v61, v67, s[10:11]
	v_cmp_ge_i32_e64 s[14:15], v68, v17
	s_waitcnt lgkmcnt(0)
	v_cmp_lt_i32_e64 s[16:17], v65, v66
	v_cmp_lt_i32_e64 s[12:13], v67, v18
	s_or_b64 s[14:15], s[14:15], s[16:17]
	s_and_b64 s[12:13], s[12:13], s[14:15]
	s_xor_b64 s[14:15], s[12:13], -1
                                        ; implicit-def: $vgpr69
	s_and_saveexec_b64 s[16:17], s[14:15]
	s_xor_b64 s[14:15], exec, s[16:17]
	s_cbranch_execz .LBB9_44
; %bb.43:                               ;   in Loop: Header=BB9_2 Depth=1
	v_lshlrev_b32_e32 v69, 2, v68
	ds_read_b32 v69, v69 offset:4
.LBB9_44:                               ;   in Loop: Header=BB9_2 Depth=1
	s_or_saveexec_b64 s[14:15], s[14:15]
	v_mov_b32_e32 v70, v65
	s_xor_b64 exec, exec, s[14:15]
	s_cbranch_execz .LBB9_46
; %bb.45:                               ;   in Loop: Header=BB9_2 Depth=1
	s_waitcnt lgkmcnt(0)
	v_lshlrev_b32_e32 v69, 2, v67
	ds_read_b32 v70, v69 offset:4
	v_mov_b32_e32 v69, v66
.LBB9_46:                               ;   in Loop: Header=BB9_2 Depth=1
	s_or_b64 exec, exec, s[14:15]
	v_add_u32_e32 v72, 1, v68
	v_add_u32_e32 v71, 1, v67
	v_cndmask_b32_e64 v72, v72, v68, s[12:13]
	v_cndmask_b32_e64 v71, v67, v71, s[12:13]
	v_cmp_ge_i32_e64 s[16:17], v72, v17
	s_waitcnt lgkmcnt(0)
	v_cmp_lt_i32_e64 s[18:19], v70, v69
	v_cmp_lt_i32_e64 s[14:15], v71, v18
	s_or_b64 s[16:17], s[16:17], s[18:19]
	s_and_b64 s[14:15], s[14:15], s[16:17]
	s_xor_b64 s[16:17], s[14:15], -1
                                        ; implicit-def: $vgpr73
	s_and_saveexec_b64 s[18:19], s[16:17]
	s_xor_b64 s[16:17], exec, s[18:19]
	s_cbranch_execz .LBB9_48
; %bb.47:                               ;   in Loop: Header=BB9_2 Depth=1
	v_lshlrev_b32_e32 v73, 2, v72
	ds_read_b32 v73, v73 offset:4
.LBB9_48:                               ;   in Loop: Header=BB9_2 Depth=1
	s_or_saveexec_b64 s[16:17], s[16:17]
	v_mov_b32_e32 v74, v70
	s_xor_b64 exec, exec, s[16:17]
	s_cbranch_execz .LBB9_50
; %bb.49:                               ;   in Loop: Header=BB9_2 Depth=1
	s_waitcnt lgkmcnt(0)
	v_lshlrev_b32_e32 v73, 2, v71
	ds_read_b32 v74, v73 offset:4
	v_mov_b32_e32 v73, v69
.LBB9_50:                               ;   in Loop: Header=BB9_2 Depth=1
	s_or_b64 exec, exec, s[16:17]
	v_add_u32_e32 v76, 1, v72
	v_add_u32_e32 v75, 1, v71
	v_cndmask_b32_e64 v76, v76, v72, s[14:15]
	v_cndmask_b32_e64 v75, v71, v75, s[14:15]
	v_cmp_ge_i32_e64 s[18:19], v76, v17
	s_waitcnt lgkmcnt(0)
	v_cmp_lt_i32_e64 s[20:21], v74, v73
	v_cmp_lt_i32_e64 s[16:17], v75, v18
	s_or_b64 s[18:19], s[18:19], s[20:21]
	s_and_b64 s[16:17], s[16:17], s[18:19]
	s_xor_b64 s[18:19], s[16:17], -1
                                        ; implicit-def: $vgpr77
	s_and_saveexec_b64 s[20:21], s[18:19]
	s_xor_b64 s[18:19], exec, s[20:21]
	s_cbranch_execz .LBB9_52
; %bb.51:                               ;   in Loop: Header=BB9_2 Depth=1
	v_lshlrev_b32_e32 v77, 2, v76
	ds_read_b32 v77, v77 offset:4
.LBB9_52:                               ;   in Loop: Header=BB9_2 Depth=1
	s_or_saveexec_b64 s[18:19], s[18:19]
	v_mov_b32_e32 v78, v74
	s_xor_b64 exec, exec, s[18:19]
	s_cbranch_execz .LBB9_54
; %bb.53:                               ;   in Loop: Header=BB9_2 Depth=1
	s_waitcnt lgkmcnt(0)
	v_lshlrev_b32_e32 v77, 2, v75
	ds_read_b32 v78, v77 offset:4
	v_mov_b32_e32 v77, v73
.LBB9_54:                               ;   in Loop: Header=BB9_2 Depth=1
	s_or_b64 exec, exec, s[18:19]
	v_add_u32_e32 v80, 1, v76
	v_add_u32_e32 v79, 1, v75
	v_cndmask_b32_e64 v80, v80, v76, s[16:17]
	v_cndmask_b32_e64 v79, v75, v79, s[16:17]
	v_cmp_ge_i32_e64 s[20:21], v80, v17
	s_waitcnt lgkmcnt(0)
	v_cmp_lt_i32_e64 s[22:23], v78, v77
	v_cmp_lt_i32_e64 s[18:19], v79, v18
	s_or_b64 s[20:21], s[20:21], s[22:23]
	s_and_b64 s[18:19], s[18:19], s[20:21]
	s_xor_b64 s[20:21], s[18:19], -1
                                        ; implicit-def: $vgpr81
	s_and_saveexec_b64 s[22:23], s[20:21]
	s_xor_b64 s[20:21], exec, s[22:23]
	s_cbranch_execz .LBB9_56
; %bb.55:                               ;   in Loop: Header=BB9_2 Depth=1
	v_lshlrev_b32_e32 v81, 2, v80
	ds_read_b32 v81, v81 offset:4
.LBB9_56:                               ;   in Loop: Header=BB9_2 Depth=1
	s_or_saveexec_b64 s[20:21], s[20:21]
	v_mov_b32_e32 v82, v78
	s_xor_b64 exec, exec, s[20:21]
	s_cbranch_execz .LBB9_58
; %bb.57:                               ;   in Loop: Header=BB9_2 Depth=1
	s_waitcnt lgkmcnt(0)
	v_lshlrev_b32_e32 v81, 2, v79
	ds_read_b32 v82, v81 offset:4
	v_mov_b32_e32 v81, v77
.LBB9_58:                               ;   in Loop: Header=BB9_2 Depth=1
	s_or_b64 exec, exec, s[20:21]
	v_add_u32_e32 v84, 1, v80
	v_add_u32_e32 v83, 1, v79
	v_cndmask_b32_e64 v84, v84, v80, s[18:19]
	v_cndmask_b32_e64 v83, v79, v83, s[18:19]
	v_cmp_ge_i32_e64 s[22:23], v84, v17
	s_waitcnt lgkmcnt(0)
	v_cmp_lt_i32_e64 s[24:25], v82, v81
	v_cmp_lt_i32_e64 s[20:21], v83, v18
	s_or_b64 s[22:23], s[22:23], s[24:25]
	s_and_b64 s[20:21], s[20:21], s[22:23]
	s_xor_b64 s[22:23], s[20:21], -1
                                        ; implicit-def: $vgpr85
	s_and_saveexec_b64 s[24:25], s[22:23]
	s_xor_b64 s[22:23], exec, s[24:25]
	s_cbranch_execz .LBB9_60
; %bb.59:                               ;   in Loop: Header=BB9_2 Depth=1
	v_lshlrev_b32_e32 v85, 2, v84
	ds_read_b32 v85, v85 offset:4
.LBB9_60:                               ;   in Loop: Header=BB9_2 Depth=1
	s_or_saveexec_b64 s[22:23], s[22:23]
	v_mov_b32_e32 v86, v82
	s_xor_b64 exec, exec, s[22:23]
	s_cbranch_execz .LBB9_62
; %bb.61:                               ;   in Loop: Header=BB9_2 Depth=1
	s_waitcnt lgkmcnt(0)
	v_lshlrev_b32_e32 v85, 2, v83
	ds_read_b32 v86, v85 offset:4
	v_mov_b32_e32 v85, v81
.LBB9_62:                               ;   in Loop: Header=BB9_2 Depth=1
	s_or_b64 exec, exec, s[22:23]
	v_add_u32_e32 v89, 1, v84
	v_add_u32_e32 v87, 1, v83
	v_cndmask_b32_e64 v89, v89, v84, s[20:21]
	v_cndmask_b32_e64 v88, v83, v87, s[20:21]
	v_cmp_ge_i32_e64 s[24:25], v89, v17
	s_waitcnt lgkmcnt(0)
	v_cmp_lt_i32_e64 s[26:27], v86, v85
	v_cmp_lt_i32_e64 s[22:23], v88, v18
	s_or_b64 s[24:25], s[24:25], s[26:27]
	s_and_b64 s[22:23], s[22:23], s[24:25]
	s_xor_b64 s[24:25], s[22:23], -1
                                        ; implicit-def: $vgpr87
	s_and_saveexec_b64 s[26:27], s[24:25]
	s_xor_b64 s[24:25], exec, s[26:27]
	s_cbranch_execz .LBB9_64
; %bb.63:                               ;   in Loop: Header=BB9_2 Depth=1
	v_lshlrev_b32_e32 v87, 2, v89
	ds_read_b32 v87, v87 offset:4
.LBB9_64:                               ;   in Loop: Header=BB9_2 Depth=1
	s_or_saveexec_b64 s[24:25], s[24:25]
	v_mov_b32_e32 v90, v86
	s_xor_b64 exec, exec, s[24:25]
	s_cbranch_execz .LBB9_66
; %bb.65:                               ;   in Loop: Header=BB9_2 Depth=1
	s_waitcnt lgkmcnt(0)
	v_lshlrev_b32_e32 v87, 2, v88
	ds_read_b32 v90, v87 offset:4
	v_mov_b32_e32 v87, v85
.LBB9_66:                               ;   in Loop: Header=BB9_2 Depth=1
	s_or_b64 exec, exec, s[24:25]
	v_add_u32_e32 v91, 1, v89
	v_cndmask_b32_e64 v85, v85, v86, s[22:23]
	v_add_u32_e32 v86, 1, v88
	v_cndmask_b32_e64 v91, v91, v89, s[22:23]
	v_cndmask_b32_e64 v86, v88, v86, s[22:23]
	;; [unrolled: 1-line block ×6, first 2 shown]
	v_cmp_ge_i32_e64 s[12:13], v91, v17
	s_waitcnt lgkmcnt(0)
	v_cmp_lt_i32_e64 s[14:15], v90, v87
	v_cndmask_b32_e64 v62, v62, v64, s[10:11]
	v_cndmask_b32_e64 v61, v63, v61, s[10:11]
	v_cmp_lt_i32_e64 s[10:11], v86, v18
	s_or_b64 s[12:13], s[12:13], s[14:15]
	s_and_b64 s[10:11], s[10:11], s[12:13]
	v_cndmask_b32_e64 v88, v89, v88, s[22:23]
	v_cndmask_b32_e64 v81, v81, v82, s[20:21]
	;; [unrolled: 1-line block ×8, first 2 shown]
	s_waitcnt lgkmcnt(0)
	; wave barrier
	ds_write2_b32 v3, v53, v54 offset1:1
	ds_write2_b32 v3, v55, v56 offset0:2 offset1:3
	ds_write2_b32 v3, v57, v58 offset0:4 offset1:5
	;; [unrolled: 1-line block ×3, first 2 shown]
	v_lshlrev_b32_e32 v53, 2, v61
	v_lshlrev_b32_e32 v54, 2, v66
	;; [unrolled: 1-line block ×8, first 2 shown]
	s_waitcnt lgkmcnt(0)
	; wave barrier
	s_waitcnt lgkmcnt(0)
	ds_read_b32 v53, v53
	ds_read_b32 v54, v54
	;; [unrolled: 1-line block ×8, first 2 shown]
	v_cndmask_b32_e64 v63, v87, v90, s[10:11]
	s_waitcnt lgkmcnt(0)
	; wave barrier
	s_waitcnt lgkmcnt(0)
	ds_write2_b32 v3, v62, v65 offset1:1
	ds_write2_b32 v3, v69, v73 offset0:2 offset1:3
	ds_write2_b32 v3, v77, v81 offset0:4 offset1:5
	;; [unrolled: 1-line block ×3, first 2 shown]
	v_mov_b32_e32 v63, v37
	s_waitcnt lgkmcnt(0)
	; wave barrier
	s_waitcnt lgkmcnt(0)
	s_and_saveexec_b64 s[12:13], s[2:3]
	s_cbranch_execz .LBB9_70
; %bb.67:                               ;   in Loop: Header=BB9_2 Depth=1
	s_mov_b64 s[14:15], 0
	v_mov_b32_e32 v63, v37
	v_mov_b32_e32 v61, v33
.LBB9_68:                               ;   Parent Loop BB9_2 Depth=1
                                        ; =>  This Inner Loop Header: Depth=2
	v_sub_u32_e32 v62, v61, v63
	v_lshrrev_b32_e32 v64, 31, v62
	v_add_u32_e32 v62, v62, v64
	v_ashrrev_i32_e32 v62, 1, v62
	v_add_u32_e32 v62, v62, v63
	v_xad_u32 v65, v62, -1, v9
	v_lshl_add_u32 v64, v62, 2, v22
	v_lshl_add_u32 v65, v65, 2, v43
	ds_read_b32 v64, v64
	ds_read_b32 v65, v65
	v_add_u32_e32 v66, 1, v62
	s_waitcnt lgkmcnt(0)
	v_cmp_lt_i32_e64 s[10:11], v65, v64
	s_nop 1
	v_cndmask_b32_e64 v61, v61, v62, s[10:11]
	v_cndmask_b32_e64 v63, v66, v63, s[10:11]
	v_cmp_ge_i32_e64 s[10:11], v63, v61
	s_or_b64 s[14:15], s[10:11], s[14:15]
	s_andn2_b64 exec, exec, s[14:15]
	s_cbranch_execnz .LBB9_68
; %bb.69:                               ;   in Loop: Header=BB9_2 Depth=1
	s_or_b64 exec, exec, s[14:15]
.LBB9_70:                               ;   in Loop: Header=BB9_2 Depth=1
	s_or_b64 exec, exec, s[12:13]
	v_sub_u32_e32 v61, v44, v63
	v_lshl_add_u32 v68, v63, 2, v22
	v_lshlrev_b32_e32 v67, 2, v61
	ds_read_b32 v62, v68
	ds_read_b32 v64, v67
	v_add_u32_e32 v63, v63, v8
	v_cmp_le_i32_e64 s[12:13], v20, v63
	v_cmp_gt_i32_e64 s[10:11], v21, v61
                                        ; implicit-def: $vgpr65
                                        ; implicit-def: $vgpr66
	s_waitcnt lgkmcnt(0)
	v_cmp_lt_i32_e64 s[14:15], v64, v62
	s_or_b64 s[12:13], s[12:13], s[14:15]
	s_and_b64 s[10:11], s[10:11], s[12:13]
	s_xor_b64 s[12:13], s[10:11], -1
	s_and_saveexec_b64 s[14:15], s[12:13]
	s_xor_b64 s[12:13], exec, s[14:15]
	s_cbranch_execz .LBB9_72
; %bb.71:                               ;   in Loop: Header=BB9_2 Depth=1
	ds_read_b32 v66, v68 offset:4
	v_mov_b32_e32 v65, v64
                                        ; implicit-def: $vgpr67
.LBB9_72:                               ;   in Loop: Header=BB9_2 Depth=1
	s_andn2_saveexec_b64 s[12:13], s[12:13]
	s_cbranch_execz .LBB9_74
; %bb.73:                               ;   in Loop: Header=BB9_2 Depth=1
	ds_read_b32 v65, v67 offset:4
	s_waitcnt lgkmcnt(1)
	v_mov_b32_e32 v66, v62
.LBB9_74:                               ;   in Loop: Header=BB9_2 Depth=1
	s_or_b64 exec, exec, s[12:13]
	v_add_u32_e32 v68, 1, v63
	v_add_u32_e32 v67, 1, v61
	v_cndmask_b32_e64 v68, v68, v63, s[10:11]
	v_cndmask_b32_e64 v67, v61, v67, s[10:11]
	v_cmp_ge_i32_e64 s[14:15], v68, v20
	s_waitcnt lgkmcnt(0)
	v_cmp_lt_i32_e64 s[16:17], v65, v66
	v_cmp_lt_i32_e64 s[12:13], v67, v21
	s_or_b64 s[14:15], s[14:15], s[16:17]
	s_and_b64 s[12:13], s[12:13], s[14:15]
	s_xor_b64 s[14:15], s[12:13], -1
                                        ; implicit-def: $vgpr69
	s_and_saveexec_b64 s[16:17], s[14:15]
	s_xor_b64 s[14:15], exec, s[16:17]
	s_cbranch_execz .LBB9_76
; %bb.75:                               ;   in Loop: Header=BB9_2 Depth=1
	v_lshlrev_b32_e32 v69, 2, v68
	ds_read_b32 v69, v69 offset:4
.LBB9_76:                               ;   in Loop: Header=BB9_2 Depth=1
	s_or_saveexec_b64 s[14:15], s[14:15]
	v_mov_b32_e32 v70, v65
	s_xor_b64 exec, exec, s[14:15]
	s_cbranch_execz .LBB9_78
; %bb.77:                               ;   in Loop: Header=BB9_2 Depth=1
	s_waitcnt lgkmcnt(0)
	v_lshlrev_b32_e32 v69, 2, v67
	ds_read_b32 v70, v69 offset:4
	v_mov_b32_e32 v69, v66
.LBB9_78:                               ;   in Loop: Header=BB9_2 Depth=1
	s_or_b64 exec, exec, s[14:15]
	v_add_u32_e32 v72, 1, v68
	v_add_u32_e32 v71, 1, v67
	v_cndmask_b32_e64 v72, v72, v68, s[12:13]
	v_cndmask_b32_e64 v71, v67, v71, s[12:13]
	v_cmp_ge_i32_e64 s[16:17], v72, v20
	s_waitcnt lgkmcnt(0)
	v_cmp_lt_i32_e64 s[18:19], v70, v69
	v_cmp_lt_i32_e64 s[14:15], v71, v21
	s_or_b64 s[16:17], s[16:17], s[18:19]
	s_and_b64 s[14:15], s[14:15], s[16:17]
	s_xor_b64 s[16:17], s[14:15], -1
                                        ; implicit-def: $vgpr73
	s_and_saveexec_b64 s[18:19], s[16:17]
	s_xor_b64 s[16:17], exec, s[18:19]
	s_cbranch_execz .LBB9_80
; %bb.79:                               ;   in Loop: Header=BB9_2 Depth=1
	v_lshlrev_b32_e32 v73, 2, v72
	ds_read_b32 v73, v73 offset:4
.LBB9_80:                               ;   in Loop: Header=BB9_2 Depth=1
	s_or_saveexec_b64 s[16:17], s[16:17]
	v_mov_b32_e32 v74, v70
	s_xor_b64 exec, exec, s[16:17]
	s_cbranch_execz .LBB9_82
; %bb.81:                               ;   in Loop: Header=BB9_2 Depth=1
	s_waitcnt lgkmcnt(0)
	v_lshlrev_b32_e32 v73, 2, v71
	ds_read_b32 v74, v73 offset:4
	v_mov_b32_e32 v73, v69
.LBB9_82:                               ;   in Loop: Header=BB9_2 Depth=1
	s_or_b64 exec, exec, s[16:17]
	v_add_u32_e32 v76, 1, v72
	v_add_u32_e32 v75, 1, v71
	v_cndmask_b32_e64 v76, v76, v72, s[14:15]
	v_cndmask_b32_e64 v75, v71, v75, s[14:15]
	v_cmp_ge_i32_e64 s[18:19], v76, v20
	s_waitcnt lgkmcnt(0)
	v_cmp_lt_i32_e64 s[20:21], v74, v73
	v_cmp_lt_i32_e64 s[16:17], v75, v21
	s_or_b64 s[18:19], s[18:19], s[20:21]
	s_and_b64 s[16:17], s[16:17], s[18:19]
	s_xor_b64 s[18:19], s[16:17], -1
                                        ; implicit-def: $vgpr77
	s_and_saveexec_b64 s[20:21], s[18:19]
	s_xor_b64 s[18:19], exec, s[20:21]
	s_cbranch_execz .LBB9_84
; %bb.83:                               ;   in Loop: Header=BB9_2 Depth=1
	v_lshlrev_b32_e32 v77, 2, v76
	ds_read_b32 v77, v77 offset:4
.LBB9_84:                               ;   in Loop: Header=BB9_2 Depth=1
	s_or_saveexec_b64 s[18:19], s[18:19]
	v_mov_b32_e32 v78, v74
	s_xor_b64 exec, exec, s[18:19]
	s_cbranch_execz .LBB9_86
; %bb.85:                               ;   in Loop: Header=BB9_2 Depth=1
	s_waitcnt lgkmcnt(0)
	v_lshlrev_b32_e32 v77, 2, v75
	ds_read_b32 v78, v77 offset:4
	v_mov_b32_e32 v77, v73
.LBB9_86:                               ;   in Loop: Header=BB9_2 Depth=1
	s_or_b64 exec, exec, s[18:19]
	v_add_u32_e32 v80, 1, v76
	v_add_u32_e32 v79, 1, v75
	v_cndmask_b32_e64 v80, v80, v76, s[16:17]
	v_cndmask_b32_e64 v79, v75, v79, s[16:17]
	v_cmp_ge_i32_e64 s[20:21], v80, v20
	s_waitcnt lgkmcnt(0)
	v_cmp_lt_i32_e64 s[22:23], v78, v77
	v_cmp_lt_i32_e64 s[18:19], v79, v21
	s_or_b64 s[20:21], s[20:21], s[22:23]
	s_and_b64 s[18:19], s[18:19], s[20:21]
	s_xor_b64 s[20:21], s[18:19], -1
                                        ; implicit-def: $vgpr81
	s_and_saveexec_b64 s[22:23], s[20:21]
	s_xor_b64 s[20:21], exec, s[22:23]
	s_cbranch_execz .LBB9_88
; %bb.87:                               ;   in Loop: Header=BB9_2 Depth=1
	v_lshlrev_b32_e32 v81, 2, v80
	ds_read_b32 v81, v81 offset:4
.LBB9_88:                               ;   in Loop: Header=BB9_2 Depth=1
	s_or_saveexec_b64 s[20:21], s[20:21]
	v_mov_b32_e32 v82, v78
	s_xor_b64 exec, exec, s[20:21]
	s_cbranch_execz .LBB9_90
; %bb.89:                               ;   in Loop: Header=BB9_2 Depth=1
	s_waitcnt lgkmcnt(0)
	v_lshlrev_b32_e32 v81, 2, v79
	ds_read_b32 v82, v81 offset:4
	v_mov_b32_e32 v81, v77
.LBB9_90:                               ;   in Loop: Header=BB9_2 Depth=1
	s_or_b64 exec, exec, s[20:21]
	v_add_u32_e32 v84, 1, v80
	v_add_u32_e32 v83, 1, v79
	v_cndmask_b32_e64 v84, v84, v80, s[18:19]
	v_cndmask_b32_e64 v83, v79, v83, s[18:19]
	v_cmp_ge_i32_e64 s[22:23], v84, v20
	s_waitcnt lgkmcnt(0)
	v_cmp_lt_i32_e64 s[24:25], v82, v81
	v_cmp_lt_i32_e64 s[20:21], v83, v21
	s_or_b64 s[22:23], s[22:23], s[24:25]
	s_and_b64 s[20:21], s[20:21], s[22:23]
	s_xor_b64 s[22:23], s[20:21], -1
                                        ; implicit-def: $vgpr85
	s_and_saveexec_b64 s[24:25], s[22:23]
	s_xor_b64 s[22:23], exec, s[24:25]
	s_cbranch_execz .LBB9_92
; %bb.91:                               ;   in Loop: Header=BB9_2 Depth=1
	v_lshlrev_b32_e32 v85, 2, v84
	ds_read_b32 v85, v85 offset:4
.LBB9_92:                               ;   in Loop: Header=BB9_2 Depth=1
	s_or_saveexec_b64 s[22:23], s[22:23]
	v_mov_b32_e32 v86, v82
	s_xor_b64 exec, exec, s[22:23]
	s_cbranch_execz .LBB9_94
; %bb.93:                               ;   in Loop: Header=BB9_2 Depth=1
	s_waitcnt lgkmcnt(0)
	v_lshlrev_b32_e32 v85, 2, v83
	ds_read_b32 v86, v85 offset:4
	v_mov_b32_e32 v85, v81
.LBB9_94:                               ;   in Loop: Header=BB9_2 Depth=1
	s_or_b64 exec, exec, s[22:23]
	v_add_u32_e32 v89, 1, v84
	v_add_u32_e32 v87, 1, v83
	v_cndmask_b32_e64 v89, v89, v84, s[20:21]
	v_cndmask_b32_e64 v88, v83, v87, s[20:21]
	v_cmp_ge_i32_e64 s[24:25], v89, v20
	s_waitcnt lgkmcnt(0)
	v_cmp_lt_i32_e64 s[26:27], v86, v85
	v_cmp_lt_i32_e64 s[22:23], v88, v21
	s_or_b64 s[24:25], s[24:25], s[26:27]
	s_and_b64 s[22:23], s[22:23], s[24:25]
	s_xor_b64 s[24:25], s[22:23], -1
                                        ; implicit-def: $vgpr87
	s_and_saveexec_b64 s[26:27], s[24:25]
	s_xor_b64 s[24:25], exec, s[26:27]
	s_cbranch_execz .LBB9_96
; %bb.95:                               ;   in Loop: Header=BB9_2 Depth=1
	v_lshlrev_b32_e32 v87, 2, v89
	ds_read_b32 v87, v87 offset:4
.LBB9_96:                               ;   in Loop: Header=BB9_2 Depth=1
	s_or_saveexec_b64 s[24:25], s[24:25]
	v_mov_b32_e32 v90, v86
	s_xor_b64 exec, exec, s[24:25]
	s_cbranch_execz .LBB9_98
; %bb.97:                               ;   in Loop: Header=BB9_2 Depth=1
	s_waitcnt lgkmcnt(0)
	v_lshlrev_b32_e32 v87, 2, v88
	ds_read_b32 v90, v87 offset:4
	v_mov_b32_e32 v87, v85
.LBB9_98:                               ;   in Loop: Header=BB9_2 Depth=1
	s_or_b64 exec, exec, s[24:25]
	v_add_u32_e32 v91, 1, v89
	v_cndmask_b32_e64 v85, v85, v86, s[22:23]
	v_add_u32_e32 v86, 1, v88
	v_cndmask_b32_e64 v91, v91, v89, s[22:23]
	v_cndmask_b32_e64 v86, v88, v86, s[22:23]
	;; [unrolled: 1-line block ×6, first 2 shown]
	v_cmp_ge_i32_e64 s[12:13], v91, v20
	s_waitcnt lgkmcnt(0)
	v_cmp_lt_i32_e64 s[14:15], v90, v87
	v_cndmask_b32_e64 v62, v62, v64, s[10:11]
	v_cndmask_b32_e64 v61, v63, v61, s[10:11]
	v_cmp_lt_i32_e64 s[10:11], v86, v21
	s_or_b64 s[12:13], s[12:13], s[14:15]
	s_and_b64 s[10:11], s[10:11], s[12:13]
	v_cndmask_b32_e64 v88, v89, v88, s[22:23]
	v_cndmask_b32_e64 v81, v81, v82, s[20:21]
	;; [unrolled: 1-line block ×8, first 2 shown]
	s_waitcnt lgkmcnt(0)
	; wave barrier
	ds_write2_b32 v3, v53, v54 offset1:1
	ds_write2_b32 v3, v55, v56 offset0:2 offset1:3
	ds_write2_b32 v3, v57, v58 offset0:4 offset1:5
	;; [unrolled: 1-line block ×3, first 2 shown]
	v_lshlrev_b32_e32 v53, 2, v61
	v_lshlrev_b32_e32 v54, 2, v66
	;; [unrolled: 1-line block ×8, first 2 shown]
	s_waitcnt lgkmcnt(0)
	; wave barrier
	s_waitcnt lgkmcnt(0)
	ds_read_b32 v53, v53
	ds_read_b32 v54, v54
	;; [unrolled: 1-line block ×8, first 2 shown]
	v_cndmask_b32_e64 v63, v87, v90, s[10:11]
	s_waitcnt lgkmcnt(0)
	; wave barrier
	s_waitcnt lgkmcnt(0)
	ds_write2_b32 v3, v62, v65 offset1:1
	ds_write2_b32 v3, v69, v73 offset0:2 offset1:3
	ds_write2_b32 v3, v77, v81 offset0:4 offset1:5
	;; [unrolled: 1-line block ×3, first 2 shown]
	v_mov_b32_e32 v63, v38
	s_waitcnt lgkmcnt(0)
	; wave barrier
	s_waitcnt lgkmcnt(0)
	s_and_saveexec_b64 s[12:13], s[4:5]
	s_cbranch_execz .LBB9_102
; %bb.99:                               ;   in Loop: Header=BB9_2 Depth=1
	s_mov_b64 s[14:15], 0
	v_mov_b32_e32 v63, v38
	v_mov_b32_e32 v61, v34
.LBB9_100:                              ;   Parent Loop BB9_2 Depth=1
                                        ; =>  This Inner Loop Header: Depth=2
	v_sub_u32_e32 v62, v61, v63
	v_lshrrev_b32_e32 v64, 31, v62
	v_add_u32_e32 v62, v62, v64
	v_ashrrev_i32_e32 v62, 1, v62
	v_add_u32_e32 v62, v62, v63
	v_xad_u32 v65, v62, -1, v11
	v_lshl_add_u32 v64, v62, 2, v45
	v_lshl_add_u32 v65, v65, 2, v46
	ds_read_b32 v64, v64
	ds_read_b32 v65, v65
	v_add_u32_e32 v66, 1, v62
	s_waitcnt lgkmcnt(0)
	v_cmp_lt_i32_e64 s[10:11], v65, v64
	s_nop 1
	v_cndmask_b32_e64 v61, v61, v62, s[10:11]
	v_cndmask_b32_e64 v63, v66, v63, s[10:11]
	v_cmp_ge_i32_e64 s[10:11], v63, v61
	s_or_b64 s[14:15], s[10:11], s[14:15]
	s_andn2_b64 exec, exec, s[14:15]
	s_cbranch_execnz .LBB9_100
; %bb.101:                              ;   in Loop: Header=BB9_2 Depth=1
	s_or_b64 exec, exec, s[14:15]
.LBB9_102:                              ;   in Loop: Header=BB9_2 Depth=1
	s_or_b64 exec, exec, s[12:13]
	v_sub_u32_e32 v61, v47, v63
	v_lshl_add_u32 v68, v63, 2, v45
	v_lshlrev_b32_e32 v67, 2, v61
	ds_read_b32 v62, v68
	ds_read_b32 v64, v67
	v_add_u32_e32 v63, v63, v10
	v_cmp_le_i32_e64 s[12:13], v23, v63
	v_cmp_gt_i32_e64 s[10:11], v24, v61
                                        ; implicit-def: $vgpr65
                                        ; implicit-def: $vgpr66
	s_waitcnt lgkmcnt(0)
	v_cmp_lt_i32_e64 s[14:15], v64, v62
	s_or_b64 s[12:13], s[12:13], s[14:15]
	s_and_b64 s[10:11], s[10:11], s[12:13]
	s_xor_b64 s[12:13], s[10:11], -1
	s_and_saveexec_b64 s[14:15], s[12:13]
	s_xor_b64 s[12:13], exec, s[14:15]
	s_cbranch_execz .LBB9_104
; %bb.103:                              ;   in Loop: Header=BB9_2 Depth=1
	ds_read_b32 v66, v68 offset:4
	v_mov_b32_e32 v65, v64
                                        ; implicit-def: $vgpr67
.LBB9_104:                              ;   in Loop: Header=BB9_2 Depth=1
	s_andn2_saveexec_b64 s[12:13], s[12:13]
	s_cbranch_execz .LBB9_106
; %bb.105:                              ;   in Loop: Header=BB9_2 Depth=1
	ds_read_b32 v65, v67 offset:4
	s_waitcnt lgkmcnt(1)
	v_mov_b32_e32 v66, v62
.LBB9_106:                              ;   in Loop: Header=BB9_2 Depth=1
	s_or_b64 exec, exec, s[12:13]
	v_add_u32_e32 v68, 1, v63
	v_add_u32_e32 v67, 1, v61
	v_cndmask_b32_e64 v68, v68, v63, s[10:11]
	v_cndmask_b32_e64 v67, v61, v67, s[10:11]
	v_cmp_ge_i32_e64 s[14:15], v68, v23
	s_waitcnt lgkmcnt(0)
	v_cmp_lt_i32_e64 s[16:17], v65, v66
	v_cmp_lt_i32_e64 s[12:13], v67, v24
	s_or_b64 s[14:15], s[14:15], s[16:17]
	s_and_b64 s[12:13], s[12:13], s[14:15]
	s_xor_b64 s[14:15], s[12:13], -1
                                        ; implicit-def: $vgpr69
	s_and_saveexec_b64 s[16:17], s[14:15]
	s_xor_b64 s[14:15], exec, s[16:17]
	s_cbranch_execz .LBB9_108
; %bb.107:                              ;   in Loop: Header=BB9_2 Depth=1
	v_lshlrev_b32_e32 v69, 2, v68
	ds_read_b32 v69, v69 offset:4
.LBB9_108:                              ;   in Loop: Header=BB9_2 Depth=1
	s_or_saveexec_b64 s[14:15], s[14:15]
	v_mov_b32_e32 v70, v65
	s_xor_b64 exec, exec, s[14:15]
	s_cbranch_execz .LBB9_110
; %bb.109:                              ;   in Loop: Header=BB9_2 Depth=1
	s_waitcnt lgkmcnt(0)
	v_lshlrev_b32_e32 v69, 2, v67
	ds_read_b32 v70, v69 offset:4
	v_mov_b32_e32 v69, v66
.LBB9_110:                              ;   in Loop: Header=BB9_2 Depth=1
	s_or_b64 exec, exec, s[14:15]
	v_add_u32_e32 v72, 1, v68
	v_add_u32_e32 v71, 1, v67
	v_cndmask_b32_e64 v72, v72, v68, s[12:13]
	v_cndmask_b32_e64 v71, v67, v71, s[12:13]
	v_cmp_ge_i32_e64 s[16:17], v72, v23
	s_waitcnt lgkmcnt(0)
	v_cmp_lt_i32_e64 s[18:19], v70, v69
	v_cmp_lt_i32_e64 s[14:15], v71, v24
	s_or_b64 s[16:17], s[16:17], s[18:19]
	s_and_b64 s[14:15], s[14:15], s[16:17]
	s_xor_b64 s[16:17], s[14:15], -1
                                        ; implicit-def: $vgpr73
	s_and_saveexec_b64 s[18:19], s[16:17]
	s_xor_b64 s[16:17], exec, s[18:19]
	s_cbranch_execz .LBB9_112
; %bb.111:                              ;   in Loop: Header=BB9_2 Depth=1
	v_lshlrev_b32_e32 v73, 2, v72
	ds_read_b32 v73, v73 offset:4
.LBB9_112:                              ;   in Loop: Header=BB9_2 Depth=1
	s_or_saveexec_b64 s[16:17], s[16:17]
	v_mov_b32_e32 v74, v70
	s_xor_b64 exec, exec, s[16:17]
	s_cbranch_execz .LBB9_114
; %bb.113:                              ;   in Loop: Header=BB9_2 Depth=1
	s_waitcnt lgkmcnt(0)
	v_lshlrev_b32_e32 v73, 2, v71
	ds_read_b32 v74, v73 offset:4
	v_mov_b32_e32 v73, v69
.LBB9_114:                              ;   in Loop: Header=BB9_2 Depth=1
	s_or_b64 exec, exec, s[16:17]
	v_add_u32_e32 v76, 1, v72
	v_add_u32_e32 v75, 1, v71
	v_cndmask_b32_e64 v76, v76, v72, s[14:15]
	v_cndmask_b32_e64 v75, v71, v75, s[14:15]
	v_cmp_ge_i32_e64 s[18:19], v76, v23
	s_waitcnt lgkmcnt(0)
	v_cmp_lt_i32_e64 s[20:21], v74, v73
	v_cmp_lt_i32_e64 s[16:17], v75, v24
	s_or_b64 s[18:19], s[18:19], s[20:21]
	s_and_b64 s[16:17], s[16:17], s[18:19]
	s_xor_b64 s[18:19], s[16:17], -1
                                        ; implicit-def: $vgpr77
	s_and_saveexec_b64 s[20:21], s[18:19]
	s_xor_b64 s[18:19], exec, s[20:21]
	s_cbranch_execz .LBB9_116
; %bb.115:                              ;   in Loop: Header=BB9_2 Depth=1
	v_lshlrev_b32_e32 v77, 2, v76
	ds_read_b32 v77, v77 offset:4
.LBB9_116:                              ;   in Loop: Header=BB9_2 Depth=1
	s_or_saveexec_b64 s[18:19], s[18:19]
	v_mov_b32_e32 v78, v74
	s_xor_b64 exec, exec, s[18:19]
	s_cbranch_execz .LBB9_118
; %bb.117:                              ;   in Loop: Header=BB9_2 Depth=1
	s_waitcnt lgkmcnt(0)
	v_lshlrev_b32_e32 v77, 2, v75
	ds_read_b32 v78, v77 offset:4
	v_mov_b32_e32 v77, v73
.LBB9_118:                              ;   in Loop: Header=BB9_2 Depth=1
	s_or_b64 exec, exec, s[18:19]
	v_add_u32_e32 v80, 1, v76
	v_add_u32_e32 v79, 1, v75
	v_cndmask_b32_e64 v80, v80, v76, s[16:17]
	v_cndmask_b32_e64 v79, v75, v79, s[16:17]
	v_cmp_ge_i32_e64 s[20:21], v80, v23
	s_waitcnt lgkmcnt(0)
	v_cmp_lt_i32_e64 s[22:23], v78, v77
	v_cmp_lt_i32_e64 s[18:19], v79, v24
	s_or_b64 s[20:21], s[20:21], s[22:23]
	s_and_b64 s[18:19], s[18:19], s[20:21]
	s_xor_b64 s[20:21], s[18:19], -1
                                        ; implicit-def: $vgpr81
	s_and_saveexec_b64 s[22:23], s[20:21]
	s_xor_b64 s[20:21], exec, s[22:23]
	s_cbranch_execz .LBB9_120
; %bb.119:                              ;   in Loop: Header=BB9_2 Depth=1
	v_lshlrev_b32_e32 v81, 2, v80
	ds_read_b32 v81, v81 offset:4
.LBB9_120:                              ;   in Loop: Header=BB9_2 Depth=1
	s_or_saveexec_b64 s[20:21], s[20:21]
	v_mov_b32_e32 v82, v78
	s_xor_b64 exec, exec, s[20:21]
	s_cbranch_execz .LBB9_122
; %bb.121:                              ;   in Loop: Header=BB9_2 Depth=1
	s_waitcnt lgkmcnt(0)
	v_lshlrev_b32_e32 v81, 2, v79
	ds_read_b32 v82, v81 offset:4
	v_mov_b32_e32 v81, v77
.LBB9_122:                              ;   in Loop: Header=BB9_2 Depth=1
	s_or_b64 exec, exec, s[20:21]
	v_add_u32_e32 v84, 1, v80
	v_add_u32_e32 v83, 1, v79
	v_cndmask_b32_e64 v84, v84, v80, s[18:19]
	v_cndmask_b32_e64 v83, v79, v83, s[18:19]
	v_cmp_ge_i32_e64 s[22:23], v84, v23
	s_waitcnt lgkmcnt(0)
	v_cmp_lt_i32_e64 s[24:25], v82, v81
	v_cmp_lt_i32_e64 s[20:21], v83, v24
	s_or_b64 s[22:23], s[22:23], s[24:25]
	s_and_b64 s[20:21], s[20:21], s[22:23]
	s_xor_b64 s[22:23], s[20:21], -1
                                        ; implicit-def: $vgpr85
	s_and_saveexec_b64 s[24:25], s[22:23]
	s_xor_b64 s[22:23], exec, s[24:25]
	s_cbranch_execz .LBB9_124
; %bb.123:                              ;   in Loop: Header=BB9_2 Depth=1
	v_lshlrev_b32_e32 v85, 2, v84
	ds_read_b32 v85, v85 offset:4
.LBB9_124:                              ;   in Loop: Header=BB9_2 Depth=1
	s_or_saveexec_b64 s[22:23], s[22:23]
	v_mov_b32_e32 v86, v82
	s_xor_b64 exec, exec, s[22:23]
	s_cbranch_execz .LBB9_126
; %bb.125:                              ;   in Loop: Header=BB9_2 Depth=1
	s_waitcnt lgkmcnt(0)
	v_lshlrev_b32_e32 v85, 2, v83
	ds_read_b32 v86, v85 offset:4
	v_mov_b32_e32 v85, v81
.LBB9_126:                              ;   in Loop: Header=BB9_2 Depth=1
	s_or_b64 exec, exec, s[22:23]
	v_add_u32_e32 v89, 1, v84
	v_add_u32_e32 v87, 1, v83
	v_cndmask_b32_e64 v89, v89, v84, s[20:21]
	v_cndmask_b32_e64 v88, v83, v87, s[20:21]
	v_cmp_ge_i32_e64 s[24:25], v89, v23
	s_waitcnt lgkmcnt(0)
	v_cmp_lt_i32_e64 s[26:27], v86, v85
	v_cmp_lt_i32_e64 s[22:23], v88, v24
	s_or_b64 s[24:25], s[24:25], s[26:27]
	s_and_b64 s[22:23], s[22:23], s[24:25]
	s_xor_b64 s[24:25], s[22:23], -1
                                        ; implicit-def: $vgpr87
	s_and_saveexec_b64 s[26:27], s[24:25]
	s_xor_b64 s[24:25], exec, s[26:27]
	s_cbranch_execz .LBB9_128
; %bb.127:                              ;   in Loop: Header=BB9_2 Depth=1
	v_lshlrev_b32_e32 v87, 2, v89
	ds_read_b32 v87, v87 offset:4
.LBB9_128:                              ;   in Loop: Header=BB9_2 Depth=1
	s_or_saveexec_b64 s[24:25], s[24:25]
	v_mov_b32_e32 v90, v86
	s_xor_b64 exec, exec, s[24:25]
	s_cbranch_execz .LBB9_130
; %bb.129:                              ;   in Loop: Header=BB9_2 Depth=1
	s_waitcnt lgkmcnt(0)
	v_lshlrev_b32_e32 v87, 2, v88
	ds_read_b32 v90, v87 offset:4
	v_mov_b32_e32 v87, v85
.LBB9_130:                              ;   in Loop: Header=BB9_2 Depth=1
	s_or_b64 exec, exec, s[24:25]
	v_add_u32_e32 v91, 1, v89
	v_cndmask_b32_e64 v85, v85, v86, s[22:23]
	v_add_u32_e32 v86, 1, v88
	v_cndmask_b32_e64 v91, v91, v89, s[22:23]
	v_cndmask_b32_e64 v86, v88, v86, s[22:23]
	;; [unrolled: 1-line block ×6, first 2 shown]
	v_cmp_ge_i32_e64 s[12:13], v91, v23
	s_waitcnt lgkmcnt(0)
	v_cmp_lt_i32_e64 s[14:15], v90, v87
	v_cndmask_b32_e64 v62, v62, v64, s[10:11]
	v_cndmask_b32_e64 v61, v63, v61, s[10:11]
	v_cmp_lt_i32_e64 s[10:11], v86, v24
	s_or_b64 s[12:13], s[12:13], s[14:15]
	s_and_b64 s[10:11], s[10:11], s[12:13]
	v_cndmask_b32_e64 v88, v89, v88, s[22:23]
	v_cndmask_b32_e64 v81, v81, v82, s[20:21]
	;; [unrolled: 1-line block ×8, first 2 shown]
	s_waitcnt lgkmcnt(0)
	; wave barrier
	ds_write2_b32 v3, v53, v54 offset1:1
	ds_write2_b32 v3, v55, v56 offset0:2 offset1:3
	ds_write2_b32 v3, v57, v58 offset0:4 offset1:5
	;; [unrolled: 1-line block ×3, first 2 shown]
	v_lshlrev_b32_e32 v53, 2, v61
	v_lshlrev_b32_e32 v54, 2, v66
	;; [unrolled: 1-line block ×8, first 2 shown]
	s_waitcnt lgkmcnt(0)
	; wave barrier
	s_waitcnt lgkmcnt(0)
	ds_read_b32 v53, v53
	ds_read_b32 v54, v54
	;; [unrolled: 1-line block ×8, first 2 shown]
	v_cndmask_b32_e64 v63, v87, v90, s[10:11]
	s_waitcnt lgkmcnt(0)
	; wave barrier
	s_waitcnt lgkmcnt(0)
	ds_write2_b32 v3, v62, v65 offset1:1
	ds_write2_b32 v3, v69, v73 offset0:2 offset1:3
	ds_write2_b32 v3, v77, v81 offset0:4 offset1:5
	;; [unrolled: 1-line block ×3, first 2 shown]
	v_mov_b32_e32 v63, v39
	s_waitcnt lgkmcnt(0)
	; wave barrier
	s_waitcnt lgkmcnt(0)
	s_and_saveexec_b64 s[12:13], s[6:7]
	s_cbranch_execz .LBB9_134
; %bb.131:                              ;   in Loop: Header=BB9_2 Depth=1
	s_mov_b64 s[14:15], 0
	v_mov_b32_e32 v63, v39
	v_mov_b32_e32 v61, v40
.LBB9_132:                              ;   Parent Loop BB9_2 Depth=1
                                        ; =>  This Inner Loop Header: Depth=2
	v_sub_u32_e32 v62, v61, v63
	v_lshrrev_b32_e32 v64, 31, v62
	v_add_u32_e32 v62, v62, v64
	v_ashrrev_i32_e32 v62, 1, v62
	v_add_u32_e32 v62, v62, v63
	v_xad_u32 v65, v62, -1, v13
	v_lshl_add_u32 v64, v62, 2, v48
	v_lshl_add_u32 v65, v65, 2, v49
	ds_read_b32 v64, v64
	ds_read_b32 v65, v65
	v_add_u32_e32 v66, 1, v62
	s_waitcnt lgkmcnt(0)
	v_cmp_lt_i32_e64 s[10:11], v65, v64
	s_nop 1
	v_cndmask_b32_e64 v61, v61, v62, s[10:11]
	v_cndmask_b32_e64 v63, v66, v63, s[10:11]
	v_cmp_ge_i32_e64 s[10:11], v63, v61
	s_or_b64 s[14:15], s[10:11], s[14:15]
	s_andn2_b64 exec, exec, s[14:15]
	s_cbranch_execnz .LBB9_132
; %bb.133:                              ;   in Loop: Header=BB9_2 Depth=1
	s_or_b64 exec, exec, s[14:15]
.LBB9_134:                              ;   in Loop: Header=BB9_2 Depth=1
	s_or_b64 exec, exec, s[12:13]
	v_sub_u32_e32 v61, v50, v63
	v_lshl_add_u32 v68, v63, 2, v48
	v_lshlrev_b32_e32 v67, 2, v61
	ds_read_b32 v62, v68
	ds_read_b32 v64, v67
	v_add_u32_e32 v63, v63, v12
	v_cmp_le_i32_e64 s[12:13], v25, v63
	v_cmp_gt_i32_e64 s[10:11], v26, v61
                                        ; implicit-def: $vgpr65
                                        ; implicit-def: $vgpr66
	s_waitcnt lgkmcnt(0)
	v_cmp_lt_i32_e64 s[14:15], v64, v62
	s_or_b64 s[12:13], s[12:13], s[14:15]
	s_and_b64 s[10:11], s[10:11], s[12:13]
	s_xor_b64 s[12:13], s[10:11], -1
	s_and_saveexec_b64 s[14:15], s[12:13]
	s_xor_b64 s[12:13], exec, s[14:15]
	s_cbranch_execz .LBB9_136
; %bb.135:                              ;   in Loop: Header=BB9_2 Depth=1
	ds_read_b32 v66, v68 offset:4
	v_mov_b32_e32 v65, v64
                                        ; implicit-def: $vgpr67
.LBB9_136:                              ;   in Loop: Header=BB9_2 Depth=1
	s_andn2_saveexec_b64 s[12:13], s[12:13]
	s_cbranch_execz .LBB9_138
; %bb.137:                              ;   in Loop: Header=BB9_2 Depth=1
	ds_read_b32 v65, v67 offset:4
	s_waitcnt lgkmcnt(1)
	v_mov_b32_e32 v66, v62
.LBB9_138:                              ;   in Loop: Header=BB9_2 Depth=1
	s_or_b64 exec, exec, s[12:13]
	v_add_u32_e32 v68, 1, v63
	v_add_u32_e32 v67, 1, v61
	v_cndmask_b32_e64 v68, v68, v63, s[10:11]
	v_cndmask_b32_e64 v67, v61, v67, s[10:11]
	v_cmp_ge_i32_e64 s[14:15], v68, v25
	s_waitcnt lgkmcnt(0)
	v_cmp_lt_i32_e64 s[16:17], v65, v66
	v_cmp_lt_i32_e64 s[12:13], v67, v26
	s_or_b64 s[14:15], s[14:15], s[16:17]
	s_and_b64 s[12:13], s[12:13], s[14:15]
	s_xor_b64 s[14:15], s[12:13], -1
                                        ; implicit-def: $vgpr69
	s_and_saveexec_b64 s[16:17], s[14:15]
	s_xor_b64 s[14:15], exec, s[16:17]
	s_cbranch_execz .LBB9_140
; %bb.139:                              ;   in Loop: Header=BB9_2 Depth=1
	v_lshlrev_b32_e32 v69, 2, v68
	ds_read_b32 v69, v69 offset:4
.LBB9_140:                              ;   in Loop: Header=BB9_2 Depth=1
	s_or_saveexec_b64 s[14:15], s[14:15]
	v_mov_b32_e32 v70, v65
	s_xor_b64 exec, exec, s[14:15]
	s_cbranch_execz .LBB9_142
; %bb.141:                              ;   in Loop: Header=BB9_2 Depth=1
	s_waitcnt lgkmcnt(0)
	v_lshlrev_b32_e32 v69, 2, v67
	ds_read_b32 v70, v69 offset:4
	v_mov_b32_e32 v69, v66
.LBB9_142:                              ;   in Loop: Header=BB9_2 Depth=1
	s_or_b64 exec, exec, s[14:15]
	v_add_u32_e32 v72, 1, v68
	v_add_u32_e32 v71, 1, v67
	v_cndmask_b32_e64 v72, v72, v68, s[12:13]
	v_cndmask_b32_e64 v71, v67, v71, s[12:13]
	v_cmp_ge_i32_e64 s[16:17], v72, v25
	s_waitcnt lgkmcnt(0)
	v_cmp_lt_i32_e64 s[18:19], v70, v69
	v_cmp_lt_i32_e64 s[14:15], v71, v26
	s_or_b64 s[16:17], s[16:17], s[18:19]
	s_and_b64 s[14:15], s[14:15], s[16:17]
	s_xor_b64 s[16:17], s[14:15], -1
                                        ; implicit-def: $vgpr73
	s_and_saveexec_b64 s[18:19], s[16:17]
	s_xor_b64 s[16:17], exec, s[18:19]
	s_cbranch_execz .LBB9_144
; %bb.143:                              ;   in Loop: Header=BB9_2 Depth=1
	v_lshlrev_b32_e32 v73, 2, v72
	ds_read_b32 v73, v73 offset:4
.LBB9_144:                              ;   in Loop: Header=BB9_2 Depth=1
	s_or_saveexec_b64 s[16:17], s[16:17]
	v_mov_b32_e32 v74, v70
	s_xor_b64 exec, exec, s[16:17]
	s_cbranch_execz .LBB9_146
; %bb.145:                              ;   in Loop: Header=BB9_2 Depth=1
	s_waitcnt lgkmcnt(0)
	v_lshlrev_b32_e32 v73, 2, v71
	ds_read_b32 v74, v73 offset:4
	v_mov_b32_e32 v73, v69
.LBB9_146:                              ;   in Loop: Header=BB9_2 Depth=1
	s_or_b64 exec, exec, s[16:17]
	v_add_u32_e32 v76, 1, v72
	v_add_u32_e32 v75, 1, v71
	v_cndmask_b32_e64 v76, v76, v72, s[14:15]
	v_cndmask_b32_e64 v75, v71, v75, s[14:15]
	v_cmp_ge_i32_e64 s[18:19], v76, v25
	s_waitcnt lgkmcnt(0)
	v_cmp_lt_i32_e64 s[20:21], v74, v73
	v_cmp_lt_i32_e64 s[16:17], v75, v26
	s_or_b64 s[18:19], s[18:19], s[20:21]
	s_and_b64 s[16:17], s[16:17], s[18:19]
	s_xor_b64 s[18:19], s[16:17], -1
                                        ; implicit-def: $vgpr77
	s_and_saveexec_b64 s[20:21], s[18:19]
	s_xor_b64 s[18:19], exec, s[20:21]
	s_cbranch_execz .LBB9_148
; %bb.147:                              ;   in Loop: Header=BB9_2 Depth=1
	v_lshlrev_b32_e32 v77, 2, v76
	ds_read_b32 v77, v77 offset:4
.LBB9_148:                              ;   in Loop: Header=BB9_2 Depth=1
	s_or_saveexec_b64 s[18:19], s[18:19]
	v_mov_b32_e32 v78, v74
	s_xor_b64 exec, exec, s[18:19]
	s_cbranch_execz .LBB9_150
; %bb.149:                              ;   in Loop: Header=BB9_2 Depth=1
	s_waitcnt lgkmcnt(0)
	v_lshlrev_b32_e32 v77, 2, v75
	ds_read_b32 v78, v77 offset:4
	v_mov_b32_e32 v77, v73
.LBB9_150:                              ;   in Loop: Header=BB9_2 Depth=1
	s_or_b64 exec, exec, s[18:19]
	v_add_u32_e32 v80, 1, v76
	v_add_u32_e32 v79, 1, v75
	v_cndmask_b32_e64 v80, v80, v76, s[16:17]
	v_cndmask_b32_e64 v79, v75, v79, s[16:17]
	v_cmp_ge_i32_e64 s[20:21], v80, v25
	s_waitcnt lgkmcnt(0)
	v_cmp_lt_i32_e64 s[22:23], v78, v77
	v_cmp_lt_i32_e64 s[18:19], v79, v26
	s_or_b64 s[20:21], s[20:21], s[22:23]
	s_and_b64 s[18:19], s[18:19], s[20:21]
	s_xor_b64 s[20:21], s[18:19], -1
                                        ; implicit-def: $vgpr81
	s_and_saveexec_b64 s[22:23], s[20:21]
	s_xor_b64 s[20:21], exec, s[22:23]
	s_cbranch_execz .LBB9_152
; %bb.151:                              ;   in Loop: Header=BB9_2 Depth=1
	v_lshlrev_b32_e32 v81, 2, v80
	ds_read_b32 v81, v81 offset:4
.LBB9_152:                              ;   in Loop: Header=BB9_2 Depth=1
	s_or_saveexec_b64 s[20:21], s[20:21]
	v_mov_b32_e32 v82, v78
	s_xor_b64 exec, exec, s[20:21]
	s_cbranch_execz .LBB9_154
; %bb.153:                              ;   in Loop: Header=BB9_2 Depth=1
	s_waitcnt lgkmcnt(0)
	v_lshlrev_b32_e32 v81, 2, v79
	ds_read_b32 v82, v81 offset:4
	v_mov_b32_e32 v81, v77
.LBB9_154:                              ;   in Loop: Header=BB9_2 Depth=1
	s_or_b64 exec, exec, s[20:21]
	v_add_u32_e32 v84, 1, v80
	v_add_u32_e32 v83, 1, v79
	v_cndmask_b32_e64 v84, v84, v80, s[18:19]
	v_cndmask_b32_e64 v83, v79, v83, s[18:19]
	v_cmp_ge_i32_e64 s[22:23], v84, v25
	s_waitcnt lgkmcnt(0)
	v_cmp_lt_i32_e64 s[24:25], v82, v81
	v_cmp_lt_i32_e64 s[20:21], v83, v26
	s_or_b64 s[22:23], s[22:23], s[24:25]
	s_and_b64 s[20:21], s[20:21], s[22:23]
	s_xor_b64 s[22:23], s[20:21], -1
                                        ; implicit-def: $vgpr85
	s_and_saveexec_b64 s[24:25], s[22:23]
	s_xor_b64 s[22:23], exec, s[24:25]
	s_cbranch_execz .LBB9_156
; %bb.155:                              ;   in Loop: Header=BB9_2 Depth=1
	v_lshlrev_b32_e32 v85, 2, v84
	ds_read_b32 v85, v85 offset:4
.LBB9_156:                              ;   in Loop: Header=BB9_2 Depth=1
	s_or_saveexec_b64 s[22:23], s[22:23]
	v_mov_b32_e32 v86, v82
	s_xor_b64 exec, exec, s[22:23]
	s_cbranch_execz .LBB9_158
; %bb.157:                              ;   in Loop: Header=BB9_2 Depth=1
	s_waitcnt lgkmcnt(0)
	v_lshlrev_b32_e32 v85, 2, v83
	ds_read_b32 v86, v85 offset:4
	v_mov_b32_e32 v85, v81
.LBB9_158:                              ;   in Loop: Header=BB9_2 Depth=1
	s_or_b64 exec, exec, s[22:23]
	v_add_u32_e32 v89, 1, v84
	v_add_u32_e32 v87, 1, v83
	v_cndmask_b32_e64 v89, v89, v84, s[20:21]
	v_cndmask_b32_e64 v88, v83, v87, s[20:21]
	v_cmp_ge_i32_e64 s[24:25], v89, v25
	s_waitcnt lgkmcnt(0)
	v_cmp_lt_i32_e64 s[26:27], v86, v85
	v_cmp_lt_i32_e64 s[22:23], v88, v26
	s_or_b64 s[24:25], s[24:25], s[26:27]
	s_and_b64 s[22:23], s[22:23], s[24:25]
	s_xor_b64 s[24:25], s[22:23], -1
                                        ; implicit-def: $vgpr87
	s_and_saveexec_b64 s[26:27], s[24:25]
	s_xor_b64 s[24:25], exec, s[26:27]
	s_cbranch_execz .LBB9_160
; %bb.159:                              ;   in Loop: Header=BB9_2 Depth=1
	v_lshlrev_b32_e32 v87, 2, v89
	ds_read_b32 v87, v87 offset:4
.LBB9_160:                              ;   in Loop: Header=BB9_2 Depth=1
	s_or_saveexec_b64 s[24:25], s[24:25]
	v_mov_b32_e32 v90, v86
	s_xor_b64 exec, exec, s[24:25]
	s_cbranch_execz .LBB9_162
; %bb.161:                              ;   in Loop: Header=BB9_2 Depth=1
	s_waitcnt lgkmcnt(0)
	v_lshlrev_b32_e32 v87, 2, v88
	ds_read_b32 v90, v87 offset:4
	v_mov_b32_e32 v87, v85
.LBB9_162:                              ;   in Loop: Header=BB9_2 Depth=1
	s_or_b64 exec, exec, s[24:25]
	v_add_u32_e32 v91, 1, v89
	v_cndmask_b32_e64 v85, v85, v86, s[22:23]
	v_add_u32_e32 v86, 1, v88
	v_cndmask_b32_e64 v91, v91, v89, s[22:23]
	v_cndmask_b32_e64 v86, v88, v86, s[22:23]
	;; [unrolled: 1-line block ×6, first 2 shown]
	v_cmp_ge_i32_e64 s[12:13], v91, v25
	s_waitcnt lgkmcnt(0)
	v_cmp_lt_i32_e64 s[14:15], v90, v87
	v_cndmask_b32_e64 v62, v62, v64, s[10:11]
	v_cndmask_b32_e64 v61, v63, v61, s[10:11]
	v_cmp_lt_i32_e64 s[10:11], v86, v26
	s_or_b64 s[12:13], s[12:13], s[14:15]
	s_and_b64 s[10:11], s[10:11], s[12:13]
	v_cndmask_b32_e64 v88, v89, v88, s[22:23]
	v_cndmask_b32_e64 v81, v81, v82, s[20:21]
	;; [unrolled: 1-line block ×8, first 2 shown]
	s_waitcnt lgkmcnt(0)
	; wave barrier
	ds_write2_b32 v3, v53, v54 offset1:1
	ds_write2_b32 v3, v55, v56 offset0:2 offset1:3
	ds_write2_b32 v3, v57, v58 offset0:4 offset1:5
	ds_write2_b32 v3, v59, v60 offset0:6 offset1:7
	v_lshlrev_b32_e32 v53, 2, v61
	v_lshlrev_b32_e32 v54, 2, v66
	;; [unrolled: 1-line block ×8, first 2 shown]
	s_waitcnt lgkmcnt(0)
	; wave barrier
	s_waitcnt lgkmcnt(0)
	ds_read_b32 v53, v53
	ds_read_b32 v54, v54
	;; [unrolled: 1-line block ×8, first 2 shown]
	v_mov_b32_e32 v61, v41
	v_cndmask_b32_e64 v63, v87, v90, s[10:11]
	s_waitcnt lgkmcnt(0)
	; wave barrier
	s_waitcnt lgkmcnt(0)
	ds_write2_b32 v3, v62, v65 offset1:1
	ds_write2_b32 v3, v69, v73 offset0:2 offset1:3
	ds_write2_b32 v3, v77, v81 offset0:4 offset1:5
	;; [unrolled: 1-line block ×3, first 2 shown]
	s_waitcnt lgkmcnt(0)
	; wave barrier
	s_waitcnt lgkmcnt(0)
	s_and_saveexec_b64 s[12:13], s[8:9]
	s_cbranch_execz .LBB9_166
; %bb.163:                              ;   in Loop: Header=BB9_2 Depth=1
	s_mov_b64 s[14:15], 0
	v_mov_b32_e32 v61, v41
	v_mov_b32_e32 v62, v42
.LBB9_164:                              ;   Parent Loop BB9_2 Depth=1
                                        ; =>  This Inner Loop Header: Depth=2
	v_sub_u32_e32 v63, v62, v61
	v_lshrrev_b32_e32 v64, 31, v63
	v_add_u32_e32 v63, v63, v64
	v_ashrrev_i32_e32 v63, 1, v63
	v_add_u32_e32 v63, v63, v61
	v_xad_u32 v65, v63, -1, v2
	v_lshlrev_b32_e32 v64, 2, v63
	v_lshl_add_u32 v65, v65, 2, v51
	ds_read_b32 v64, v64
	ds_read_b32 v65, v65
	v_add_u32_e32 v66, 1, v63
	s_waitcnt lgkmcnt(0)
	v_cmp_lt_i32_e64 s[10:11], v65, v64
	s_nop 1
	v_cndmask_b32_e64 v62, v62, v63, s[10:11]
	v_cndmask_b32_e64 v61, v66, v61, s[10:11]
	v_cmp_ge_i32_e64 s[10:11], v61, v62
	s_or_b64 s[14:15], s[10:11], s[14:15]
	s_andn2_b64 exec, exec, s[14:15]
	s_cbranch_execnz .LBB9_164
; %bb.165:                              ;   in Loop: Header=BB9_2 Depth=1
	s_or_b64 exec, exec, s[14:15]
.LBB9_166:                              ;   in Loop: Header=BB9_2 Depth=1
	s_or_b64 exec, exec, s[12:13]
	v_sub_u32_e32 v62, v52, v61
	v_lshlrev_b32_e32 v68, 2, v61
	v_lshlrev_b32_e32 v67, 2, v62
	ds_read_b32 v63, v68
	ds_read_b32 v64, v67
	v_cmp_le_i32_e64 s[12:13], v1, v61
	v_cmp_gt_i32_e64 s[10:11], s33, v62
                                        ; implicit-def: $vgpr65
                                        ; implicit-def: $vgpr66
	s_waitcnt lgkmcnt(0)
	v_cmp_lt_i32_e64 s[14:15], v64, v63
	s_or_b64 s[12:13], s[12:13], s[14:15]
	s_and_b64 s[10:11], s[10:11], s[12:13]
	s_xor_b64 s[12:13], s[10:11], -1
	s_and_saveexec_b64 s[14:15], s[12:13]
	s_xor_b64 s[12:13], exec, s[14:15]
	s_cbranch_execz .LBB9_168
; %bb.167:                              ;   in Loop: Header=BB9_2 Depth=1
	ds_read_b32 v66, v68 offset:4
	v_mov_b32_e32 v65, v64
                                        ; implicit-def: $vgpr67
.LBB9_168:                              ;   in Loop: Header=BB9_2 Depth=1
	s_andn2_saveexec_b64 s[12:13], s[12:13]
	s_cbranch_execz .LBB9_170
; %bb.169:                              ;   in Loop: Header=BB9_2 Depth=1
	ds_read_b32 v65, v67 offset:4
	s_waitcnt lgkmcnt(1)
	v_mov_b32_e32 v66, v63
.LBB9_170:                              ;   in Loop: Header=BB9_2 Depth=1
	s_or_b64 exec, exec, s[12:13]
	v_add_u32_e32 v68, 1, v61
	v_add_u32_e32 v67, 1, v62
	v_cndmask_b32_e64 v68, v68, v61, s[10:11]
	v_cndmask_b32_e64 v67, v62, v67, s[10:11]
	v_cmp_ge_i32_e64 s[14:15], v68, v1
	s_waitcnt lgkmcnt(0)
	v_cmp_lt_i32_e64 s[16:17], v65, v66
	v_cmp_gt_i32_e64 s[12:13], s33, v67
	s_or_b64 s[14:15], s[14:15], s[16:17]
	s_and_b64 s[12:13], s[12:13], s[14:15]
	s_xor_b64 s[14:15], s[12:13], -1
                                        ; implicit-def: $vgpr70
	s_and_saveexec_b64 s[16:17], s[14:15]
	s_xor_b64 s[14:15], exec, s[16:17]
	s_cbranch_execz .LBB9_172
; %bb.171:                              ;   in Loop: Header=BB9_2 Depth=1
	v_lshlrev_b32_e32 v69, 2, v68
	ds_read_b32 v70, v69 offset:4
.LBB9_172:                              ;   in Loop: Header=BB9_2 Depth=1
	s_or_saveexec_b64 s[14:15], s[14:15]
	v_mov_b32_e32 v71, v65
	s_xor_b64 exec, exec, s[14:15]
	s_cbranch_execz .LBB9_174
; %bb.173:                              ;   in Loop: Header=BB9_2 Depth=1
	v_lshlrev_b32_e32 v69, 2, v67
	ds_read_b32 v71, v69 offset:4
	s_waitcnt lgkmcnt(1)
	v_mov_b32_e32 v70, v66
.LBB9_174:                              ;   in Loop: Header=BB9_2 Depth=1
	s_or_b64 exec, exec, s[14:15]
	v_add_u32_e32 v73, 1, v68
	v_add_u32_e32 v69, 1, v67
	v_cndmask_b32_e64 v73, v73, v68, s[12:13]
	v_cndmask_b32_e64 v72, v67, v69, s[12:13]
	v_cmp_ge_i32_e64 s[16:17], v73, v1
	s_waitcnt lgkmcnt(0)
	v_cmp_lt_i32_e64 s[18:19], v71, v70
	v_cmp_gt_i32_e64 s[14:15], s33, v72
	s_or_b64 s[16:17], s[16:17], s[18:19]
	s_and_b64 s[14:15], s[14:15], s[16:17]
	s_xor_b64 s[16:17], s[14:15], -1
                                        ; implicit-def: $vgpr74
	s_and_saveexec_b64 s[18:19], s[16:17]
	s_xor_b64 s[16:17], exec, s[18:19]
	s_cbranch_execz .LBB9_176
; %bb.175:                              ;   in Loop: Header=BB9_2 Depth=1
	v_lshlrev_b32_e32 v69, 2, v73
	ds_read_b32 v74, v69 offset:4
.LBB9_176:                              ;   in Loop: Header=BB9_2 Depth=1
	s_or_saveexec_b64 s[16:17], s[16:17]
	v_mov_b32_e32 v75, v71
	s_xor_b64 exec, exec, s[16:17]
	s_cbranch_execz .LBB9_178
; %bb.177:                              ;   in Loop: Header=BB9_2 Depth=1
	v_lshlrev_b32_e32 v69, 2, v72
	ds_read_b32 v75, v69 offset:4
	s_waitcnt lgkmcnt(1)
	v_mov_b32_e32 v74, v70
.LBB9_178:                              ;   in Loop: Header=BB9_2 Depth=1
	s_or_b64 exec, exec, s[16:17]
	v_add_u32_e32 v77, 1, v73
	v_add_u32_e32 v69, 1, v72
	v_cndmask_b32_e64 v77, v77, v73, s[14:15]
	v_cndmask_b32_e64 v76, v72, v69, s[14:15]
	v_cmp_ge_i32_e64 s[18:19], v77, v1
	s_waitcnt lgkmcnt(0)
	v_cmp_lt_i32_e64 s[20:21], v75, v74
	v_cmp_gt_i32_e64 s[16:17], s33, v76
	s_or_b64 s[18:19], s[18:19], s[20:21]
	s_and_b64 s[16:17], s[16:17], s[18:19]
	s_xor_b64 s[18:19], s[16:17], -1
                                        ; implicit-def: $vgpr79
	s_and_saveexec_b64 s[20:21], s[18:19]
	s_xor_b64 s[18:19], exec, s[20:21]
	s_cbranch_execz .LBB9_180
; %bb.179:                              ;   in Loop: Header=BB9_2 Depth=1
	v_lshlrev_b32_e32 v69, 2, v77
	ds_read_b32 v79, v69 offset:4
.LBB9_180:                              ;   in Loop: Header=BB9_2 Depth=1
	s_or_saveexec_b64 s[18:19], s[18:19]
	v_mov_b32_e32 v81, v75
	s_xor_b64 exec, exec, s[18:19]
	s_cbranch_execz .LBB9_182
; %bb.181:                              ;   in Loop: Header=BB9_2 Depth=1
	v_lshlrev_b32_e32 v69, 2, v76
	ds_read_b32 v81, v69 offset:4
	s_waitcnt lgkmcnt(1)
	v_mov_b32_e32 v79, v74
.LBB9_182:                              ;   in Loop: Header=BB9_2 Depth=1
	s_or_b64 exec, exec, s[18:19]
	v_add_u32_e32 v78, 1, v77
	v_add_u32_e32 v69, 1, v76
	v_cndmask_b32_e64 v83, v78, v77, s[16:17]
	v_cndmask_b32_e64 v82, v76, v69, s[16:17]
	v_cmp_ge_i32_e64 s[20:21], v83, v1
	s_waitcnt lgkmcnt(0)
	v_cmp_lt_i32_e64 s[22:23], v81, v79
	v_cmp_gt_i32_e64 s[18:19], s33, v82
	s_or_b64 s[20:21], s[20:21], s[22:23]
	s_and_b64 s[20:21], s[18:19], s[20:21]
	s_xor_b64 s[18:19], s[20:21], -1
                                        ; implicit-def: $vgpr78
	s_and_saveexec_b64 s[22:23], s[18:19]
	s_xor_b64 s[18:19], exec, s[22:23]
	s_cbranch_execz .LBB9_184
; %bb.183:                              ;   in Loop: Header=BB9_2 Depth=1
	v_lshlrev_b32_e32 v69, 2, v83
	ds_read_b32 v78, v69 offset:4
.LBB9_184:                              ;   in Loop: Header=BB9_2 Depth=1
	s_or_saveexec_b64 s[18:19], s[18:19]
	v_mov_b32_e32 v80, v81
	s_xor_b64 exec, exec, s[18:19]
	s_cbranch_execz .LBB9_186
; %bb.185:                              ;   in Loop: Header=BB9_2 Depth=1
	v_lshlrev_b32_e32 v69, 2, v82
	ds_read_b32 v80, v69 offset:4
	s_waitcnt lgkmcnt(1)
	v_mov_b32_e32 v78, v79
.LBB9_186:                              ;   in Loop: Header=BB9_2 Depth=1
	s_or_b64 exec, exec, s[18:19]
	v_add_u32_e32 v84, 1, v83
	v_add_u32_e32 v69, 1, v82
	v_cndmask_b32_e64 v87, v84, v83, s[20:21]
	v_cndmask_b32_e64 v86, v82, v69, s[20:21]
	v_cmp_ge_i32_e64 s[22:23], v87, v1
	s_waitcnt lgkmcnt(0)
	v_cmp_lt_i32_e64 s[24:25], v80, v78
	v_cmp_gt_i32_e64 s[18:19], s33, v86
	s_or_b64 s[22:23], s[22:23], s[24:25]
	s_and_b64 s[18:19], s[18:19], s[22:23]
	s_xor_b64 s[22:23], s[18:19], -1
                                        ; implicit-def: $vgpr84
	s_and_saveexec_b64 s[24:25], s[22:23]
	s_xor_b64 s[22:23], exec, s[24:25]
	s_cbranch_execz .LBB9_188
; %bb.187:                              ;   in Loop: Header=BB9_2 Depth=1
	v_lshlrev_b32_e32 v69, 2, v87
	ds_read_b32 v84, v69 offset:4
.LBB9_188:                              ;   in Loop: Header=BB9_2 Depth=1
	s_or_saveexec_b64 s[22:23], s[22:23]
	v_mov_b32_e32 v85, v80
	s_xor_b64 exec, exec, s[22:23]
	s_cbranch_execz .LBB9_190
; %bb.189:                              ;   in Loop: Header=BB9_2 Depth=1
	v_lshlrev_b32_e32 v69, 2, v86
	ds_read_b32 v85, v69 offset:4
	s_waitcnt lgkmcnt(1)
	v_mov_b32_e32 v84, v78
.LBB9_190:                              ;   in Loop: Header=BB9_2 Depth=1
	s_or_b64 exec, exec, s[22:23]
	v_add_u32_e32 v69, 1, v86
	v_add_u32_e32 v89, 1, v87
	v_cndmask_b32_e64 v88, v86, v69, s[18:19]
	v_cndmask_b32_e64 v69, v89, v87, s[18:19]
	v_cmp_ge_i32_e64 s[24:25], v69, v1
	s_waitcnt lgkmcnt(0)
	v_cmp_lt_i32_e64 s[26:27], v85, v84
	v_cmp_gt_i32_e64 s[22:23], s33, v88
	s_or_b64 s[24:25], s[24:25], s[26:27]
	s_and_b64 s[22:23], s[22:23], s[24:25]
	s_xor_b64 s[24:25], s[22:23], -1
                                        ; implicit-def: $vgpr91
                                        ; implicit-def: $vgpr90
	s_and_saveexec_b64 s[26:27], s[24:25]
	s_xor_b64 s[24:25], exec, s[26:27]
	s_cbranch_execz .LBB9_192
; %bb.191:                              ;   in Loop: Header=BB9_2 Depth=1
	v_lshlrev_b32_e32 v89, 2, v69
	ds_read_b32 v91, v89 offset:4
	v_add_u32_e32 v90, 1, v69
.LBB9_192:                              ;   in Loop: Header=BB9_2 Depth=1
	s_or_saveexec_b64 s[24:25], s[24:25]
	v_mov_b32_e32 v89, v69
	v_mov_b32_e32 v92, v85
	s_xor_b64 exec, exec, s[24:25]
	s_cbranch_execz .LBB9_1
; %bb.193:                              ;   in Loop: Header=BB9_2 Depth=1
	v_lshlrev_b32_e32 v89, 2, v88
	ds_read_b32 v92, v89 offset:4
	s_waitcnt lgkmcnt(1)
	v_add_u32_e32 v91, 1, v88
	v_mov_b32_e32 v89, v88
	v_mov_b32_e32 v90, v69
	;; [unrolled: 1-line block ×4, first 2 shown]
	s_branch .LBB9_1
.LBB9_194:
	s_add_u32 s0, s86, s88
	s_waitcnt lgkmcnt(7)
	v_add_u32_e32 v1, v69, v53
	s_addc_u32 s1, s87, s89
	v_lshlrev_b32_e32 v0, 2, v0
	s_waitcnt lgkmcnt(6)
	v_add_u32_e32 v2, v66, v57
	s_waitcnt lgkmcnt(5)
	v_add_u32_e32 v3, v64, v54
	;; [unrolled: 2-line block ×7, first 2 shown]
	global_store_dword v0, v1, s[0:1]
	global_store_dword v0, v2, s[0:1] offset:256
	global_store_dword v0, v3, s[0:1] offset:512
	;; [unrolled: 1-line block ×7, first 2 shown]
	s_endpgm
	.section	.rodata,"a",@progbits
	.p2align	6, 0x0
	.amdhsa_kernel _Z17sort_pairs_kernelIiLj64ELj8EN10test_utils4lessELj10EEvPKT_PS2_T2_
		.amdhsa_group_segment_fixed_size 2052
		.amdhsa_private_segment_fixed_size 0
		.amdhsa_kernarg_size 20
		.amdhsa_user_sgpr_count 2
		.amdhsa_user_sgpr_dispatch_ptr 0
		.amdhsa_user_sgpr_queue_ptr 0
		.amdhsa_user_sgpr_kernarg_segment_ptr 1
		.amdhsa_user_sgpr_dispatch_id 0
		.amdhsa_user_sgpr_kernarg_preload_length 0
		.amdhsa_user_sgpr_kernarg_preload_offset 0
		.amdhsa_user_sgpr_private_segment_size 0
		.amdhsa_uses_dynamic_stack 0
		.amdhsa_enable_private_segment 0
		.amdhsa_system_sgpr_workgroup_id_x 1
		.amdhsa_system_sgpr_workgroup_id_y 0
		.amdhsa_system_sgpr_workgroup_id_z 0
		.amdhsa_system_sgpr_workgroup_info 0
		.amdhsa_system_vgpr_workitem_id 0
		.amdhsa_next_free_vgpr 93
		.amdhsa_next_free_sgpr 92
		.amdhsa_accum_offset 96
		.amdhsa_reserve_vcc 1
		.amdhsa_float_round_mode_32 0
		.amdhsa_float_round_mode_16_64 0
		.amdhsa_float_denorm_mode_32 3
		.amdhsa_float_denorm_mode_16_64 3
		.amdhsa_dx10_clamp 1
		.amdhsa_ieee_mode 1
		.amdhsa_fp16_overflow 0
		.amdhsa_tg_split 0
		.amdhsa_exception_fp_ieee_invalid_op 0
		.amdhsa_exception_fp_denorm_src 0
		.amdhsa_exception_fp_ieee_div_zero 0
		.amdhsa_exception_fp_ieee_overflow 0
		.amdhsa_exception_fp_ieee_underflow 0
		.amdhsa_exception_fp_ieee_inexact 0
		.amdhsa_exception_int_div_zero 0
	.end_amdhsa_kernel
	.section	.text._Z17sort_pairs_kernelIiLj64ELj8EN10test_utils4lessELj10EEvPKT_PS2_T2_,"axG",@progbits,_Z17sort_pairs_kernelIiLj64ELj8EN10test_utils4lessELj10EEvPKT_PS2_T2_,comdat
.Lfunc_end9:
	.size	_Z17sort_pairs_kernelIiLj64ELj8EN10test_utils4lessELj10EEvPKT_PS2_T2_, .Lfunc_end9-_Z17sort_pairs_kernelIiLj64ELj8EN10test_utils4lessELj10EEvPKT_PS2_T2_
                                        ; -- End function
	.section	.AMDGPU.csdata,"",@progbits
; Kernel info:
; codeLenInByte = 10340
; NumSgprs: 98
; NumVgprs: 93
; NumAgprs: 0
; TotalNumVgprs: 93
; ScratchSize: 0
; MemoryBound: 0
; FloatMode: 240
; IeeeMode: 1
; LDSByteSize: 2052 bytes/workgroup (compile time only)
; SGPRBlocks: 12
; VGPRBlocks: 11
; NumSGPRsForWavesPerEU: 98
; NumVGPRsForWavesPerEU: 93
; AccumOffset: 96
; Occupancy: 5
; WaveLimiterHint : 1
; COMPUTE_PGM_RSRC2:SCRATCH_EN: 0
; COMPUTE_PGM_RSRC2:USER_SGPR: 2
; COMPUTE_PGM_RSRC2:TRAP_HANDLER: 0
; COMPUTE_PGM_RSRC2:TGID_X_EN: 1
; COMPUTE_PGM_RSRC2:TGID_Y_EN: 0
; COMPUTE_PGM_RSRC2:TGID_Z_EN: 0
; COMPUTE_PGM_RSRC2:TIDIG_COMP_CNT: 0
; COMPUTE_PGM_RSRC3_GFX90A:ACCUM_OFFSET: 23
; COMPUTE_PGM_RSRC3_GFX90A:TG_SPLIT: 0
	.section	.text._Z16sort_keys_kernelIiLj128ELj1EN10test_utils4lessELj10EEvPKT_PS2_T2_,"axG",@progbits,_Z16sort_keys_kernelIiLj128ELj1EN10test_utils4lessELj10EEvPKT_PS2_T2_,comdat
	.protected	_Z16sort_keys_kernelIiLj128ELj1EN10test_utils4lessELj10EEvPKT_PS2_T2_ ; -- Begin function _Z16sort_keys_kernelIiLj128ELj1EN10test_utils4lessELj10EEvPKT_PS2_T2_
	.globl	_Z16sort_keys_kernelIiLj128ELj1EN10test_utils4lessELj10EEvPKT_PS2_T2_
	.p2align	8
	.type	_Z16sort_keys_kernelIiLj128ELj1EN10test_utils4lessELj10EEvPKT_PS2_T2_,@function
_Z16sort_keys_kernelIiLj128ELj1EN10test_utils4lessELj10EEvPKT_PS2_T2_: ; @_Z16sort_keys_kernelIiLj128ELj1EN10test_utils4lessELj10EEvPKT_PS2_T2_
; %bb.0:
	s_load_dwordx4 s[16:19], s[0:1], 0x0
	s_lshl_b32 s20, s2, 7
	s_mov_b32 s21, 0
	s_lshl_b64 s[22:23], s[20:21], 2
	v_lshlrev_b32_e32 v1, 2, v0
	s_waitcnt lgkmcnt(0)
	s_add_u32 s0, s16, s22
	s_addc_u32 s1, s17, s23
	global_load_dword v54, v1, s[0:1]
	v_and_b32_e32 v13, 0x7c, v0
	v_and_b32_e32 v21, 0x78, v0
	;; [unrolled: 1-line block ×6, first 2 shown]
	v_or_b32_e32 v17, 2, v13
	v_add_u32_e32 v11, 4, v13
	v_or_b32_e32 v25, 4, v21
	v_add_u32_e32 v19, 8, v21
	;; [unrolled: 2-line block ×5, first 2 shown]
	v_and_b32_e32 v2, 1, v0
	v_or_b32_e32 v3, 1, v5
	v_and_b32_e32 v10, 3, v0
	v_sub_u32_e32 v15, v11, v17
	v_and_b32_e32 v18, 7, v0
	v_sub_u32_e32 v23, v19, v25
	;; [unrolled: 2-line block ×5, first 2 shown]
	v_sub_u32_e32 v4, v3, v5
	v_add_u32_e32 v7, -1, v2
	v_cmp_lt_i32_e32 vcc, 0, v2
	v_sub_u32_e32 v12, v17, v13
	v_sub_u32_e32 v16, v10, v15
	v_cmp_ge_i32_e64 s[0:1], v10, v15
	v_sub_u32_e32 v20, v25, v21
	v_sub_u32_e32 v24, v18, v23
	v_cmp_ge_i32_e64 s[2:3], v18, v23
	;; [unrolled: 3-line block ×5, first 2 shown]
	v_cndmask_b32_e32 v7, 0, v7, vcc
	v_min_i32_e32 v8, v2, v4
	v_cndmask_b32_e64 v15, 0, v16, s[0:1]
	v_min_i32_e32 v16, v10, v12
	v_cndmask_b32_e64 v23, 0, v24, s[2:3]
	;; [unrolled: 2-line block ×5, first 2 shown]
	v_min_i32_e32 v48, v42, v44
	v_sub_u32_e64 v51, v0, 64 clamp
	v_min_i32_e32 v52, 64, v0
	v_lshlrev_b32_e32 v5, 2, v5
	v_lshlrev_b32_e32 v6, 2, v3
	v_cmp_lt_i32_e32 vcc, v7, v8
	v_add_u32_e32 v9, v3, v2
	v_lshlrev_b32_e32 v13, 2, v13
	v_lshlrev_b32_e32 v14, 2, v17
	v_cmp_lt_i32_e64 s[0:1], v15, v16
	v_add_u32_e32 v17, v17, v10
	v_lshlrev_b32_e32 v21, 2, v21
	v_lshlrev_b32_e32 v22, 2, v25
	v_cmp_lt_i32_e64 s[2:3], v23, v24
	;; [unrolled: 4-line block ×5, first 2 shown]
	v_add_u32_e32 v49, v49, v42
	v_mov_b32_e32 v50, 0x100
	v_cmp_lt_i32_e64 s[10:11], v51, v52
	v_add_u32_e32 v53, 64, v0
	s_movk_i32 s20, 0x80
	s_branch .LBB10_2
.LBB10_1:                               ;   in Loop: Header=BB10_2 Depth=1
	s_or_b64 exec, exec, s[14:15]
	v_sub_u32_e32 v55, v53, v54
	v_lshlrev_b32_e32 v56, 2, v54
	v_lshlrev_b32_e32 v57, 2, v55
	ds_read_b32 v56, v56
	ds_read_b32 v57, v57
	v_cmp_le_i32_e64 s[12:13], 64, v54
	v_cmp_gt_i32_e64 s[14:15], s20, v55
	s_add_i32 s21, s21, 1
	s_waitcnt lgkmcnt(0)
	v_cmp_lt_i32_e64 s[16:17], v57, v56
	s_or_b64 s[12:13], s[12:13], s[16:17]
	s_and_b64 s[12:13], s[14:15], s[12:13]
	s_cmp_eq_u32 s21, 10
	v_cndmask_b32_e64 v54, v56, v57, s[12:13]
	s_cbranch_scc1 .LBB10_30
.LBB10_2:                               ; =>This Loop Header: Depth=1
                                        ;     Child Loop BB10_4 Depth 2
                                        ;     Child Loop BB10_8 Depth 2
	;; [unrolled: 1-line block ×7, first 2 shown]
	s_barrier
	s_waitcnt vmcnt(0)
	ds_write_b32 v1, v54
	v_mov_b32_e32 v54, v7
	s_waitcnt lgkmcnt(0)
	s_barrier
	s_and_saveexec_b64 s[14:15], vcc
	s_cbranch_execz .LBB10_6
; %bb.3:                                ;   in Loop: Header=BB10_2 Depth=1
	s_mov_b64 s[16:17], 0
	v_mov_b32_e32 v54, v7
	v_mov_b32_e32 v55, v8
.LBB10_4:                               ;   Parent Loop BB10_2 Depth=1
                                        ; =>  This Inner Loop Header: Depth=2
	v_sub_u32_e32 v56, v55, v54
	v_lshrrev_b32_e32 v57, 31, v56
	v_add_u32_e32 v56, v56, v57
	v_ashrrev_i32_e32 v56, 1, v56
	v_add_u32_e32 v56, v56, v54
	v_xad_u32 v58, v56, -1, v2
	v_lshl_add_u32 v57, v56, 2, v5
	v_lshl_add_u32 v58, v58, 2, v6
	ds_read_b32 v57, v57
	ds_read_b32 v58, v58
	v_add_u32_e32 v59, 1, v56
	s_waitcnt lgkmcnt(0)
	v_cmp_lt_i32_e64 s[12:13], v58, v57
	s_nop 1
	v_cndmask_b32_e64 v55, v55, v56, s[12:13]
	v_cndmask_b32_e64 v54, v59, v54, s[12:13]
	v_cmp_ge_i32_e64 s[12:13], v54, v55
	s_or_b64 s[16:17], s[12:13], s[16:17]
	s_andn2_b64 exec, exec, s[16:17]
	s_cbranch_execnz .LBB10_4
; %bb.5:                                ;   in Loop: Header=BB10_2 Depth=1
	s_or_b64 exec, exec, s[16:17]
.LBB10_6:                               ;   in Loop: Header=BB10_2 Depth=1
	s_or_b64 exec, exec, s[14:15]
	v_sub_u32_e32 v55, v9, v54
	v_lshl_add_u32 v56, v54, 2, v5
	v_lshlrev_b32_e32 v57, 2, v55
	ds_read_b32 v56, v56
	ds_read_b32 v57, v57
	v_cmp_ge_i32_e64 s[12:13], v54, v4
	v_cmp_ge_i32_e64 s[14:15], v3, v55
	s_waitcnt lgkmcnt(0)
	s_barrier
	v_cmp_lt_i32_e64 s[16:17], v57, v56
	s_or_b64 s[12:13], s[12:13], s[16:17]
	s_and_b64 s[12:13], s[14:15], s[12:13]
	v_cndmask_b32_e64 v54, v56, v57, s[12:13]
	ds_write_b32 v1, v54
	v_mov_b32_e32 v54, v15
	s_waitcnt lgkmcnt(0)
	s_barrier
	s_and_saveexec_b64 s[14:15], s[0:1]
	s_cbranch_execz .LBB10_10
; %bb.7:                                ;   in Loop: Header=BB10_2 Depth=1
	s_mov_b64 s[16:17], 0
	v_mov_b32_e32 v54, v15
	v_mov_b32_e32 v55, v16
.LBB10_8:                               ;   Parent Loop BB10_2 Depth=1
                                        ; =>  This Inner Loop Header: Depth=2
	v_sub_u32_e32 v56, v55, v54
	v_lshrrev_b32_e32 v57, 31, v56
	v_add_u32_e32 v56, v56, v57
	v_ashrrev_i32_e32 v56, 1, v56
	v_add_u32_e32 v56, v56, v54
	v_xad_u32 v58, v56, -1, v10
	v_lshl_add_u32 v57, v56, 2, v13
	v_lshl_add_u32 v58, v58, 2, v14
	ds_read_b32 v57, v57
	ds_read_b32 v58, v58
	v_add_u32_e32 v59, 1, v56
	s_waitcnt lgkmcnt(0)
	v_cmp_lt_i32_e64 s[12:13], v58, v57
	s_nop 1
	v_cndmask_b32_e64 v55, v55, v56, s[12:13]
	v_cndmask_b32_e64 v54, v59, v54, s[12:13]
	v_cmp_ge_i32_e64 s[12:13], v54, v55
	s_or_b64 s[16:17], s[12:13], s[16:17]
	s_andn2_b64 exec, exec, s[16:17]
	s_cbranch_execnz .LBB10_8
; %bb.9:                                ;   in Loop: Header=BB10_2 Depth=1
	s_or_b64 exec, exec, s[16:17]
.LBB10_10:                              ;   in Loop: Header=BB10_2 Depth=1
	s_or_b64 exec, exec, s[14:15]
	v_sub_u32_e32 v55, v17, v54
	v_lshl_add_u32 v56, v54, 2, v13
	v_lshlrev_b32_e32 v57, 2, v55
	ds_read_b32 v56, v56
	ds_read_b32 v57, v57
	v_cmp_ge_i32_e64 s[12:13], v54, v12
	v_cmp_gt_i32_e64 s[14:15], v11, v55
	s_waitcnt lgkmcnt(0)
	s_barrier
	v_cmp_lt_i32_e64 s[16:17], v57, v56
	s_or_b64 s[12:13], s[12:13], s[16:17]
	s_and_b64 s[12:13], s[14:15], s[12:13]
	v_cndmask_b32_e64 v54, v56, v57, s[12:13]
	ds_write_b32 v1, v54
	v_mov_b32_e32 v54, v23
	s_waitcnt lgkmcnt(0)
	s_barrier
	s_and_saveexec_b64 s[14:15], s[2:3]
	s_cbranch_execz .LBB10_14
; %bb.11:                               ;   in Loop: Header=BB10_2 Depth=1
	s_mov_b64 s[16:17], 0
	v_mov_b32_e32 v54, v23
	v_mov_b32_e32 v55, v24
.LBB10_12:                              ;   Parent Loop BB10_2 Depth=1
                                        ; =>  This Inner Loop Header: Depth=2
	v_sub_u32_e32 v56, v55, v54
	v_lshrrev_b32_e32 v57, 31, v56
	v_add_u32_e32 v56, v56, v57
	v_ashrrev_i32_e32 v56, 1, v56
	v_add_u32_e32 v56, v56, v54
	v_xad_u32 v58, v56, -1, v18
	v_lshl_add_u32 v57, v56, 2, v21
	v_lshl_add_u32 v58, v58, 2, v22
	ds_read_b32 v57, v57
	ds_read_b32 v58, v58
	v_add_u32_e32 v59, 1, v56
	s_waitcnt lgkmcnt(0)
	v_cmp_lt_i32_e64 s[12:13], v58, v57
	s_nop 1
	v_cndmask_b32_e64 v55, v55, v56, s[12:13]
	v_cndmask_b32_e64 v54, v59, v54, s[12:13]
	v_cmp_ge_i32_e64 s[12:13], v54, v55
	s_or_b64 s[16:17], s[12:13], s[16:17]
	s_andn2_b64 exec, exec, s[16:17]
	s_cbranch_execnz .LBB10_12
; %bb.13:                               ;   in Loop: Header=BB10_2 Depth=1
	s_or_b64 exec, exec, s[16:17]
.LBB10_14:                              ;   in Loop: Header=BB10_2 Depth=1
	s_or_b64 exec, exec, s[14:15]
	v_sub_u32_e32 v55, v25, v54
	v_lshl_add_u32 v56, v54, 2, v21
	v_lshlrev_b32_e32 v57, 2, v55
	ds_read_b32 v56, v56
	ds_read_b32 v57, v57
	v_cmp_ge_i32_e64 s[12:13], v54, v20
	v_cmp_gt_i32_e64 s[14:15], v19, v55
	s_waitcnt lgkmcnt(0)
	s_barrier
	v_cmp_lt_i32_e64 s[16:17], v57, v56
	s_or_b64 s[12:13], s[12:13], s[16:17]
	s_and_b64 s[12:13], s[14:15], s[12:13]
	v_cndmask_b32_e64 v54, v56, v57, s[12:13]
	ds_write_b32 v1, v54
	v_mov_b32_e32 v54, v31
	s_waitcnt lgkmcnt(0)
	s_barrier
	s_and_saveexec_b64 s[14:15], s[4:5]
	s_cbranch_execz .LBB10_18
; %bb.15:                               ;   in Loop: Header=BB10_2 Depth=1
	s_mov_b64 s[16:17], 0
	v_mov_b32_e32 v54, v31
	v_mov_b32_e32 v55, v32
.LBB10_16:                              ;   Parent Loop BB10_2 Depth=1
                                        ; =>  This Inner Loop Header: Depth=2
	v_sub_u32_e32 v56, v55, v54
	v_lshrrev_b32_e32 v57, 31, v56
	v_add_u32_e32 v56, v56, v57
	v_ashrrev_i32_e32 v56, 1, v56
	v_add_u32_e32 v56, v56, v54
	v_xad_u32 v58, v56, -1, v26
	v_lshl_add_u32 v57, v56, 2, v29
	v_lshl_add_u32 v58, v58, 2, v30
	ds_read_b32 v57, v57
	ds_read_b32 v58, v58
	v_add_u32_e32 v59, 1, v56
	s_waitcnt lgkmcnt(0)
	v_cmp_lt_i32_e64 s[12:13], v58, v57
	s_nop 1
	v_cndmask_b32_e64 v55, v55, v56, s[12:13]
	v_cndmask_b32_e64 v54, v59, v54, s[12:13]
	v_cmp_ge_i32_e64 s[12:13], v54, v55
	s_or_b64 s[16:17], s[12:13], s[16:17]
	s_andn2_b64 exec, exec, s[16:17]
	s_cbranch_execnz .LBB10_16
; %bb.17:                               ;   in Loop: Header=BB10_2 Depth=1
	s_or_b64 exec, exec, s[16:17]
.LBB10_18:                              ;   in Loop: Header=BB10_2 Depth=1
	;; [unrolled: 49-line block ×4, first 2 shown]
	s_or_b64 exec, exec, s[14:15]
	v_sub_u32_e32 v55, v49, v54
	v_lshl_add_u32 v56, v54, 2, v45
	v_lshlrev_b32_e32 v57, 2, v55
	ds_read_b32 v56, v56
	ds_read_b32 v57, v57
	v_cmp_ge_i32_e64 s[12:13], v54, v44
	v_cmp_gt_i32_e64 s[14:15], v43, v55
	s_waitcnt lgkmcnt(0)
	s_barrier
	v_cmp_lt_i32_e64 s[16:17], v57, v56
	s_or_b64 s[12:13], s[12:13], s[16:17]
	s_and_b64 s[12:13], s[14:15], s[12:13]
	v_cndmask_b32_e64 v54, v56, v57, s[12:13]
	ds_write_b32 v1, v54
	v_mov_b32_e32 v54, v51
	s_waitcnt lgkmcnt(0)
	s_barrier
	s_and_saveexec_b64 s[14:15], s[10:11]
	s_cbranch_execz .LBB10_1
; %bb.27:                               ;   in Loop: Header=BB10_2 Depth=1
	s_mov_b64 s[16:17], 0
	v_mov_b32_e32 v54, v51
	v_mov_b32_e32 v55, v52
.LBB10_28:                              ;   Parent Loop BB10_2 Depth=1
                                        ; =>  This Inner Loop Header: Depth=2
	v_sub_u32_e32 v56, v55, v54
	v_lshrrev_b32_e32 v57, 31, v56
	v_add_u32_e32 v56, v56, v57
	v_ashrrev_i32_e32 v56, 1, v56
	v_add_u32_e32 v56, v56, v54
	v_xad_u32 v58, v56, -1, v0
	v_lshlrev_b32_e32 v57, 2, v56
	v_lshl_add_u32 v58, v58, 2, v50
	ds_read_b32 v57, v57
	ds_read_b32 v58, v58
	v_add_u32_e32 v59, 1, v56
	s_waitcnt lgkmcnt(0)
	v_cmp_lt_i32_e64 s[12:13], v58, v57
	s_nop 1
	v_cndmask_b32_e64 v55, v55, v56, s[12:13]
	v_cndmask_b32_e64 v54, v59, v54, s[12:13]
	v_cmp_ge_i32_e64 s[12:13], v54, v55
	s_or_b64 s[16:17], s[12:13], s[16:17]
	s_andn2_b64 exec, exec, s[16:17]
	s_cbranch_execnz .LBB10_28
; %bb.29:                               ;   in Loop: Header=BB10_2 Depth=1
	s_or_b64 exec, exec, s[16:17]
	s_branch .LBB10_1
.LBB10_30:
	s_add_u32 s0, s18, s22
	s_addc_u32 s1, s19, s23
	v_lshlrev_b32_e32 v0, 2, v0
	global_store_dword v0, v54, s[0:1]
	s_endpgm
	.section	.rodata,"a",@progbits
	.p2align	6, 0x0
	.amdhsa_kernel _Z16sort_keys_kernelIiLj128ELj1EN10test_utils4lessELj10EEvPKT_PS2_T2_
		.amdhsa_group_segment_fixed_size 516
		.amdhsa_private_segment_fixed_size 0
		.amdhsa_kernarg_size 20
		.amdhsa_user_sgpr_count 2
		.amdhsa_user_sgpr_dispatch_ptr 0
		.amdhsa_user_sgpr_queue_ptr 0
		.amdhsa_user_sgpr_kernarg_segment_ptr 1
		.amdhsa_user_sgpr_dispatch_id 0
		.amdhsa_user_sgpr_kernarg_preload_length 0
		.amdhsa_user_sgpr_kernarg_preload_offset 0
		.amdhsa_user_sgpr_private_segment_size 0
		.amdhsa_uses_dynamic_stack 0
		.amdhsa_enable_private_segment 0
		.amdhsa_system_sgpr_workgroup_id_x 1
		.amdhsa_system_sgpr_workgroup_id_y 0
		.amdhsa_system_sgpr_workgroup_id_z 0
		.amdhsa_system_sgpr_workgroup_info 0
		.amdhsa_system_vgpr_workitem_id 0
		.amdhsa_next_free_vgpr 60
		.amdhsa_next_free_sgpr 24
		.amdhsa_accum_offset 60
		.amdhsa_reserve_vcc 1
		.amdhsa_float_round_mode_32 0
		.amdhsa_float_round_mode_16_64 0
		.amdhsa_float_denorm_mode_32 3
		.amdhsa_float_denorm_mode_16_64 3
		.amdhsa_dx10_clamp 1
		.amdhsa_ieee_mode 1
		.amdhsa_fp16_overflow 0
		.amdhsa_tg_split 0
		.amdhsa_exception_fp_ieee_invalid_op 0
		.amdhsa_exception_fp_denorm_src 0
		.amdhsa_exception_fp_ieee_div_zero 0
		.amdhsa_exception_fp_ieee_overflow 0
		.amdhsa_exception_fp_ieee_underflow 0
		.amdhsa_exception_fp_ieee_inexact 0
		.amdhsa_exception_int_div_zero 0
	.end_amdhsa_kernel
	.section	.text._Z16sort_keys_kernelIiLj128ELj1EN10test_utils4lessELj10EEvPKT_PS2_T2_,"axG",@progbits,_Z16sort_keys_kernelIiLj128ELj1EN10test_utils4lessELj10EEvPKT_PS2_T2_,comdat
.Lfunc_end10:
	.size	_Z16sort_keys_kernelIiLj128ELj1EN10test_utils4lessELj10EEvPKT_PS2_T2_, .Lfunc_end10-_Z16sort_keys_kernelIiLj128ELj1EN10test_utils4lessELj10EEvPKT_PS2_T2_
                                        ; -- End function
	.section	.AMDGPU.csdata,"",@progbits
; Kernel info:
; codeLenInByte = 2236
; NumSgprs: 30
; NumVgprs: 60
; NumAgprs: 0
; TotalNumVgprs: 60
; ScratchSize: 0
; MemoryBound: 0
; FloatMode: 240
; IeeeMode: 1
; LDSByteSize: 516 bytes/workgroup (compile time only)
; SGPRBlocks: 3
; VGPRBlocks: 7
; NumSGPRsForWavesPerEU: 30
; NumVGPRsForWavesPerEU: 60
; AccumOffset: 60
; Occupancy: 8
; WaveLimiterHint : 0
; COMPUTE_PGM_RSRC2:SCRATCH_EN: 0
; COMPUTE_PGM_RSRC2:USER_SGPR: 2
; COMPUTE_PGM_RSRC2:TRAP_HANDLER: 0
; COMPUTE_PGM_RSRC2:TGID_X_EN: 1
; COMPUTE_PGM_RSRC2:TGID_Y_EN: 0
; COMPUTE_PGM_RSRC2:TGID_Z_EN: 0
; COMPUTE_PGM_RSRC2:TIDIG_COMP_CNT: 0
; COMPUTE_PGM_RSRC3_GFX90A:ACCUM_OFFSET: 14
; COMPUTE_PGM_RSRC3_GFX90A:TG_SPLIT: 0
	.section	.text._Z17sort_pairs_kernelIiLj128ELj1EN10test_utils4lessELj10EEvPKT_PS2_T2_,"axG",@progbits,_Z17sort_pairs_kernelIiLj128ELj1EN10test_utils4lessELj10EEvPKT_PS2_T2_,comdat
	.protected	_Z17sort_pairs_kernelIiLj128ELj1EN10test_utils4lessELj10EEvPKT_PS2_T2_ ; -- Begin function _Z17sort_pairs_kernelIiLj128ELj1EN10test_utils4lessELj10EEvPKT_PS2_T2_
	.globl	_Z17sort_pairs_kernelIiLj128ELj1EN10test_utils4lessELj10EEvPKT_PS2_T2_
	.p2align	8
	.type	_Z17sort_pairs_kernelIiLj128ELj1EN10test_utils4lessELj10EEvPKT_PS2_T2_,@function
_Z17sort_pairs_kernelIiLj128ELj1EN10test_utils4lessELj10EEvPKT_PS2_T2_: ; @_Z17sort_pairs_kernelIiLj128ELj1EN10test_utils4lessELj10EEvPKT_PS2_T2_
; %bb.0:
	s_load_dwordx4 s[16:19], s[0:1], 0x0
	s_lshl_b32 s20, s2, 7
	s_mov_b32 s21, 0
	s_lshl_b64 s[22:23], s[20:21], 2
	v_lshlrev_b32_e32 v1, 2, v0
	s_waitcnt lgkmcnt(0)
	s_add_u32 s0, s16, s22
	s_addc_u32 s1, s17, s23
	global_load_dword v59, v1, s[0:1]
	v_and_b32_e32 v4, 0x7c, v0
	v_and_b32_e32 v6, 0x78, v0
	v_or_b32_e32 v16, 2, v4
	v_add_u32_e32 v17, 4, v4
	v_and_b32_e32 v5, 3, v0
	v_and_b32_e32 v8, 0x70, v0
	v_or_b32_e32 v19, 4, v6
	v_add_u32_e32 v20, 8, v6
	v_sub_u32_e32 v48, v17, v16
	v_and_b32_e32 v7, 7, v0
	v_and_b32_e32 v10, 0x60, v0
	v_and_b32_e32 v12, 64, v0
	v_or_b32_e32 v22, 8, v8
	v_add_u32_e32 v23, 16, v8
	v_sub_u32_e32 v49, v20, v19
	v_sub_u32_e32 v54, v5, v48
	v_cmp_ge_i32_e64 s[0:1], v5, v48
	v_and_b32_e32 v2, 0x7e, v0
	v_and_b32_e32 v9, 15, v0
	v_or_b32_e32 v25, 16, v10
	v_add_u32_e32 v26, 32, v10
	v_or_b32_e32 v28, 32, v12
	v_add_u32_e32 v29, 64, v12
	v_sub_u32_e32 v50, v23, v22
	v_sub_u32_e32 v55, v7, v49
	v_cndmask_b32_e64 v48, 0, v54, s[0:1]
	v_cmp_ge_i32_e64 s[0:1], v7, v49
	v_and_b32_e32 v3, 1, v0
	v_and_b32_e32 v11, 31, v0
	v_and_b32_e32 v13, 63, v0
	v_or_b32_e32 v14, 1, v2
	v_sub_u32_e32 v51, v26, v25
	v_sub_u32_e32 v52, v29, v28
	;; [unrolled: 1-line block ×3, first 2 shown]
	v_cndmask_b32_e64 v49, 0, v55, s[0:1]
	v_cmp_ge_i32_e64 s[0:1], v9, v50
	v_add_u32_e32 v32, -1, v3
	v_sub_u32_e32 v43, v14, v2
	v_cmp_lt_i32_e32 vcc, 0, v3
	v_sub_u32_e32 v44, v16, v4
	v_sub_u32_e32 v45, v19, v6
	;; [unrolled: 1-line block ×7, first 2 shown]
	v_cndmask_b32_e64 v50, 0, v56, s[0:1]
	v_cmp_ge_i32_e64 s[0:1], v11, v51
	v_cmp_ge_i32_e64 s[8:9], v13, v52
	v_cndmask_b32_e32 v32, 0, v32, vcc
	v_min_i32_e32 v43, v3, v43
	v_min_i32_e32 v44, v5, v44
	;; [unrolled: 1-line block ×5, first 2 shown]
	v_cndmask_b32_e64 v51, 0, v57, s[0:1]
	v_cndmask_b32_e64 v52, 0, v58, s[8:9]
	v_min_i32_e32 v53, v13, v53
	v_sub_u32_e64 v55, v0, 64 clamp
	v_min_i32_e32 v56, 64, v0
	v_lshlrev_b32_e32 v15, 2, v2
	v_lshlrev_b32_e32 v18, 2, v4
	;; [unrolled: 1-line block ×7, first 2 shown]
	v_add_u32_e32 v33, v14, v3
	v_lshlrev_b32_e32 v34, 2, v16
	v_add_u32_e32 v35, v16, v5
	v_lshlrev_b32_e32 v36, 2, v19
	;; [unrolled: 2-line block ×5, first 2 shown]
	v_cmp_lt_i32_e32 vcc, v32, v43
	v_cmp_lt_i32_e64 s[0:1], v48, v44
	v_cmp_lt_i32_e64 s[2:3], v49, v45
	v_cmp_lt_i32_e64 s[4:5], v50, v46
	v_cmp_lt_i32_e64 s[6:7], v51, v47
	s_waitcnt vmcnt(0)
	v_add_u32_e32 v60, 1, v59
	v_cmp_lt_i32_e64 s[8:9], v52, v53
	v_add_u32_e32 v54, v28, v13
	v_cmp_lt_i32_e64 s[10:11], v55, v56
	s_movk_i32 s20, 0x80
	v_mov_b32_e32 v57, 0x100
	v_add_u32_e32 v58, 64, v0
	s_branch .LBB11_2
.LBB11_1:                               ;   in Loop: Header=BB11_2 Depth=1
	s_or_b64 exec, exec, s[14:15]
	v_sub_u32_e32 v62, v58, v61
	v_lshlrev_b32_e32 v59, 2, v61
	v_lshlrev_b32_e32 v63, 2, v62
	ds_read_b32 v59, v59
	ds_read_b32 v63, v63
	v_cmp_le_i32_e64 s[12:13], 64, v61
	v_cmp_gt_i32_e64 s[14:15], s20, v62
	s_waitcnt lgkmcnt(0)
	s_barrier
	v_cmp_lt_i32_e64 s[16:17], v63, v59
	s_or_b64 s[12:13], s[12:13], s[16:17]
	s_and_b64 s[12:13], s[14:15], s[12:13]
	v_cndmask_b32_e64 v61, v61, v62, s[12:13]
	ds_write_b32 v1, v60
	v_lshlrev_b32_e32 v60, 2, v61
	s_waitcnt lgkmcnt(0)
	s_barrier
	ds_read_b32 v60, v60
	s_add_i32 s21, s21, 1
	v_cndmask_b32_e64 v59, v59, v63, s[12:13]
	s_cmp_lg_u32 s21, 10
	s_cbranch_scc0 .LBB11_30
.LBB11_2:                               ; =>This Loop Header: Depth=1
                                        ;     Child Loop BB11_4 Depth 2
                                        ;     Child Loop BB11_8 Depth 2
	;; [unrolled: 1-line block ×7, first 2 shown]
	s_barrier
	ds_write_b32 v1, v59
	v_mov_b32_e32 v59, v32
	s_waitcnt lgkmcnt(0)
	s_barrier
	s_and_saveexec_b64 s[14:15], vcc
	s_cbranch_execz .LBB11_6
; %bb.3:                                ;   in Loop: Header=BB11_2 Depth=1
	s_mov_b64 s[16:17], 0
	v_mov_b32_e32 v59, v32
	v_mov_b32_e32 v61, v43
.LBB11_4:                               ;   Parent Loop BB11_2 Depth=1
                                        ; =>  This Inner Loop Header: Depth=2
	v_sub_u32_e32 v62, v61, v59
	v_lshrrev_b32_e32 v63, 31, v62
	v_add_u32_e32 v62, v62, v63
	v_ashrrev_i32_e32 v62, 1, v62
	v_add_u32_e32 v62, v62, v59
	v_xad_u32 v64, v62, -1, v3
	v_lshl_add_u32 v63, v62, 2, v15
	v_lshl_add_u32 v64, v64, 2, v31
	ds_read_b32 v63, v63
	ds_read_b32 v64, v64
	v_add_u32_e32 v65, 1, v62
	s_waitcnt lgkmcnt(0)
	v_cmp_lt_i32_e64 s[12:13], v64, v63
	s_nop 1
	v_cndmask_b32_e64 v61, v61, v62, s[12:13]
	v_cndmask_b32_e64 v59, v65, v59, s[12:13]
	v_cmp_ge_i32_e64 s[12:13], v59, v61
	s_or_b64 s[16:17], s[12:13], s[16:17]
	s_andn2_b64 exec, exec, s[16:17]
	s_cbranch_execnz .LBB11_4
; %bb.5:                                ;   in Loop: Header=BB11_2 Depth=1
	s_or_b64 exec, exec, s[16:17]
.LBB11_6:                               ;   in Loop: Header=BB11_2 Depth=1
	s_or_b64 exec, exec, s[14:15]
	v_sub_u32_e32 v61, v33, v59
	v_lshl_add_u32 v62, v59, 2, v15
	v_lshlrev_b32_e32 v63, 2, v61
	ds_read_b32 v62, v62
	ds_read_b32 v63, v63
	v_add_u32_e32 v59, v59, v2
	v_cmp_le_i32_e64 s[14:15], v14, v59
	v_cmp_ge_i32_e64 s[12:13], v14, v61
	s_waitcnt lgkmcnt(0)
	v_cmp_lt_i32_e64 s[16:17], v63, v62
	s_or_b64 s[14:15], s[14:15], s[16:17]
	s_and_b64 s[12:13], s[12:13], s[14:15]
	v_cndmask_b32_e64 v59, v59, v61, s[12:13]
	v_lshlrev_b32_e32 v59, 2, v59
	s_barrier
	ds_write_b32 v1, v60
	s_waitcnt lgkmcnt(0)
	s_barrier
	ds_read_b32 v59, v59
	v_cndmask_b32_e64 v62, v62, v63, s[12:13]
	v_mov_b32_e32 v60, v48
	s_waitcnt lgkmcnt(0)
	s_barrier
	ds_write_b32 v1, v62
	s_waitcnt lgkmcnt(0)
	s_barrier
	s_and_saveexec_b64 s[14:15], s[0:1]
	s_cbranch_execz .LBB11_10
; %bb.7:                                ;   in Loop: Header=BB11_2 Depth=1
	s_mov_b64 s[16:17], 0
	v_mov_b32_e32 v60, v48
	v_mov_b32_e32 v61, v44
.LBB11_8:                               ;   Parent Loop BB11_2 Depth=1
                                        ; =>  This Inner Loop Header: Depth=2
	v_sub_u32_e32 v62, v61, v60
	v_lshrrev_b32_e32 v63, 31, v62
	v_add_u32_e32 v62, v62, v63
	v_ashrrev_i32_e32 v62, 1, v62
	v_add_u32_e32 v62, v62, v60
	v_xad_u32 v64, v62, -1, v5
	v_lshl_add_u32 v63, v62, 2, v18
	v_lshl_add_u32 v64, v64, 2, v34
	ds_read_b32 v63, v63
	ds_read_b32 v64, v64
	v_add_u32_e32 v65, 1, v62
	s_waitcnt lgkmcnt(0)
	v_cmp_lt_i32_e64 s[12:13], v64, v63
	s_nop 1
	v_cndmask_b32_e64 v61, v61, v62, s[12:13]
	v_cndmask_b32_e64 v60, v65, v60, s[12:13]
	v_cmp_ge_i32_e64 s[12:13], v60, v61
	s_or_b64 s[16:17], s[12:13], s[16:17]
	s_andn2_b64 exec, exec, s[16:17]
	s_cbranch_execnz .LBB11_8
; %bb.9:                                ;   in Loop: Header=BB11_2 Depth=1
	s_or_b64 exec, exec, s[16:17]
.LBB11_10:                              ;   in Loop: Header=BB11_2 Depth=1
	s_or_b64 exec, exec, s[14:15]
	v_sub_u32_e32 v61, v35, v60
	v_lshl_add_u32 v62, v60, 2, v18
	v_lshlrev_b32_e32 v63, 2, v61
	ds_read_b32 v62, v62
	ds_read_b32 v63, v63
	v_add_u32_e32 v60, v60, v4
	v_cmp_le_i32_e64 s[14:15], v16, v60
	v_cmp_gt_i32_e64 s[12:13], v17, v61
	s_waitcnt lgkmcnt(0)
	v_cmp_lt_i32_e64 s[16:17], v63, v62
	s_or_b64 s[14:15], s[14:15], s[16:17]
	s_and_b64 s[12:13], s[12:13], s[14:15]
	v_cndmask_b32_e64 v60, v60, v61, s[12:13]
	s_barrier
	ds_write_b32 v1, v59
	v_lshlrev_b32_e32 v59, 2, v60
	s_waitcnt lgkmcnt(0)
	s_barrier
	ds_read_b32 v59, v59
	v_cndmask_b32_e64 v62, v62, v63, s[12:13]
	v_mov_b32_e32 v60, v49
	s_waitcnt lgkmcnt(0)
	s_barrier
	ds_write_b32 v1, v62
	s_waitcnt lgkmcnt(0)
	s_barrier
	s_and_saveexec_b64 s[14:15], s[2:3]
	s_cbranch_execz .LBB11_14
; %bb.11:                               ;   in Loop: Header=BB11_2 Depth=1
	s_mov_b64 s[16:17], 0
	v_mov_b32_e32 v60, v49
	v_mov_b32_e32 v61, v45
.LBB11_12:                              ;   Parent Loop BB11_2 Depth=1
                                        ; =>  This Inner Loop Header: Depth=2
	v_sub_u32_e32 v62, v61, v60
	v_lshrrev_b32_e32 v63, 31, v62
	v_add_u32_e32 v62, v62, v63
	v_ashrrev_i32_e32 v62, 1, v62
	v_add_u32_e32 v62, v62, v60
	v_xad_u32 v64, v62, -1, v7
	v_lshl_add_u32 v63, v62, 2, v21
	v_lshl_add_u32 v64, v64, 2, v36
	ds_read_b32 v63, v63
	ds_read_b32 v64, v64
	v_add_u32_e32 v65, 1, v62
	s_waitcnt lgkmcnt(0)
	v_cmp_lt_i32_e64 s[12:13], v64, v63
	s_nop 1
	v_cndmask_b32_e64 v61, v61, v62, s[12:13]
	v_cndmask_b32_e64 v60, v65, v60, s[12:13]
	v_cmp_ge_i32_e64 s[12:13], v60, v61
	s_or_b64 s[16:17], s[12:13], s[16:17]
	s_andn2_b64 exec, exec, s[16:17]
	s_cbranch_execnz .LBB11_12
; %bb.13:                               ;   in Loop: Header=BB11_2 Depth=1
	s_or_b64 exec, exec, s[16:17]
.LBB11_14:                              ;   in Loop: Header=BB11_2 Depth=1
	s_or_b64 exec, exec, s[14:15]
	v_sub_u32_e32 v61, v37, v60
	v_lshl_add_u32 v62, v60, 2, v21
	v_lshlrev_b32_e32 v63, 2, v61
	ds_read_b32 v62, v62
	ds_read_b32 v63, v63
	v_add_u32_e32 v60, v60, v6
	v_cmp_le_i32_e64 s[14:15], v19, v60
	v_cmp_gt_i32_e64 s[12:13], v20, v61
	s_waitcnt lgkmcnt(0)
	v_cmp_lt_i32_e64 s[16:17], v63, v62
	s_or_b64 s[14:15], s[14:15], s[16:17]
	s_and_b64 s[12:13], s[12:13], s[14:15]
	v_cndmask_b32_e64 v60, v60, v61, s[12:13]
	s_barrier
	ds_write_b32 v1, v59
	v_lshlrev_b32_e32 v59, 2, v60
	s_waitcnt lgkmcnt(0)
	s_barrier
	ds_read_b32 v59, v59
	v_cndmask_b32_e64 v62, v62, v63, s[12:13]
	v_mov_b32_e32 v60, v50
	s_waitcnt lgkmcnt(0)
	s_barrier
	ds_write_b32 v1, v62
	s_waitcnt lgkmcnt(0)
	s_barrier
	s_and_saveexec_b64 s[14:15], s[4:5]
	s_cbranch_execz .LBB11_18
; %bb.15:                               ;   in Loop: Header=BB11_2 Depth=1
	s_mov_b64 s[16:17], 0
	v_mov_b32_e32 v60, v50
	v_mov_b32_e32 v61, v46
.LBB11_16:                              ;   Parent Loop BB11_2 Depth=1
                                        ; =>  This Inner Loop Header: Depth=2
	v_sub_u32_e32 v62, v61, v60
	v_lshrrev_b32_e32 v63, 31, v62
	v_add_u32_e32 v62, v62, v63
	v_ashrrev_i32_e32 v62, 1, v62
	v_add_u32_e32 v62, v62, v60
	v_xad_u32 v64, v62, -1, v9
	v_lshl_add_u32 v63, v62, 2, v24
	v_lshl_add_u32 v64, v64, 2, v38
	ds_read_b32 v63, v63
	ds_read_b32 v64, v64
	v_add_u32_e32 v65, 1, v62
	s_waitcnt lgkmcnt(0)
	v_cmp_lt_i32_e64 s[12:13], v64, v63
	s_nop 1
	v_cndmask_b32_e64 v61, v61, v62, s[12:13]
	v_cndmask_b32_e64 v60, v65, v60, s[12:13]
	v_cmp_ge_i32_e64 s[12:13], v60, v61
	s_or_b64 s[16:17], s[12:13], s[16:17]
	s_andn2_b64 exec, exec, s[16:17]
	s_cbranch_execnz .LBB11_16
; %bb.17:                               ;   in Loop: Header=BB11_2 Depth=1
	s_or_b64 exec, exec, s[16:17]
.LBB11_18:                              ;   in Loop: Header=BB11_2 Depth=1
	;; [unrolled: 58-line block ×4, first 2 shown]
	s_or_b64 exec, exec, s[14:15]
	v_sub_u32_e32 v61, v54, v60
	v_lshl_add_u32 v62, v60, 2, v30
	v_lshlrev_b32_e32 v63, 2, v61
	ds_read_b32 v62, v62
	ds_read_b32 v63, v63
	v_add_u32_e32 v60, v60, v12
	v_cmp_le_i32_e64 s[14:15], v28, v60
	v_cmp_gt_i32_e64 s[12:13], v29, v61
	s_waitcnt lgkmcnt(0)
	v_cmp_lt_i32_e64 s[16:17], v63, v62
	s_or_b64 s[14:15], s[14:15], s[16:17]
	s_and_b64 s[12:13], s[12:13], s[14:15]
	v_cndmask_b32_e64 v60, v60, v61, s[12:13]
	s_barrier
	ds_write_b32 v1, v59
	v_lshlrev_b32_e32 v59, 2, v60
	s_waitcnt lgkmcnt(0)
	s_barrier
	ds_read_b32 v60, v59
	v_cndmask_b32_e64 v62, v62, v63, s[12:13]
	v_mov_b32_e32 v61, v55
	s_waitcnt lgkmcnt(0)
	s_barrier
	ds_write_b32 v1, v62
	s_waitcnt lgkmcnt(0)
	s_barrier
	s_and_saveexec_b64 s[14:15], s[10:11]
	s_cbranch_execz .LBB11_1
; %bb.27:                               ;   in Loop: Header=BB11_2 Depth=1
	s_mov_b64 s[16:17], 0
	v_mov_b32_e32 v61, v55
	v_mov_b32_e32 v59, v56
.LBB11_28:                              ;   Parent Loop BB11_2 Depth=1
                                        ; =>  This Inner Loop Header: Depth=2
	v_sub_u32_e32 v62, v59, v61
	v_lshrrev_b32_e32 v63, 31, v62
	v_add_u32_e32 v62, v62, v63
	v_ashrrev_i32_e32 v62, 1, v62
	v_add_u32_e32 v62, v62, v61
	v_xad_u32 v64, v62, -1, v0
	v_lshlrev_b32_e32 v63, 2, v62
	v_lshl_add_u32 v64, v64, 2, v57
	ds_read_b32 v63, v63
	ds_read_b32 v64, v64
	v_add_u32_e32 v65, 1, v62
	s_waitcnt lgkmcnt(0)
	v_cmp_lt_i32_e64 s[12:13], v64, v63
	s_nop 1
	v_cndmask_b32_e64 v59, v59, v62, s[12:13]
	v_cndmask_b32_e64 v61, v65, v61, s[12:13]
	v_cmp_ge_i32_e64 s[12:13], v61, v59
	s_or_b64 s[16:17], s[12:13], s[16:17]
	s_andn2_b64 exec, exec, s[16:17]
	s_cbranch_execnz .LBB11_28
; %bb.29:                               ;   in Loop: Header=BB11_2 Depth=1
	s_or_b64 exec, exec, s[16:17]
	s_branch .LBB11_1
.LBB11_30:
	s_add_u32 s0, s18, s22
	s_waitcnt lgkmcnt(0)
	v_add_u32_e32 v1, v59, v60
	s_addc_u32 s1, s19, s23
	v_lshlrev_b32_e32 v0, 2, v0
	global_store_dword v0, v1, s[0:1]
	s_endpgm
	.section	.rodata,"a",@progbits
	.p2align	6, 0x0
	.amdhsa_kernel _Z17sort_pairs_kernelIiLj128ELj1EN10test_utils4lessELj10EEvPKT_PS2_T2_
		.amdhsa_group_segment_fixed_size 516
		.amdhsa_private_segment_fixed_size 0
		.amdhsa_kernarg_size 20
		.amdhsa_user_sgpr_count 2
		.amdhsa_user_sgpr_dispatch_ptr 0
		.amdhsa_user_sgpr_queue_ptr 0
		.amdhsa_user_sgpr_kernarg_segment_ptr 1
		.amdhsa_user_sgpr_dispatch_id 0
		.amdhsa_user_sgpr_kernarg_preload_length 0
		.amdhsa_user_sgpr_kernarg_preload_offset 0
		.amdhsa_user_sgpr_private_segment_size 0
		.amdhsa_uses_dynamic_stack 0
		.amdhsa_enable_private_segment 0
		.amdhsa_system_sgpr_workgroup_id_x 1
		.amdhsa_system_sgpr_workgroup_id_y 0
		.amdhsa_system_sgpr_workgroup_id_z 0
		.amdhsa_system_sgpr_workgroup_info 0
		.amdhsa_system_vgpr_workitem_id 0
		.amdhsa_next_free_vgpr 66
		.amdhsa_next_free_sgpr 24
		.amdhsa_accum_offset 68
		.amdhsa_reserve_vcc 1
		.amdhsa_float_round_mode_32 0
		.amdhsa_float_round_mode_16_64 0
		.amdhsa_float_denorm_mode_32 3
		.amdhsa_float_denorm_mode_16_64 3
		.amdhsa_dx10_clamp 1
		.amdhsa_ieee_mode 1
		.amdhsa_fp16_overflow 0
		.amdhsa_tg_split 0
		.amdhsa_exception_fp_ieee_invalid_op 0
		.amdhsa_exception_fp_denorm_src 0
		.amdhsa_exception_fp_ieee_div_zero 0
		.amdhsa_exception_fp_ieee_overflow 0
		.amdhsa_exception_fp_ieee_underflow 0
		.amdhsa_exception_fp_ieee_inexact 0
		.amdhsa_exception_int_div_zero 0
	.end_amdhsa_kernel
	.section	.text._Z17sort_pairs_kernelIiLj128ELj1EN10test_utils4lessELj10EEvPKT_PS2_T2_,"axG",@progbits,_Z17sort_pairs_kernelIiLj128ELj1EN10test_utils4lessELj10EEvPKT_PS2_T2_,comdat
.Lfunc_end11:
	.size	_Z17sort_pairs_kernelIiLj128ELj1EN10test_utils4lessELj10EEvPKT_PS2_T2_, .Lfunc_end11-_Z17sort_pairs_kernelIiLj128ELj1EN10test_utils4lessELj10EEvPKT_PS2_T2_
                                        ; -- End function
	.section	.AMDGPU.csdata,"",@progbits
; Kernel info:
; codeLenInByte = 2576
; NumSgprs: 30
; NumVgprs: 66
; NumAgprs: 0
; TotalNumVgprs: 66
; ScratchSize: 0
; MemoryBound: 0
; FloatMode: 240
; IeeeMode: 1
; LDSByteSize: 516 bytes/workgroup (compile time only)
; SGPRBlocks: 3
; VGPRBlocks: 8
; NumSGPRsForWavesPerEU: 30
; NumVGPRsForWavesPerEU: 66
; AccumOffset: 68
; Occupancy: 7
; WaveLimiterHint : 0
; COMPUTE_PGM_RSRC2:SCRATCH_EN: 0
; COMPUTE_PGM_RSRC2:USER_SGPR: 2
; COMPUTE_PGM_RSRC2:TRAP_HANDLER: 0
; COMPUTE_PGM_RSRC2:TGID_X_EN: 1
; COMPUTE_PGM_RSRC2:TGID_Y_EN: 0
; COMPUTE_PGM_RSRC2:TGID_Z_EN: 0
; COMPUTE_PGM_RSRC2:TIDIG_COMP_CNT: 0
; COMPUTE_PGM_RSRC3_GFX90A:ACCUM_OFFSET: 16
; COMPUTE_PGM_RSRC3_GFX90A:TG_SPLIT: 0
	.section	.text._Z16sort_keys_kernelIiLj128ELj2EN10test_utils4lessELj10EEvPKT_PS2_T2_,"axG",@progbits,_Z16sort_keys_kernelIiLj128ELj2EN10test_utils4lessELj10EEvPKT_PS2_T2_,comdat
	.protected	_Z16sort_keys_kernelIiLj128ELj2EN10test_utils4lessELj10EEvPKT_PS2_T2_ ; -- Begin function _Z16sort_keys_kernelIiLj128ELj2EN10test_utils4lessELj10EEvPKT_PS2_T2_
	.globl	_Z16sort_keys_kernelIiLj128ELj2EN10test_utils4lessELj10EEvPKT_PS2_T2_
	.p2align	8
	.type	_Z16sort_keys_kernelIiLj128ELj2EN10test_utils4lessELj10EEvPKT_PS2_T2_,@function
_Z16sort_keys_kernelIiLj128ELj2EN10test_utils4lessELj10EEvPKT_PS2_T2_: ; @_Z16sort_keys_kernelIiLj128ELj2EN10test_utils4lessELj10EEvPKT_PS2_T2_
; %bb.0:
	s_load_dwordx4 s[16:19], s[0:1], 0x0
	s_lshl_b32 s20, s2, 8
	s_mov_b32 s21, 0
	s_lshl_b64 s[22:23], s[20:21], 2
	v_lshlrev_b32_e32 v1, 2, v0
	s_waitcnt lgkmcnt(0)
	s_add_u32 s0, s16, s22
	s_addc_u32 s1, s17, s23
	global_load_dword v62, v1, s[0:1]
	global_load_dword v63, v1, s[0:1] offset:512
	v_lshlrev_b32_e32 v1, 1, v0
	v_and_b32_e32 v3, 0xfc, v1
	v_and_b32_e32 v12, 0xf8, v1
	;; [unrolled: 1-line block ×6, first 2 shown]
	v_or_b32_e32 v5, 2, v3
	v_add_u32_e32 v6, 4, v3
	v_or_b32_e32 v14, 4, v12
	v_add_u32_e32 v15, 8, v12
	;; [unrolled: 2-line block ×6, first 2 shown]
	v_and_b32_e32 v4, 2, v1
	v_sub_u32_e32 v9, v6, v5
	v_and_b32_e32 v13, 6, v1
	v_sub_u32_e32 v18, v15, v14
	;; [unrolled: 2-line block ×6, first 2 shown]
	v_sub_u32_e32 v10, v5, v3
	v_sub_u32_e32 v11, v4, v9
	v_cmp_ge_i32_e32 vcc, v4, v9
	v_sub_u32_e32 v19, v14, v12
	v_sub_u32_e32 v20, v13, v18
	v_cmp_ge_i32_e64 s[0:1], v13, v18
	v_sub_u32_e32 v28, v23, v21
	v_sub_u32_e32 v29, v22, v27
	v_cmp_ge_i32_e64 s[2:3], v22, v27
	;; [unrolled: 3-line block ×4, first 2 shown]
	v_mov_b32_e32 v48, 0x80
	v_sub_u32_e32 v54, v51, v49
	v_sub_u32_e32 v55, v50, v53
	v_cmp_ge_i32_e64 s[8:9], v50, v53
	v_cndmask_b32_e32 v9, 0, v11, vcc
	v_min_i32_e32 v10, v4, v10
	v_cndmask_b32_e64 v18, 0, v20, s[0:1]
	v_min_i32_e32 v19, v13, v19
	v_cndmask_b32_e64 v27, 0, v29, s[2:3]
	;; [unrolled: 2-line block ×5, first 2 shown]
	v_min_i32_e32 v54, v50, v54
	v_sub_u32_e64 v55, v1, v48 clamp
	v_min_i32_e32 v56, 0x80, v1
	v_lshlrev_b32_e32 v2, 3, v0
	v_lshlrev_b32_e32 v7, 2, v3
	v_lshlrev_b32_e32 v8, 2, v5
	v_cmp_lt_i32_e32 vcc, v9, v10
	v_add_u32_e32 v11, v5, v4
	v_lshlrev_b32_e32 v16, 2, v12
	v_lshlrev_b32_e32 v17, 2, v14
	v_cmp_lt_i32_e64 s[0:1], v18, v19
	v_add_u32_e32 v20, v14, v13
	v_lshlrev_b32_e32 v25, 2, v21
	v_lshlrev_b32_e32 v26, 2, v23
	v_cmp_lt_i32_e64 s[2:3], v27, v28
	;; [unrolled: 4-line block ×4, first 2 shown]
	v_add_u32_e32 v47, v41, v40
	v_cmp_lt_i32_e64 s[8:9], v53, v54
	v_cmp_lt_i32_e64 s[10:11], v55, v56
	s_movk_i32 s20, 0x100
	v_lshlrev_b32_e32 v57, 2, v49
	v_lshlrev_b32_e32 v58, 2, v51
	v_add_u32_e32 v59, v51, v50
	v_mov_b32_e32 v60, 0x200
	v_add_u32_e32 v61, 0x80, v1
	s_branch .LBB12_2
.LBB12_1:                               ;   in Loop: Header=BB12_2 Depth=1
	s_or_b64 exec, exec, s[14:15]
	v_cmp_ge_i32_e64 s[14:15], v63, v48
	s_waitcnt lgkmcnt(0)
	v_cmp_lt_i32_e64 s[16:17], v66, v67
	v_cndmask_b32_e64 v62, v62, v65, s[12:13]
	v_cmp_gt_i32_e64 s[12:13], s20, v64
	s_or_b64 s[14:15], s[14:15], s[16:17]
	s_add_i32 s21, s21, 1
	s_and_b64 s[12:13], s[12:13], s[14:15]
	s_cmp_eq_u32 s21, 10
	v_cndmask_b32_e64 v63, v67, v66, s[12:13]
	s_cbranch_scc1 .LBB12_58
.LBB12_2:                               ; =>This Loop Header: Depth=1
                                        ;     Child Loop BB12_4 Depth 2
                                        ;     Child Loop BB12_12 Depth 2
	;; [unrolled: 1-line block ×7, first 2 shown]
	s_waitcnt vmcnt(0)
	v_cmp_lt_i32_e64 s[12:13], v63, v62
	s_barrier
	s_nop 0
	v_cndmask_b32_e64 v64, v63, v62, s[12:13]
	v_cndmask_b32_e64 v62, v62, v63, s[12:13]
	v_mov_b32_e32 v63, v9
	ds_write2_b32 v2, v62, v64 offset1:1
	s_waitcnt lgkmcnt(0)
	s_barrier
	s_and_saveexec_b64 s[14:15], vcc
	s_cbranch_execz .LBB12_6
; %bb.3:                                ;   in Loop: Header=BB12_2 Depth=1
	s_mov_b64 s[16:17], 0
	v_mov_b32_e32 v63, v9
	v_mov_b32_e32 v62, v10
.LBB12_4:                               ;   Parent Loop BB12_2 Depth=1
                                        ; =>  This Inner Loop Header: Depth=2
	v_sub_u32_e32 v64, v62, v63
	v_lshrrev_b32_e32 v65, 31, v64
	v_add_u32_e32 v64, v64, v65
	v_ashrrev_i32_e32 v64, 1, v64
	v_add_u32_e32 v64, v64, v63
	v_xad_u32 v66, v64, -1, v4
	v_lshl_add_u32 v65, v64, 2, v7
	v_lshl_add_u32 v66, v66, 2, v8
	ds_read_b32 v65, v65
	ds_read_b32 v66, v66
	v_add_u32_e32 v67, 1, v64
	s_waitcnt lgkmcnt(0)
	v_cmp_lt_i32_e64 s[12:13], v66, v65
	s_nop 1
	v_cndmask_b32_e64 v62, v62, v64, s[12:13]
	v_cndmask_b32_e64 v63, v67, v63, s[12:13]
	v_cmp_ge_i32_e64 s[12:13], v63, v62
	s_or_b64 s[16:17], s[12:13], s[16:17]
	s_andn2_b64 exec, exec, s[16:17]
	s_cbranch_execnz .LBB12_4
; %bb.5:                                ;   in Loop: Header=BB12_2 Depth=1
	s_or_b64 exec, exec, s[16:17]
.LBB12_6:                               ;   in Loop: Header=BB12_2 Depth=1
	s_or_b64 exec, exec, s[14:15]
	v_sub_u32_e32 v62, v11, v63
	v_lshl_add_u32 v69, v63, 2, v7
	v_lshlrev_b32_e32 v68, 2, v62
	ds_read_b32 v64, v69
	ds_read_b32 v65, v68
	v_add_u32_e32 v63, v63, v3
	v_cmp_le_i32_e64 s[14:15], v5, v63
	v_cmp_gt_i32_e64 s[12:13], v6, v62
                                        ; implicit-def: $vgpr66
                                        ; implicit-def: $vgpr67
	s_waitcnt lgkmcnt(0)
	v_cmp_lt_i32_e64 s[16:17], v65, v64
	s_or_b64 s[14:15], s[14:15], s[16:17]
	s_and_b64 s[12:13], s[12:13], s[14:15]
	s_xor_b64 s[14:15], s[12:13], -1
	s_and_saveexec_b64 s[16:17], s[14:15]
	s_xor_b64 s[14:15], exec, s[16:17]
	s_cbranch_execz .LBB12_8
; %bb.7:                                ;   in Loop: Header=BB12_2 Depth=1
	ds_read_b32 v67, v69 offset:4
	v_mov_b32_e32 v66, v65
                                        ; implicit-def: $vgpr68
.LBB12_8:                               ;   in Loop: Header=BB12_2 Depth=1
	s_andn2_saveexec_b64 s[14:15], s[14:15]
	s_cbranch_execz .LBB12_10
; %bb.9:                                ;   in Loop: Header=BB12_2 Depth=1
	ds_read_b32 v66, v68 offset:4
	s_waitcnt lgkmcnt(1)
	v_mov_b32_e32 v67, v64
.LBB12_10:                              ;   in Loop: Header=BB12_2 Depth=1
	s_or_b64 exec, exec, s[14:15]
	v_add_u32_e32 v68, 1, v63
	v_cndmask_b32_e64 v64, v64, v65, s[12:13]
	v_add_u32_e32 v65, 1, v62
	v_cndmask_b32_e64 v63, v68, v63, s[12:13]
	v_cndmask_b32_e64 v62, v62, v65, s[12:13]
	v_cmp_ge_i32_e64 s[14:15], v63, v5
	s_waitcnt lgkmcnt(0)
	v_cmp_lt_i32_e64 s[16:17], v66, v67
	v_cmp_lt_i32_e64 s[12:13], v62, v6
	s_or_b64 s[14:15], s[14:15], s[16:17]
	s_and_b64 s[12:13], s[12:13], s[14:15]
	v_cndmask_b32_e64 v62, v67, v66, s[12:13]
	s_barrier
	ds_write2_b32 v2, v64, v62 offset1:1
	v_mov_b32_e32 v62, v18
	s_waitcnt lgkmcnt(0)
	s_barrier
	s_and_saveexec_b64 s[14:15], s[0:1]
	s_cbranch_execz .LBB12_14
; %bb.11:                               ;   in Loop: Header=BB12_2 Depth=1
	s_mov_b64 s[16:17], 0
	v_mov_b32_e32 v62, v18
	v_mov_b32_e32 v63, v19
.LBB12_12:                              ;   Parent Loop BB12_2 Depth=1
                                        ; =>  This Inner Loop Header: Depth=2
	v_sub_u32_e32 v64, v63, v62
	v_lshrrev_b32_e32 v65, 31, v64
	v_add_u32_e32 v64, v64, v65
	v_ashrrev_i32_e32 v64, 1, v64
	v_add_u32_e32 v64, v64, v62
	v_xad_u32 v66, v64, -1, v13
	v_lshl_add_u32 v65, v64, 2, v16
	v_lshl_add_u32 v66, v66, 2, v17
	ds_read_b32 v65, v65
	ds_read_b32 v66, v66
	v_add_u32_e32 v67, 1, v64
	s_waitcnt lgkmcnt(0)
	v_cmp_lt_i32_e64 s[12:13], v66, v65
	s_nop 1
	v_cndmask_b32_e64 v63, v63, v64, s[12:13]
	v_cndmask_b32_e64 v62, v67, v62, s[12:13]
	v_cmp_ge_i32_e64 s[12:13], v62, v63
	s_or_b64 s[16:17], s[12:13], s[16:17]
	s_andn2_b64 exec, exec, s[16:17]
	s_cbranch_execnz .LBB12_12
; %bb.13:                               ;   in Loop: Header=BB12_2 Depth=1
	s_or_b64 exec, exec, s[16:17]
.LBB12_14:                              ;   in Loop: Header=BB12_2 Depth=1
	s_or_b64 exec, exec, s[14:15]
	v_sub_u32_e32 v63, v20, v62
	v_lshl_add_u32 v69, v62, 2, v16
	v_lshlrev_b32_e32 v68, 2, v63
	ds_read_b32 v64, v69
	ds_read_b32 v65, v68
	v_add_u32_e32 v62, v62, v12
	v_cmp_le_i32_e64 s[14:15], v14, v62
	v_cmp_gt_i32_e64 s[12:13], v15, v63
                                        ; implicit-def: $vgpr66
                                        ; implicit-def: $vgpr67
	s_waitcnt lgkmcnt(0)
	v_cmp_lt_i32_e64 s[16:17], v65, v64
	s_or_b64 s[14:15], s[14:15], s[16:17]
	s_and_b64 s[12:13], s[12:13], s[14:15]
	s_xor_b64 s[14:15], s[12:13], -1
	s_and_saveexec_b64 s[16:17], s[14:15]
	s_xor_b64 s[14:15], exec, s[16:17]
	s_cbranch_execz .LBB12_16
; %bb.15:                               ;   in Loop: Header=BB12_2 Depth=1
	ds_read_b32 v67, v69 offset:4
	v_mov_b32_e32 v66, v65
                                        ; implicit-def: $vgpr68
.LBB12_16:                              ;   in Loop: Header=BB12_2 Depth=1
	s_andn2_saveexec_b64 s[14:15], s[14:15]
	s_cbranch_execz .LBB12_18
; %bb.17:                               ;   in Loop: Header=BB12_2 Depth=1
	ds_read_b32 v66, v68 offset:4
	s_waitcnt lgkmcnt(1)
	v_mov_b32_e32 v67, v64
.LBB12_18:                              ;   in Loop: Header=BB12_2 Depth=1
	s_or_b64 exec, exec, s[14:15]
	v_add_u32_e32 v68, 1, v62
	v_cndmask_b32_e64 v64, v64, v65, s[12:13]
	v_add_u32_e32 v65, 1, v63
	v_cndmask_b32_e64 v62, v68, v62, s[12:13]
	v_cndmask_b32_e64 v63, v63, v65, s[12:13]
	v_cmp_ge_i32_e64 s[14:15], v62, v14
	s_waitcnt lgkmcnt(0)
	v_cmp_lt_i32_e64 s[16:17], v66, v67
	v_cmp_lt_i32_e64 s[12:13], v63, v15
	s_or_b64 s[14:15], s[14:15], s[16:17]
	s_and_b64 s[12:13], s[12:13], s[14:15]
	v_cndmask_b32_e64 v62, v67, v66, s[12:13]
	s_barrier
	ds_write2_b32 v2, v64, v62 offset1:1
	v_mov_b32_e32 v62, v27
	s_waitcnt lgkmcnt(0)
	s_barrier
	s_and_saveexec_b64 s[14:15], s[2:3]
	s_cbranch_execz .LBB12_22
; %bb.19:                               ;   in Loop: Header=BB12_2 Depth=1
	s_mov_b64 s[16:17], 0
	v_mov_b32_e32 v62, v27
	v_mov_b32_e32 v63, v28
.LBB12_20:                              ;   Parent Loop BB12_2 Depth=1
                                        ; =>  This Inner Loop Header: Depth=2
	v_sub_u32_e32 v64, v63, v62
	v_lshrrev_b32_e32 v65, 31, v64
	v_add_u32_e32 v64, v64, v65
	v_ashrrev_i32_e32 v64, 1, v64
	v_add_u32_e32 v64, v64, v62
	v_xad_u32 v66, v64, -1, v22
	v_lshl_add_u32 v65, v64, 2, v25
	v_lshl_add_u32 v66, v66, 2, v26
	ds_read_b32 v65, v65
	ds_read_b32 v66, v66
	v_add_u32_e32 v67, 1, v64
	s_waitcnt lgkmcnt(0)
	v_cmp_lt_i32_e64 s[12:13], v66, v65
	s_nop 1
	v_cndmask_b32_e64 v63, v63, v64, s[12:13]
	v_cndmask_b32_e64 v62, v67, v62, s[12:13]
	v_cmp_ge_i32_e64 s[12:13], v62, v63
	s_or_b64 s[16:17], s[12:13], s[16:17]
	s_andn2_b64 exec, exec, s[16:17]
	s_cbranch_execnz .LBB12_20
; %bb.21:                               ;   in Loop: Header=BB12_2 Depth=1
	s_or_b64 exec, exec, s[16:17]
.LBB12_22:                              ;   in Loop: Header=BB12_2 Depth=1
	s_or_b64 exec, exec, s[14:15]
	v_sub_u32_e32 v63, v29, v62
	v_lshl_add_u32 v69, v62, 2, v25
	v_lshlrev_b32_e32 v68, 2, v63
	ds_read_b32 v64, v69
	ds_read_b32 v65, v68
	v_add_u32_e32 v62, v62, v21
	v_cmp_le_i32_e64 s[14:15], v23, v62
	v_cmp_gt_i32_e64 s[12:13], v24, v63
                                        ; implicit-def: $vgpr66
                                        ; implicit-def: $vgpr67
	s_waitcnt lgkmcnt(0)
	v_cmp_lt_i32_e64 s[16:17], v65, v64
	s_or_b64 s[14:15], s[14:15], s[16:17]
	s_and_b64 s[12:13], s[12:13], s[14:15]
	s_xor_b64 s[14:15], s[12:13], -1
	s_and_saveexec_b64 s[16:17], s[14:15]
	s_xor_b64 s[14:15], exec, s[16:17]
	s_cbranch_execz .LBB12_24
; %bb.23:                               ;   in Loop: Header=BB12_2 Depth=1
	ds_read_b32 v67, v69 offset:4
	v_mov_b32_e32 v66, v65
                                        ; implicit-def: $vgpr68
.LBB12_24:                              ;   in Loop: Header=BB12_2 Depth=1
	s_andn2_saveexec_b64 s[14:15], s[14:15]
	s_cbranch_execz .LBB12_26
; %bb.25:                               ;   in Loop: Header=BB12_2 Depth=1
	ds_read_b32 v66, v68 offset:4
	s_waitcnt lgkmcnt(1)
	v_mov_b32_e32 v67, v64
.LBB12_26:                              ;   in Loop: Header=BB12_2 Depth=1
	s_or_b64 exec, exec, s[14:15]
	v_add_u32_e32 v68, 1, v62
	v_cndmask_b32_e64 v64, v64, v65, s[12:13]
	v_add_u32_e32 v65, 1, v63
	v_cndmask_b32_e64 v62, v68, v62, s[12:13]
	v_cndmask_b32_e64 v63, v63, v65, s[12:13]
	v_cmp_ge_i32_e64 s[14:15], v62, v23
	s_waitcnt lgkmcnt(0)
	v_cmp_lt_i32_e64 s[16:17], v66, v67
	v_cmp_lt_i32_e64 s[12:13], v63, v24
	s_or_b64 s[14:15], s[14:15], s[16:17]
	s_and_b64 s[12:13], s[12:13], s[14:15]
	v_cndmask_b32_e64 v62, v67, v66, s[12:13]
	s_barrier
	ds_write2_b32 v2, v64, v62 offset1:1
	v_mov_b32_e32 v62, v36
	s_waitcnt lgkmcnt(0)
	s_barrier
	s_and_saveexec_b64 s[14:15], s[4:5]
	s_cbranch_execz .LBB12_30
; %bb.27:                               ;   in Loop: Header=BB12_2 Depth=1
	s_mov_b64 s[16:17], 0
	v_mov_b32_e32 v62, v36
	v_mov_b32_e32 v63, v37
.LBB12_28:                              ;   Parent Loop BB12_2 Depth=1
                                        ; =>  This Inner Loop Header: Depth=2
	v_sub_u32_e32 v64, v63, v62
	v_lshrrev_b32_e32 v65, 31, v64
	v_add_u32_e32 v64, v64, v65
	v_ashrrev_i32_e32 v64, 1, v64
	v_add_u32_e32 v64, v64, v62
	v_xad_u32 v66, v64, -1, v31
	v_lshl_add_u32 v65, v64, 2, v34
	v_lshl_add_u32 v66, v66, 2, v35
	ds_read_b32 v65, v65
	ds_read_b32 v66, v66
	v_add_u32_e32 v67, 1, v64
	s_waitcnt lgkmcnt(0)
	v_cmp_lt_i32_e64 s[12:13], v66, v65
	s_nop 1
	v_cndmask_b32_e64 v63, v63, v64, s[12:13]
	v_cndmask_b32_e64 v62, v67, v62, s[12:13]
	v_cmp_ge_i32_e64 s[12:13], v62, v63
	s_or_b64 s[16:17], s[12:13], s[16:17]
	s_andn2_b64 exec, exec, s[16:17]
	s_cbranch_execnz .LBB12_28
; %bb.29:                               ;   in Loop: Header=BB12_2 Depth=1
	s_or_b64 exec, exec, s[16:17]
.LBB12_30:                              ;   in Loop: Header=BB12_2 Depth=1
	s_or_b64 exec, exec, s[14:15]
	v_sub_u32_e32 v63, v38, v62
	v_lshl_add_u32 v69, v62, 2, v34
	v_lshlrev_b32_e32 v68, 2, v63
	ds_read_b32 v64, v69
	ds_read_b32 v65, v68
	v_add_u32_e32 v62, v62, v30
	v_cmp_le_i32_e64 s[14:15], v32, v62
	v_cmp_gt_i32_e64 s[12:13], v33, v63
                                        ; implicit-def: $vgpr66
                                        ; implicit-def: $vgpr67
	s_waitcnt lgkmcnt(0)
	v_cmp_lt_i32_e64 s[16:17], v65, v64
	s_or_b64 s[14:15], s[14:15], s[16:17]
	s_and_b64 s[12:13], s[12:13], s[14:15]
	s_xor_b64 s[14:15], s[12:13], -1
	s_and_saveexec_b64 s[16:17], s[14:15]
	s_xor_b64 s[14:15], exec, s[16:17]
	s_cbranch_execz .LBB12_32
; %bb.31:                               ;   in Loop: Header=BB12_2 Depth=1
	ds_read_b32 v67, v69 offset:4
	v_mov_b32_e32 v66, v65
                                        ; implicit-def: $vgpr68
.LBB12_32:                              ;   in Loop: Header=BB12_2 Depth=1
	s_andn2_saveexec_b64 s[14:15], s[14:15]
	s_cbranch_execz .LBB12_34
; %bb.33:                               ;   in Loop: Header=BB12_2 Depth=1
	ds_read_b32 v66, v68 offset:4
	s_waitcnt lgkmcnt(1)
	v_mov_b32_e32 v67, v64
.LBB12_34:                              ;   in Loop: Header=BB12_2 Depth=1
	s_or_b64 exec, exec, s[14:15]
	v_add_u32_e32 v68, 1, v62
	v_cndmask_b32_e64 v64, v64, v65, s[12:13]
	v_add_u32_e32 v65, 1, v63
	v_cndmask_b32_e64 v62, v68, v62, s[12:13]
	v_cndmask_b32_e64 v63, v63, v65, s[12:13]
	v_cmp_ge_i32_e64 s[14:15], v62, v32
	s_waitcnt lgkmcnt(0)
	v_cmp_lt_i32_e64 s[16:17], v66, v67
	v_cmp_lt_i32_e64 s[12:13], v63, v33
	s_or_b64 s[14:15], s[14:15], s[16:17]
	s_and_b64 s[12:13], s[12:13], s[14:15]
	v_cndmask_b32_e64 v62, v67, v66, s[12:13]
	s_barrier
	ds_write2_b32 v2, v64, v62 offset1:1
	v_mov_b32_e32 v62, v45
	s_waitcnt lgkmcnt(0)
	s_barrier
	s_and_saveexec_b64 s[14:15], s[6:7]
	s_cbranch_execz .LBB12_38
; %bb.35:                               ;   in Loop: Header=BB12_2 Depth=1
	s_mov_b64 s[16:17], 0
	v_mov_b32_e32 v62, v45
	v_mov_b32_e32 v63, v46
.LBB12_36:                              ;   Parent Loop BB12_2 Depth=1
                                        ; =>  This Inner Loop Header: Depth=2
	v_sub_u32_e32 v64, v63, v62
	v_lshrrev_b32_e32 v65, 31, v64
	v_add_u32_e32 v64, v64, v65
	v_ashrrev_i32_e32 v64, 1, v64
	v_add_u32_e32 v64, v64, v62
	v_xad_u32 v66, v64, -1, v40
	v_lshl_add_u32 v65, v64, 2, v43
	v_lshl_add_u32 v66, v66, 2, v44
	ds_read_b32 v65, v65
	ds_read_b32 v66, v66
	v_add_u32_e32 v67, 1, v64
	s_waitcnt lgkmcnt(0)
	v_cmp_lt_i32_e64 s[12:13], v66, v65
	s_nop 1
	v_cndmask_b32_e64 v63, v63, v64, s[12:13]
	v_cndmask_b32_e64 v62, v67, v62, s[12:13]
	v_cmp_ge_i32_e64 s[12:13], v62, v63
	s_or_b64 s[16:17], s[12:13], s[16:17]
	s_andn2_b64 exec, exec, s[16:17]
	s_cbranch_execnz .LBB12_36
; %bb.37:                               ;   in Loop: Header=BB12_2 Depth=1
	s_or_b64 exec, exec, s[16:17]
.LBB12_38:                              ;   in Loop: Header=BB12_2 Depth=1
	s_or_b64 exec, exec, s[14:15]
	v_sub_u32_e32 v63, v47, v62
	v_lshl_add_u32 v69, v62, 2, v43
	v_lshlrev_b32_e32 v68, 2, v63
	ds_read_b32 v64, v69
	ds_read_b32 v65, v68
	v_add_u32_e32 v62, v62, v39
	v_cmp_le_i32_e64 s[14:15], v41, v62
	v_cmp_gt_i32_e64 s[12:13], v42, v63
                                        ; implicit-def: $vgpr66
                                        ; implicit-def: $vgpr67
	s_waitcnt lgkmcnt(0)
	v_cmp_lt_i32_e64 s[16:17], v65, v64
	s_or_b64 s[14:15], s[14:15], s[16:17]
	s_and_b64 s[12:13], s[12:13], s[14:15]
	s_xor_b64 s[14:15], s[12:13], -1
	s_and_saveexec_b64 s[16:17], s[14:15]
	s_xor_b64 s[14:15], exec, s[16:17]
	s_cbranch_execz .LBB12_40
; %bb.39:                               ;   in Loop: Header=BB12_2 Depth=1
	ds_read_b32 v67, v69 offset:4
	v_mov_b32_e32 v66, v65
                                        ; implicit-def: $vgpr68
.LBB12_40:                              ;   in Loop: Header=BB12_2 Depth=1
	s_andn2_saveexec_b64 s[14:15], s[14:15]
	s_cbranch_execz .LBB12_42
; %bb.41:                               ;   in Loop: Header=BB12_2 Depth=1
	ds_read_b32 v66, v68 offset:4
	s_waitcnt lgkmcnt(1)
	v_mov_b32_e32 v67, v64
.LBB12_42:                              ;   in Loop: Header=BB12_2 Depth=1
	s_or_b64 exec, exec, s[14:15]
	v_add_u32_e32 v68, 1, v62
	v_cndmask_b32_e64 v64, v64, v65, s[12:13]
	v_add_u32_e32 v65, 1, v63
	v_cndmask_b32_e64 v62, v68, v62, s[12:13]
	v_cndmask_b32_e64 v63, v63, v65, s[12:13]
	v_cmp_ge_i32_e64 s[14:15], v62, v41
	s_waitcnt lgkmcnt(0)
	v_cmp_lt_i32_e64 s[16:17], v66, v67
	v_cmp_lt_i32_e64 s[12:13], v63, v42
	s_or_b64 s[14:15], s[14:15], s[16:17]
	s_and_b64 s[12:13], s[12:13], s[14:15]
	v_cndmask_b32_e64 v62, v67, v66, s[12:13]
	s_barrier
	ds_write2_b32 v2, v64, v62 offset1:1
	v_mov_b32_e32 v62, v53
	s_waitcnt lgkmcnt(0)
	s_barrier
	s_and_saveexec_b64 s[14:15], s[8:9]
	s_cbranch_execz .LBB12_46
; %bb.43:                               ;   in Loop: Header=BB12_2 Depth=1
	s_mov_b64 s[16:17], 0
	v_mov_b32_e32 v62, v53
	v_mov_b32_e32 v63, v54
.LBB12_44:                              ;   Parent Loop BB12_2 Depth=1
                                        ; =>  This Inner Loop Header: Depth=2
	v_sub_u32_e32 v64, v63, v62
	v_lshrrev_b32_e32 v65, 31, v64
	v_add_u32_e32 v64, v64, v65
	v_ashrrev_i32_e32 v64, 1, v64
	v_add_u32_e32 v64, v64, v62
	v_xad_u32 v66, v64, -1, v50
	v_lshl_add_u32 v65, v64, 2, v57
	v_lshl_add_u32 v66, v66, 2, v58
	ds_read_b32 v65, v65
	ds_read_b32 v66, v66
	v_add_u32_e32 v67, 1, v64
	s_waitcnt lgkmcnt(0)
	v_cmp_lt_i32_e64 s[12:13], v66, v65
	s_nop 1
	v_cndmask_b32_e64 v63, v63, v64, s[12:13]
	v_cndmask_b32_e64 v62, v67, v62, s[12:13]
	v_cmp_ge_i32_e64 s[12:13], v62, v63
	s_or_b64 s[16:17], s[12:13], s[16:17]
	s_andn2_b64 exec, exec, s[16:17]
	s_cbranch_execnz .LBB12_44
; %bb.45:                               ;   in Loop: Header=BB12_2 Depth=1
	s_or_b64 exec, exec, s[16:17]
.LBB12_46:                              ;   in Loop: Header=BB12_2 Depth=1
	s_or_b64 exec, exec, s[14:15]
	v_sub_u32_e32 v63, v59, v62
	v_lshl_add_u32 v69, v62, 2, v57
	v_lshlrev_b32_e32 v68, 2, v63
	ds_read_b32 v64, v69
	ds_read_b32 v65, v68
	v_add_u32_e32 v62, v62, v49
	v_cmp_le_i32_e64 s[14:15], v51, v62
	v_cmp_gt_i32_e64 s[12:13], v52, v63
                                        ; implicit-def: $vgpr66
                                        ; implicit-def: $vgpr67
	s_waitcnt lgkmcnt(0)
	v_cmp_lt_i32_e64 s[16:17], v65, v64
	s_or_b64 s[14:15], s[14:15], s[16:17]
	s_and_b64 s[12:13], s[12:13], s[14:15]
	s_xor_b64 s[14:15], s[12:13], -1
	s_and_saveexec_b64 s[16:17], s[14:15]
	s_xor_b64 s[14:15], exec, s[16:17]
	s_cbranch_execz .LBB12_48
; %bb.47:                               ;   in Loop: Header=BB12_2 Depth=1
	ds_read_b32 v67, v69 offset:4
	v_mov_b32_e32 v66, v65
                                        ; implicit-def: $vgpr68
.LBB12_48:                              ;   in Loop: Header=BB12_2 Depth=1
	s_andn2_saveexec_b64 s[14:15], s[14:15]
	s_cbranch_execz .LBB12_50
; %bb.49:                               ;   in Loop: Header=BB12_2 Depth=1
	ds_read_b32 v66, v68 offset:4
	s_waitcnt lgkmcnt(1)
	v_mov_b32_e32 v67, v64
.LBB12_50:                              ;   in Loop: Header=BB12_2 Depth=1
	s_or_b64 exec, exec, s[14:15]
	v_add_u32_e32 v68, 1, v62
	v_cndmask_b32_e64 v64, v64, v65, s[12:13]
	v_add_u32_e32 v65, 1, v63
	v_cndmask_b32_e64 v62, v68, v62, s[12:13]
	v_cndmask_b32_e64 v63, v63, v65, s[12:13]
	v_cmp_ge_i32_e64 s[14:15], v62, v51
	s_waitcnt lgkmcnt(0)
	v_cmp_lt_i32_e64 s[16:17], v66, v67
	v_cmp_lt_i32_e64 s[12:13], v63, v52
	s_or_b64 s[14:15], s[14:15], s[16:17]
	s_and_b64 s[12:13], s[12:13], s[14:15]
	v_cndmask_b32_e64 v62, v67, v66, s[12:13]
	v_mov_b32_e32 v63, v55
	s_barrier
	ds_write2_b32 v2, v64, v62 offset1:1
	s_waitcnt lgkmcnt(0)
	s_barrier
	s_and_saveexec_b64 s[14:15], s[10:11]
	s_cbranch_execz .LBB12_54
; %bb.51:                               ;   in Loop: Header=BB12_2 Depth=1
	s_mov_b64 s[16:17], 0
	v_mov_b32_e32 v63, v55
	v_mov_b32_e32 v62, v56
.LBB12_52:                              ;   Parent Loop BB12_2 Depth=1
                                        ; =>  This Inner Loop Header: Depth=2
	v_sub_u32_e32 v64, v62, v63
	v_lshrrev_b32_e32 v65, 31, v64
	v_add_u32_e32 v64, v64, v65
	v_ashrrev_i32_e32 v64, 1, v64
	v_add_u32_e32 v64, v64, v63
	v_xad_u32 v66, v64, -1, v1
	v_lshlrev_b32_e32 v65, 2, v64
	v_lshl_add_u32 v66, v66, 2, v60
	ds_read_b32 v65, v65
	ds_read_b32 v66, v66
	v_add_u32_e32 v67, 1, v64
	s_waitcnt lgkmcnt(0)
	v_cmp_lt_i32_e64 s[12:13], v66, v65
	s_nop 1
	v_cndmask_b32_e64 v62, v62, v64, s[12:13]
	v_cndmask_b32_e64 v63, v67, v63, s[12:13]
	v_cmp_ge_i32_e64 s[12:13], v63, v62
	s_or_b64 s[16:17], s[12:13], s[16:17]
	s_andn2_b64 exec, exec, s[16:17]
	s_cbranch_execnz .LBB12_52
; %bb.53:                               ;   in Loop: Header=BB12_2 Depth=1
	s_or_b64 exec, exec, s[16:17]
.LBB12_54:                              ;   in Loop: Header=BB12_2 Depth=1
	s_or_b64 exec, exec, s[14:15]
	v_sub_u32_e32 v64, v61, v63
	v_lshlrev_b32_e32 v69, 2, v63
	v_lshlrev_b32_e32 v68, 2, v64
	ds_read_b32 v62, v69
	ds_read_b32 v65, v68
	v_cmp_le_i32_e64 s[14:15], v48, v63
	v_cmp_gt_i32_e64 s[12:13], s20, v64
                                        ; implicit-def: $vgpr66
                                        ; implicit-def: $vgpr67
	s_waitcnt lgkmcnt(0)
	v_cmp_lt_i32_e64 s[16:17], v65, v62
	s_or_b64 s[14:15], s[14:15], s[16:17]
	s_and_b64 s[12:13], s[12:13], s[14:15]
	s_xor_b64 s[14:15], s[12:13], -1
	s_and_saveexec_b64 s[16:17], s[14:15]
	s_xor_b64 s[14:15], exec, s[16:17]
	s_cbranch_execz .LBB12_56
; %bb.55:                               ;   in Loop: Header=BB12_2 Depth=1
	ds_read_b32 v67, v69 offset:4
	v_add_u32_e32 v63, 1, v63
	v_mov_b32_e32 v66, v65
                                        ; implicit-def: $vgpr68
.LBB12_56:                              ;   in Loop: Header=BB12_2 Depth=1
	s_andn2_saveexec_b64 s[14:15], s[14:15]
	s_cbranch_execz .LBB12_1
; %bb.57:                               ;   in Loop: Header=BB12_2 Depth=1
	ds_read_b32 v66, v68 offset:4
	v_add_u32_e32 v64, 1, v64
	s_waitcnt lgkmcnt(1)
	v_mov_b32_e32 v67, v62
	s_branch .LBB12_1
.LBB12_58:
	s_add_u32 s0, s18, s22
	s_addc_u32 s1, s19, s23
	v_lshlrev_b32_e32 v0, 2, v0
	global_store_dword v0, v62, s[0:1]
	global_store_dword v0, v63, s[0:1] offset:512
	s_endpgm
	.section	.rodata,"a",@progbits
	.p2align	6, 0x0
	.amdhsa_kernel _Z16sort_keys_kernelIiLj128ELj2EN10test_utils4lessELj10EEvPKT_PS2_T2_
		.amdhsa_group_segment_fixed_size 1028
		.amdhsa_private_segment_fixed_size 0
		.amdhsa_kernarg_size 20
		.amdhsa_user_sgpr_count 2
		.amdhsa_user_sgpr_dispatch_ptr 0
		.amdhsa_user_sgpr_queue_ptr 0
		.amdhsa_user_sgpr_kernarg_segment_ptr 1
		.amdhsa_user_sgpr_dispatch_id 0
		.amdhsa_user_sgpr_kernarg_preload_length 0
		.amdhsa_user_sgpr_kernarg_preload_offset 0
		.amdhsa_user_sgpr_private_segment_size 0
		.amdhsa_uses_dynamic_stack 0
		.amdhsa_enable_private_segment 0
		.amdhsa_system_sgpr_workgroup_id_x 1
		.amdhsa_system_sgpr_workgroup_id_y 0
		.amdhsa_system_sgpr_workgroup_id_z 0
		.amdhsa_system_sgpr_workgroup_info 0
		.amdhsa_system_vgpr_workitem_id 0
		.amdhsa_next_free_vgpr 70
		.amdhsa_next_free_sgpr 24
		.amdhsa_accum_offset 72
		.amdhsa_reserve_vcc 1
		.amdhsa_float_round_mode_32 0
		.amdhsa_float_round_mode_16_64 0
		.amdhsa_float_denorm_mode_32 3
		.amdhsa_float_denorm_mode_16_64 3
		.amdhsa_dx10_clamp 1
		.amdhsa_ieee_mode 1
		.amdhsa_fp16_overflow 0
		.amdhsa_tg_split 0
		.amdhsa_exception_fp_ieee_invalid_op 0
		.amdhsa_exception_fp_denorm_src 0
		.amdhsa_exception_fp_ieee_div_zero 0
		.amdhsa_exception_fp_ieee_overflow 0
		.amdhsa_exception_fp_ieee_underflow 0
		.amdhsa_exception_fp_ieee_inexact 0
		.amdhsa_exception_int_div_zero 0
	.end_amdhsa_kernel
	.section	.text._Z16sort_keys_kernelIiLj128ELj2EN10test_utils4lessELj10EEvPKT_PS2_T2_,"axG",@progbits,_Z16sort_keys_kernelIiLj128ELj2EN10test_utils4lessELj10EEvPKT_PS2_T2_,comdat
.Lfunc_end12:
	.size	_Z16sort_keys_kernelIiLj128ELj2EN10test_utils4lessELj10EEvPKT_PS2_T2_, .Lfunc_end12-_Z16sort_keys_kernelIiLj128ELj2EN10test_utils4lessELj10EEvPKT_PS2_T2_
                                        ; -- End function
	.section	.AMDGPU.csdata,"",@progbits
; Kernel info:
; codeLenInByte = 3200
; NumSgprs: 30
; NumVgprs: 70
; NumAgprs: 0
; TotalNumVgprs: 70
; ScratchSize: 0
; MemoryBound: 0
; FloatMode: 240
; IeeeMode: 1
; LDSByteSize: 1028 bytes/workgroup (compile time only)
; SGPRBlocks: 3
; VGPRBlocks: 8
; NumSGPRsForWavesPerEU: 30
; NumVGPRsForWavesPerEU: 70
; AccumOffset: 72
; Occupancy: 7
; WaveLimiterHint : 1
; COMPUTE_PGM_RSRC2:SCRATCH_EN: 0
; COMPUTE_PGM_RSRC2:USER_SGPR: 2
; COMPUTE_PGM_RSRC2:TRAP_HANDLER: 0
; COMPUTE_PGM_RSRC2:TGID_X_EN: 1
; COMPUTE_PGM_RSRC2:TGID_Y_EN: 0
; COMPUTE_PGM_RSRC2:TGID_Z_EN: 0
; COMPUTE_PGM_RSRC2:TIDIG_COMP_CNT: 0
; COMPUTE_PGM_RSRC3_GFX90A:ACCUM_OFFSET: 17
; COMPUTE_PGM_RSRC3_GFX90A:TG_SPLIT: 0
	.section	.text._Z17sort_pairs_kernelIiLj128ELj2EN10test_utils4lessELj10EEvPKT_PS2_T2_,"axG",@progbits,_Z17sort_pairs_kernelIiLj128ELj2EN10test_utils4lessELj10EEvPKT_PS2_T2_,comdat
	.protected	_Z17sort_pairs_kernelIiLj128ELj2EN10test_utils4lessELj10EEvPKT_PS2_T2_ ; -- Begin function _Z17sort_pairs_kernelIiLj128ELj2EN10test_utils4lessELj10EEvPKT_PS2_T2_
	.globl	_Z17sort_pairs_kernelIiLj128ELj2EN10test_utils4lessELj10EEvPKT_PS2_T2_
	.p2align	8
	.type	_Z17sort_pairs_kernelIiLj128ELj2EN10test_utils4lessELj10EEvPKT_PS2_T2_,@function
_Z17sort_pairs_kernelIiLj128ELj2EN10test_utils4lessELj10EEvPKT_PS2_T2_: ; @_Z17sort_pairs_kernelIiLj128ELj2EN10test_utils4lessELj10EEvPKT_PS2_T2_
; %bb.0:
	s_load_dwordx4 s[20:23], s[0:1], 0x0
	s_lshl_b32 s26, s2, 8
	s_mov_b32 s27, 0
	s_lshl_b64 s[24:25], s[26:27], 2
	v_lshlrev_b32_e32 v1, 2, v0
	s_waitcnt lgkmcnt(0)
	s_add_u32 s0, s20, s24
	s_addc_u32 s1, s21, s25
	global_load_dword v2, v1, s[0:1]
	global_load_dword v3, v1, s[0:1] offset:512
	v_lshlrev_b32_e32 v5, 1, v0
	v_and_b32_e32 v7, 0xfc, v5
	v_and_b32_e32 v9, 0xf8, v5
	v_or_b32_e32 v19, 2, v7
	v_add_u32_e32 v20, 4, v7
	v_and_b32_e32 v8, 2, v5
	v_and_b32_e32 v11, 0xf0, v5
	v_or_b32_e32 v22, 4, v9
	v_add_u32_e32 v23, 8, v9
	v_sub_u32_e32 v49, v20, v19
	v_and_b32_e32 v10, 6, v5
	v_and_b32_e32 v13, 0xe0, v5
	v_or_b32_e32 v25, 8, v11
	v_add_u32_e32 v26, 16, v11
	v_sub_u32_e32 v4, v19, v7
	v_sub_u32_e32 v50, v23, v22
	;; [unrolled: 1-line block ×3, first 2 shown]
	v_cmp_ge_i32_e32 vcc, v8, v49
	v_and_b32_e32 v12, 14, v5
	v_and_b32_e32 v15, 0xc0, v5
	;; [unrolled: 1-line block ×3, first 2 shown]
	v_or_b32_e32 v28, 16, v13
	v_add_u32_e32 v29, 32, v13
	v_sub_u32_e32 v51, v26, v25
	v_min_i32_e32 v44, v8, v4
	v_sub_u32_e32 v4, v10, v50
	v_cndmask_b32_e32 v49, 0, v54, vcc
	v_cmp_ge_i32_e32 vcc, v10, v50
	v_and_b32_e32 v14, 30, v5
	v_or_b32_e32 v31, 32, v15
	v_add_u32_e32 v32, 64, v15
	v_or_b32_e32 v34, 64, v17
	v_add_u32_e32 v35, 0x80, v17
	v_sub_u32_e32 v52, v29, v28
	v_sub_u32_e32 v55, v12, v51
	v_cndmask_b32_e32 v50, 0, v4, vcc
	v_cmp_ge_i32_e32 vcc, v12, v51
	v_and_b32_e32 v16, 62, v5
	v_and_b32_e32 v18, 0x7e, v5
	v_sub_u32_e32 v53, v32, v31
	v_sub_u32_e32 v56, v14, v52
	v_cndmask_b32_e32 v51, 0, v55, vcc
	v_cmp_ge_i32_e32 vcc, v14, v52
	v_sub_u32_e32 v54, v35, v34
	v_mov_b32_e32 v1, 0x80
	v_sub_u32_e32 v45, v22, v9
	v_sub_u32_e32 v46, v25, v11
	;; [unrolled: 1-line block ×5, first 2 shown]
	v_cndmask_b32_e32 v52, 0, v56, vcc
	v_cmp_ge_i32_e32 vcc, v16, v53
	v_sub_u32_e32 v55, v34, v17
	v_sub_u32_e32 v56, v18, v54
	v_cmp_ge_i32_e64 s[8:9], v18, v54
	v_min_i32_e32 v45, v10, v45
	v_min_i32_e32 v46, v12, v46
	;; [unrolled: 1-line block ×4, first 2 shown]
	v_cndmask_b32_e32 v53, 0, v57, vcc
	v_cndmask_b32_e64 v54, 0, v56, s[8:9]
	v_min_i32_e32 v55, v18, v55
	v_sub_u32_e64 v56, v5, v1 clamp
	v_min_i32_e32 v57, 0x80, v5
	v_lshlrev_b32_e32 v6, 3, v0
	v_lshlrev_b32_e32 v21, 2, v7
	v_lshlrev_b32_e32 v24, 2, v9
	v_lshlrev_b32_e32 v27, 2, v11
	v_lshlrev_b32_e32 v30, 2, v13
	v_lshlrev_b32_e32 v33, 2, v15
	v_lshlrev_b32_e32 v36, 2, v19
	v_add_u32_e32 v37, v19, v8
	v_lshlrev_b32_e32 v38, 2, v22
	v_add_u32_e32 v39, v22, v10
	v_lshlrev_b32_e32 v40, 2, v25
	;; [unrolled: 2-line block ×3, first 2 shown]
	v_add_u32_e32 v43, v28, v14
	v_cmp_lt_i32_e32 vcc, v49, v44
	v_cmp_lt_i32_e64 s[0:1], v50, v45
	v_cmp_lt_i32_e64 s[2:3], v51, v46
	;; [unrolled: 1-line block ×4, first 2 shown]
	s_waitcnt vmcnt(1)
	v_add_u32_e32 v4, 1, v2
	s_waitcnt vmcnt(0)
	v_add_u32_e32 v64, 1, v3
	v_cmp_lt_i32_e64 s[8:9], v54, v55
	v_cmp_lt_i32_e64 s[10:11], v56, v57
	s_movk_i32 s20, 0x100
	v_lshlrev_b32_e32 v58, 2, v31
	v_add_u32_e32 v59, v31, v16
	v_lshlrev_b32_e32 v60, 2, v17
	v_lshlrev_b32_e32 v61, 2, v34
	v_add_u32_e32 v62, v34, v18
	v_add_u32_e32 v63, 0x80, v5
	s_branch .LBB13_2
.LBB13_1:                               ;   in Loop: Header=BB13_2 Depth=1
	s_or_b64 exec, exec, s[14:15]
	v_cmp_ge_i32_e64 s[16:17], v68, v1
	s_waitcnt lgkmcnt(0)
	v_cmp_lt_i32_e64 s[18:19], v69, v3
	v_cmp_gt_i32_e64 s[14:15], s20, v4
	s_or_b64 s[16:17], s[16:17], s[18:19]
	s_and_b64 s[14:15], s[14:15], s[16:17]
	v_cndmask_b32_e64 v4, v68, v4, s[14:15]
	s_barrier
	ds_write2_b32 v6, v64, v65 offset1:1
	v_lshlrev_b32_e32 v2, 2, v2
	v_lshlrev_b32_e32 v64, 2, v4
	s_waitcnt lgkmcnt(0)
	s_barrier
	ds_read_b32 v4, v2
	ds_read_b32 v64, v64
	s_add_i32 s27, s27, 1
	v_cndmask_b32_e64 v3, v3, v69, s[14:15]
	s_cmp_eq_u32 s27, 10
	v_cndmask_b32_e64 v2, v66, v67, s[12:13]
	s_cbranch_scc1 .LBB13_58
.LBB13_2:                               ; =>This Loop Header: Depth=1
                                        ;     Child Loop BB13_4 Depth 2
                                        ;     Child Loop BB13_12 Depth 2
	;; [unrolled: 1-line block ×7, first 2 shown]
	v_cmp_lt_i32_e64 s[12:13], v3, v2
	s_barrier
	s_nop 0
	v_cndmask_b32_e64 v65, v3, v2, s[12:13]
	v_cndmask_b32_e64 v2, v2, v3, s[12:13]
	v_mov_b32_e32 v3, v49
	ds_write2_b32 v6, v2, v65 offset1:1
	s_waitcnt lgkmcnt(0)
	s_barrier
	s_and_saveexec_b64 s[16:17], vcc
	s_cbranch_execz .LBB13_6
; %bb.3:                                ;   in Loop: Header=BB13_2 Depth=1
	s_mov_b64 s[18:19], 0
	v_mov_b32_e32 v3, v49
	v_mov_b32_e32 v2, v44
.LBB13_4:                               ;   Parent Loop BB13_2 Depth=1
                                        ; =>  This Inner Loop Header: Depth=2
	v_sub_u32_e32 v65, v2, v3
	v_lshrrev_b32_e32 v66, 31, v65
	v_add_u32_e32 v65, v65, v66
	v_ashrrev_i32_e32 v65, 1, v65
	v_add_u32_e32 v65, v65, v3
	v_xad_u32 v67, v65, -1, v8
	v_lshl_add_u32 v66, v65, 2, v21
	v_lshl_add_u32 v67, v67, 2, v36
	ds_read_b32 v66, v66
	ds_read_b32 v67, v67
	v_add_u32_e32 v68, 1, v65
	s_waitcnt lgkmcnt(0)
	v_cmp_lt_i32_e64 s[14:15], v67, v66
	s_nop 1
	v_cndmask_b32_e64 v2, v2, v65, s[14:15]
	v_cndmask_b32_e64 v3, v68, v3, s[14:15]
	v_cmp_ge_i32_e64 s[14:15], v3, v2
	s_or_b64 s[18:19], s[14:15], s[18:19]
	s_andn2_b64 exec, exec, s[18:19]
	s_cbranch_execnz .LBB13_4
; %bb.5:                                ;   in Loop: Header=BB13_2 Depth=1
	s_or_b64 exec, exec, s[18:19]
.LBB13_6:                               ;   in Loop: Header=BB13_2 Depth=1
	s_or_b64 exec, exec, s[16:17]
	v_sub_u32_e32 v2, v37, v3
	v_lshl_add_u32 v70, v3, 2, v21
	v_lshlrev_b32_e32 v69, 2, v2
	ds_read_b32 v65, v70
	ds_read_b32 v66, v69
	v_add_u32_e32 v3, v3, v7
	v_cmp_le_i32_e64 s[16:17], v19, v3
	v_cmp_gt_i32_e64 s[14:15], v20, v2
                                        ; implicit-def: $vgpr67
                                        ; implicit-def: $vgpr68
	s_waitcnt lgkmcnt(0)
	v_cmp_lt_i32_e64 s[18:19], v66, v65
	s_or_b64 s[16:17], s[16:17], s[18:19]
	s_and_b64 s[14:15], s[14:15], s[16:17]
	s_xor_b64 s[16:17], s[14:15], -1
	s_and_saveexec_b64 s[18:19], s[16:17]
	s_xor_b64 s[16:17], exec, s[18:19]
	s_cbranch_execz .LBB13_8
; %bb.7:                                ;   in Loop: Header=BB13_2 Depth=1
	ds_read_b32 v68, v70 offset:4
	v_mov_b32_e32 v67, v66
                                        ; implicit-def: $vgpr69
.LBB13_8:                               ;   in Loop: Header=BB13_2 Depth=1
	s_andn2_saveexec_b64 s[16:17], s[16:17]
	s_cbranch_execz .LBB13_10
; %bb.9:                                ;   in Loop: Header=BB13_2 Depth=1
	ds_read_b32 v67, v69 offset:4
	s_waitcnt lgkmcnt(1)
	v_mov_b32_e32 v68, v65
.LBB13_10:                              ;   in Loop: Header=BB13_2 Depth=1
	s_or_b64 exec, exec, s[16:17]
	v_add_u32_e32 v69, 1, v3
	v_cndmask_b32_e64 v65, v65, v66, s[14:15]
	v_add_u32_e32 v66, 1, v2
	v_cndmask_b32_e64 v69, v69, v3, s[14:15]
	v_cndmask_b32_e64 v66, v2, v66, s[14:15]
	;; [unrolled: 1-line block ×3, first 2 shown]
	v_cmp_ge_i32_e64 s[14:15], v69, v19
	s_waitcnt lgkmcnt(0)
	v_cmp_lt_i32_e64 s[16:17], v67, v68
	v_cndmask_b32_e64 v3, v64, v4, s[12:13]
	v_cndmask_b32_e64 v4, v4, v64, s[12:13]
	v_cmp_lt_i32_e64 s[12:13], v66, v20
	s_or_b64 s[14:15], s[14:15], s[16:17]
	s_and_b64 s[12:13], s[12:13], s[14:15]
	v_cndmask_b32_e64 v66, v69, v66, s[12:13]
	s_barrier
	ds_write2_b32 v6, v4, v3 offset1:1
	v_lshlrev_b32_e32 v2, 2, v2
	v_lshlrev_b32_e32 v3, 2, v66
	s_waitcnt lgkmcnt(0)
	s_barrier
	ds_read_b32 v2, v2
	ds_read_b32 v3, v3
	v_cndmask_b32_e64 v64, v68, v67, s[12:13]
	s_waitcnt lgkmcnt(0)
	s_barrier
	ds_write2_b32 v6, v65, v64 offset1:1
	v_mov_b32_e32 v64, v50
	s_waitcnt lgkmcnt(0)
	s_barrier
	s_and_saveexec_b64 s[14:15], s[0:1]
	s_cbranch_execz .LBB13_14
; %bb.11:                               ;   in Loop: Header=BB13_2 Depth=1
	s_mov_b64 s[16:17], 0
	v_mov_b32_e32 v64, v50
	v_mov_b32_e32 v4, v45
.LBB13_12:                              ;   Parent Loop BB13_2 Depth=1
                                        ; =>  This Inner Loop Header: Depth=2
	v_sub_u32_e32 v65, v4, v64
	v_lshrrev_b32_e32 v66, 31, v65
	v_add_u32_e32 v65, v65, v66
	v_ashrrev_i32_e32 v65, 1, v65
	v_add_u32_e32 v65, v65, v64
	v_xad_u32 v67, v65, -1, v10
	v_lshl_add_u32 v66, v65, 2, v24
	v_lshl_add_u32 v67, v67, 2, v38
	ds_read_b32 v66, v66
	ds_read_b32 v67, v67
	v_add_u32_e32 v68, 1, v65
	s_waitcnt lgkmcnt(0)
	v_cmp_lt_i32_e64 s[12:13], v67, v66
	s_nop 1
	v_cndmask_b32_e64 v4, v4, v65, s[12:13]
	v_cndmask_b32_e64 v64, v68, v64, s[12:13]
	v_cmp_ge_i32_e64 s[12:13], v64, v4
	s_or_b64 s[16:17], s[12:13], s[16:17]
	s_andn2_b64 exec, exec, s[16:17]
	s_cbranch_execnz .LBB13_12
; %bb.13:                               ;   in Loop: Header=BB13_2 Depth=1
	s_or_b64 exec, exec, s[16:17]
.LBB13_14:                              ;   in Loop: Header=BB13_2 Depth=1
	s_or_b64 exec, exec, s[14:15]
	v_sub_u32_e32 v4, v39, v64
	v_lshl_add_u32 v70, v64, 2, v24
	v_lshlrev_b32_e32 v69, 2, v4
	ds_read_b32 v65, v70
	ds_read_b32 v66, v69
	v_add_u32_e32 v64, v64, v9
	v_cmp_le_i32_e64 s[14:15], v22, v64
	v_cmp_gt_i32_e64 s[12:13], v23, v4
                                        ; implicit-def: $vgpr67
                                        ; implicit-def: $vgpr68
	s_waitcnt lgkmcnt(0)
	v_cmp_lt_i32_e64 s[16:17], v66, v65
	s_or_b64 s[14:15], s[14:15], s[16:17]
	s_and_b64 s[12:13], s[12:13], s[14:15]
	s_xor_b64 s[14:15], s[12:13], -1
	s_and_saveexec_b64 s[16:17], s[14:15]
	s_xor_b64 s[14:15], exec, s[16:17]
	s_cbranch_execz .LBB13_16
; %bb.15:                               ;   in Loop: Header=BB13_2 Depth=1
	ds_read_b32 v68, v70 offset:4
	v_mov_b32_e32 v67, v66
                                        ; implicit-def: $vgpr69
.LBB13_16:                              ;   in Loop: Header=BB13_2 Depth=1
	s_andn2_saveexec_b64 s[14:15], s[14:15]
	s_cbranch_execz .LBB13_18
; %bb.17:                               ;   in Loop: Header=BB13_2 Depth=1
	ds_read_b32 v67, v69 offset:4
	s_waitcnt lgkmcnt(1)
	v_mov_b32_e32 v68, v65
.LBB13_18:                              ;   in Loop: Header=BB13_2 Depth=1
	s_or_b64 exec, exec, s[14:15]
	v_add_u32_e32 v69, 1, v64
	v_cndmask_b32_e64 v65, v65, v66, s[12:13]
	v_add_u32_e32 v66, 1, v4
	v_cndmask_b32_e64 v69, v69, v64, s[12:13]
	v_cndmask_b32_e64 v66, v4, v66, s[12:13]
	v_cmp_ge_i32_e64 s[14:15], v69, v22
	s_waitcnt lgkmcnt(0)
	v_cmp_lt_i32_e64 s[16:17], v67, v68
	v_cndmask_b32_e64 v4, v64, v4, s[12:13]
	v_cmp_lt_i32_e64 s[12:13], v66, v23
	s_or_b64 s[14:15], s[14:15], s[16:17]
	s_and_b64 s[12:13], s[12:13], s[14:15]
	v_cndmask_b32_e64 v66, v69, v66, s[12:13]
	s_barrier
	ds_write2_b32 v6, v2, v3 offset1:1
	v_lshlrev_b32_e32 v2, 2, v4
	v_lshlrev_b32_e32 v3, 2, v66
	s_waitcnt lgkmcnt(0)
	s_barrier
	ds_read_b32 v2, v2
	ds_read_b32 v3, v3
	v_cndmask_b32_e64 v64, v68, v67, s[12:13]
	s_waitcnt lgkmcnt(0)
	s_barrier
	ds_write2_b32 v6, v65, v64 offset1:1
	v_mov_b32_e32 v64, v51
	s_waitcnt lgkmcnt(0)
	s_barrier
	s_and_saveexec_b64 s[14:15], s[2:3]
	s_cbranch_execz .LBB13_22
; %bb.19:                               ;   in Loop: Header=BB13_2 Depth=1
	s_mov_b64 s[16:17], 0
	v_mov_b32_e32 v64, v51
	v_mov_b32_e32 v4, v46
.LBB13_20:                              ;   Parent Loop BB13_2 Depth=1
                                        ; =>  This Inner Loop Header: Depth=2
	v_sub_u32_e32 v65, v4, v64
	v_lshrrev_b32_e32 v66, 31, v65
	v_add_u32_e32 v65, v65, v66
	v_ashrrev_i32_e32 v65, 1, v65
	v_add_u32_e32 v65, v65, v64
	v_xad_u32 v67, v65, -1, v12
	v_lshl_add_u32 v66, v65, 2, v27
	v_lshl_add_u32 v67, v67, 2, v40
	ds_read_b32 v66, v66
	ds_read_b32 v67, v67
	v_add_u32_e32 v68, 1, v65
	s_waitcnt lgkmcnt(0)
	v_cmp_lt_i32_e64 s[12:13], v67, v66
	s_nop 1
	v_cndmask_b32_e64 v4, v4, v65, s[12:13]
	v_cndmask_b32_e64 v64, v68, v64, s[12:13]
	v_cmp_ge_i32_e64 s[12:13], v64, v4
	s_or_b64 s[16:17], s[12:13], s[16:17]
	s_andn2_b64 exec, exec, s[16:17]
	s_cbranch_execnz .LBB13_20
; %bb.21:                               ;   in Loop: Header=BB13_2 Depth=1
	s_or_b64 exec, exec, s[16:17]
.LBB13_22:                              ;   in Loop: Header=BB13_2 Depth=1
	s_or_b64 exec, exec, s[14:15]
	v_sub_u32_e32 v4, v41, v64
	v_lshl_add_u32 v70, v64, 2, v27
	v_lshlrev_b32_e32 v69, 2, v4
	ds_read_b32 v65, v70
	ds_read_b32 v66, v69
	v_add_u32_e32 v64, v64, v11
	v_cmp_le_i32_e64 s[14:15], v25, v64
	v_cmp_gt_i32_e64 s[12:13], v26, v4
                                        ; implicit-def: $vgpr67
                                        ; implicit-def: $vgpr68
	s_waitcnt lgkmcnt(0)
	v_cmp_lt_i32_e64 s[16:17], v66, v65
	s_or_b64 s[14:15], s[14:15], s[16:17]
	s_and_b64 s[12:13], s[12:13], s[14:15]
	s_xor_b64 s[14:15], s[12:13], -1
	s_and_saveexec_b64 s[16:17], s[14:15]
	s_xor_b64 s[14:15], exec, s[16:17]
	s_cbranch_execz .LBB13_24
; %bb.23:                               ;   in Loop: Header=BB13_2 Depth=1
	ds_read_b32 v68, v70 offset:4
	v_mov_b32_e32 v67, v66
                                        ; implicit-def: $vgpr69
.LBB13_24:                              ;   in Loop: Header=BB13_2 Depth=1
	s_andn2_saveexec_b64 s[14:15], s[14:15]
	s_cbranch_execz .LBB13_26
; %bb.25:                               ;   in Loop: Header=BB13_2 Depth=1
	ds_read_b32 v67, v69 offset:4
	s_waitcnt lgkmcnt(1)
	v_mov_b32_e32 v68, v65
.LBB13_26:                              ;   in Loop: Header=BB13_2 Depth=1
	s_or_b64 exec, exec, s[14:15]
	v_add_u32_e32 v69, 1, v64
	v_cndmask_b32_e64 v65, v65, v66, s[12:13]
	v_add_u32_e32 v66, 1, v4
	v_cndmask_b32_e64 v69, v69, v64, s[12:13]
	v_cndmask_b32_e64 v66, v4, v66, s[12:13]
	v_cmp_ge_i32_e64 s[14:15], v69, v25
	s_waitcnt lgkmcnt(0)
	v_cmp_lt_i32_e64 s[16:17], v67, v68
	v_cndmask_b32_e64 v4, v64, v4, s[12:13]
	v_cmp_lt_i32_e64 s[12:13], v66, v26
	s_or_b64 s[14:15], s[14:15], s[16:17]
	s_and_b64 s[12:13], s[12:13], s[14:15]
	v_cndmask_b32_e64 v66, v69, v66, s[12:13]
	s_barrier
	ds_write2_b32 v6, v2, v3 offset1:1
	v_lshlrev_b32_e32 v2, 2, v4
	v_lshlrev_b32_e32 v3, 2, v66
	s_waitcnt lgkmcnt(0)
	s_barrier
	ds_read_b32 v2, v2
	ds_read_b32 v3, v3
	v_cndmask_b32_e64 v64, v68, v67, s[12:13]
	s_waitcnt lgkmcnt(0)
	s_barrier
	ds_write2_b32 v6, v65, v64 offset1:1
	v_mov_b32_e32 v64, v52
	s_waitcnt lgkmcnt(0)
	s_barrier
	s_and_saveexec_b64 s[14:15], s[4:5]
	s_cbranch_execz .LBB13_30
; %bb.27:                               ;   in Loop: Header=BB13_2 Depth=1
	s_mov_b64 s[16:17], 0
	v_mov_b32_e32 v64, v52
	v_mov_b32_e32 v4, v47
.LBB13_28:                              ;   Parent Loop BB13_2 Depth=1
                                        ; =>  This Inner Loop Header: Depth=2
	v_sub_u32_e32 v65, v4, v64
	v_lshrrev_b32_e32 v66, 31, v65
	v_add_u32_e32 v65, v65, v66
	v_ashrrev_i32_e32 v65, 1, v65
	v_add_u32_e32 v65, v65, v64
	v_xad_u32 v67, v65, -1, v14
	v_lshl_add_u32 v66, v65, 2, v30
	v_lshl_add_u32 v67, v67, 2, v42
	ds_read_b32 v66, v66
	ds_read_b32 v67, v67
	v_add_u32_e32 v68, 1, v65
	s_waitcnt lgkmcnt(0)
	v_cmp_lt_i32_e64 s[12:13], v67, v66
	s_nop 1
	v_cndmask_b32_e64 v4, v4, v65, s[12:13]
	v_cndmask_b32_e64 v64, v68, v64, s[12:13]
	v_cmp_ge_i32_e64 s[12:13], v64, v4
	s_or_b64 s[16:17], s[12:13], s[16:17]
	s_andn2_b64 exec, exec, s[16:17]
	s_cbranch_execnz .LBB13_28
; %bb.29:                               ;   in Loop: Header=BB13_2 Depth=1
	s_or_b64 exec, exec, s[16:17]
.LBB13_30:                              ;   in Loop: Header=BB13_2 Depth=1
	s_or_b64 exec, exec, s[14:15]
	v_sub_u32_e32 v4, v43, v64
	v_lshl_add_u32 v70, v64, 2, v30
	v_lshlrev_b32_e32 v69, 2, v4
	ds_read_b32 v65, v70
	ds_read_b32 v66, v69
	v_add_u32_e32 v64, v64, v13
	v_cmp_le_i32_e64 s[14:15], v28, v64
	v_cmp_gt_i32_e64 s[12:13], v29, v4
                                        ; implicit-def: $vgpr67
                                        ; implicit-def: $vgpr68
	s_waitcnt lgkmcnt(0)
	v_cmp_lt_i32_e64 s[16:17], v66, v65
	s_or_b64 s[14:15], s[14:15], s[16:17]
	s_and_b64 s[12:13], s[12:13], s[14:15]
	s_xor_b64 s[14:15], s[12:13], -1
	s_and_saveexec_b64 s[16:17], s[14:15]
	s_xor_b64 s[14:15], exec, s[16:17]
	s_cbranch_execz .LBB13_32
; %bb.31:                               ;   in Loop: Header=BB13_2 Depth=1
	ds_read_b32 v68, v70 offset:4
	v_mov_b32_e32 v67, v66
                                        ; implicit-def: $vgpr69
.LBB13_32:                              ;   in Loop: Header=BB13_2 Depth=1
	s_andn2_saveexec_b64 s[14:15], s[14:15]
	s_cbranch_execz .LBB13_34
; %bb.33:                               ;   in Loop: Header=BB13_2 Depth=1
	ds_read_b32 v67, v69 offset:4
	s_waitcnt lgkmcnt(1)
	v_mov_b32_e32 v68, v65
.LBB13_34:                              ;   in Loop: Header=BB13_2 Depth=1
	s_or_b64 exec, exec, s[14:15]
	v_add_u32_e32 v69, 1, v64
	v_cndmask_b32_e64 v65, v65, v66, s[12:13]
	v_add_u32_e32 v66, 1, v4
	v_cndmask_b32_e64 v69, v69, v64, s[12:13]
	v_cndmask_b32_e64 v66, v4, v66, s[12:13]
	v_cmp_ge_i32_e64 s[14:15], v69, v28
	s_waitcnt lgkmcnt(0)
	v_cmp_lt_i32_e64 s[16:17], v67, v68
	v_cndmask_b32_e64 v4, v64, v4, s[12:13]
	v_cmp_lt_i32_e64 s[12:13], v66, v29
	s_or_b64 s[14:15], s[14:15], s[16:17]
	s_and_b64 s[12:13], s[12:13], s[14:15]
	v_cndmask_b32_e64 v66, v69, v66, s[12:13]
	s_barrier
	ds_write2_b32 v6, v2, v3 offset1:1
	v_lshlrev_b32_e32 v2, 2, v4
	v_lshlrev_b32_e32 v3, 2, v66
	s_waitcnt lgkmcnt(0)
	s_barrier
	ds_read_b32 v2, v2
	ds_read_b32 v3, v3
	v_cndmask_b32_e64 v64, v68, v67, s[12:13]
	s_waitcnt lgkmcnt(0)
	s_barrier
	ds_write2_b32 v6, v65, v64 offset1:1
	v_mov_b32_e32 v64, v53
	s_waitcnt lgkmcnt(0)
	s_barrier
	s_and_saveexec_b64 s[14:15], s[6:7]
	s_cbranch_execz .LBB13_38
; %bb.35:                               ;   in Loop: Header=BB13_2 Depth=1
	s_mov_b64 s[16:17], 0
	v_mov_b32_e32 v64, v53
	v_mov_b32_e32 v4, v48
.LBB13_36:                              ;   Parent Loop BB13_2 Depth=1
                                        ; =>  This Inner Loop Header: Depth=2
	v_sub_u32_e32 v65, v4, v64
	v_lshrrev_b32_e32 v66, 31, v65
	v_add_u32_e32 v65, v65, v66
	v_ashrrev_i32_e32 v65, 1, v65
	v_add_u32_e32 v65, v65, v64
	v_xad_u32 v67, v65, -1, v16
	v_lshl_add_u32 v66, v65, 2, v33
	v_lshl_add_u32 v67, v67, 2, v58
	ds_read_b32 v66, v66
	ds_read_b32 v67, v67
	v_add_u32_e32 v68, 1, v65
	s_waitcnt lgkmcnt(0)
	v_cmp_lt_i32_e64 s[12:13], v67, v66
	s_nop 1
	v_cndmask_b32_e64 v4, v4, v65, s[12:13]
	v_cndmask_b32_e64 v64, v68, v64, s[12:13]
	v_cmp_ge_i32_e64 s[12:13], v64, v4
	s_or_b64 s[16:17], s[12:13], s[16:17]
	s_andn2_b64 exec, exec, s[16:17]
	s_cbranch_execnz .LBB13_36
; %bb.37:                               ;   in Loop: Header=BB13_2 Depth=1
	s_or_b64 exec, exec, s[16:17]
.LBB13_38:                              ;   in Loop: Header=BB13_2 Depth=1
	s_or_b64 exec, exec, s[14:15]
	v_sub_u32_e32 v4, v59, v64
	v_lshl_add_u32 v70, v64, 2, v33
	v_lshlrev_b32_e32 v69, 2, v4
	ds_read_b32 v65, v70
	ds_read_b32 v66, v69
	v_add_u32_e32 v64, v64, v15
	v_cmp_le_i32_e64 s[14:15], v31, v64
	v_cmp_gt_i32_e64 s[12:13], v32, v4
                                        ; implicit-def: $vgpr67
                                        ; implicit-def: $vgpr68
	s_waitcnt lgkmcnt(0)
	v_cmp_lt_i32_e64 s[16:17], v66, v65
	s_or_b64 s[14:15], s[14:15], s[16:17]
	s_and_b64 s[12:13], s[12:13], s[14:15]
	s_xor_b64 s[14:15], s[12:13], -1
	s_and_saveexec_b64 s[16:17], s[14:15]
	s_xor_b64 s[14:15], exec, s[16:17]
	s_cbranch_execz .LBB13_40
; %bb.39:                               ;   in Loop: Header=BB13_2 Depth=1
	ds_read_b32 v68, v70 offset:4
	v_mov_b32_e32 v67, v66
                                        ; implicit-def: $vgpr69
.LBB13_40:                              ;   in Loop: Header=BB13_2 Depth=1
	s_andn2_saveexec_b64 s[14:15], s[14:15]
	s_cbranch_execz .LBB13_42
; %bb.41:                               ;   in Loop: Header=BB13_2 Depth=1
	ds_read_b32 v67, v69 offset:4
	s_waitcnt lgkmcnt(1)
	v_mov_b32_e32 v68, v65
.LBB13_42:                              ;   in Loop: Header=BB13_2 Depth=1
	s_or_b64 exec, exec, s[14:15]
	v_add_u32_e32 v69, 1, v64
	v_cndmask_b32_e64 v65, v65, v66, s[12:13]
	v_add_u32_e32 v66, 1, v4
	v_cndmask_b32_e64 v69, v69, v64, s[12:13]
	v_cndmask_b32_e64 v66, v4, v66, s[12:13]
	v_cmp_ge_i32_e64 s[14:15], v69, v31
	s_waitcnt lgkmcnt(0)
	v_cmp_lt_i32_e64 s[16:17], v67, v68
	v_cndmask_b32_e64 v4, v64, v4, s[12:13]
	v_cmp_lt_i32_e64 s[12:13], v66, v32
	s_or_b64 s[14:15], s[14:15], s[16:17]
	s_and_b64 s[12:13], s[12:13], s[14:15]
	v_cndmask_b32_e64 v66, v69, v66, s[12:13]
	s_barrier
	ds_write2_b32 v6, v2, v3 offset1:1
	v_lshlrev_b32_e32 v2, 2, v4
	v_lshlrev_b32_e32 v3, 2, v66
	s_waitcnt lgkmcnt(0)
	s_barrier
	ds_read_b32 v2, v2
	ds_read_b32 v3, v3
	v_cndmask_b32_e64 v64, v68, v67, s[12:13]
	s_waitcnt lgkmcnt(0)
	s_barrier
	ds_write2_b32 v6, v65, v64 offset1:1
	v_mov_b32_e32 v64, v54
	s_waitcnt lgkmcnt(0)
	s_barrier
	s_and_saveexec_b64 s[14:15], s[8:9]
	s_cbranch_execz .LBB13_46
; %bb.43:                               ;   in Loop: Header=BB13_2 Depth=1
	s_mov_b64 s[16:17], 0
	v_mov_b32_e32 v64, v54
	v_mov_b32_e32 v4, v55
.LBB13_44:                              ;   Parent Loop BB13_2 Depth=1
                                        ; =>  This Inner Loop Header: Depth=2
	v_sub_u32_e32 v65, v4, v64
	v_lshrrev_b32_e32 v66, 31, v65
	v_add_u32_e32 v65, v65, v66
	v_ashrrev_i32_e32 v65, 1, v65
	v_add_u32_e32 v65, v65, v64
	v_xad_u32 v67, v65, -1, v18
	v_lshl_add_u32 v66, v65, 2, v60
	v_lshl_add_u32 v67, v67, 2, v61
	ds_read_b32 v66, v66
	ds_read_b32 v67, v67
	v_add_u32_e32 v68, 1, v65
	s_waitcnt lgkmcnt(0)
	v_cmp_lt_i32_e64 s[12:13], v67, v66
	s_nop 1
	v_cndmask_b32_e64 v4, v4, v65, s[12:13]
	v_cndmask_b32_e64 v64, v68, v64, s[12:13]
	v_cmp_ge_i32_e64 s[12:13], v64, v4
	s_or_b64 s[16:17], s[12:13], s[16:17]
	s_andn2_b64 exec, exec, s[16:17]
	s_cbranch_execnz .LBB13_44
; %bb.45:                               ;   in Loop: Header=BB13_2 Depth=1
	s_or_b64 exec, exec, s[16:17]
.LBB13_46:                              ;   in Loop: Header=BB13_2 Depth=1
	s_or_b64 exec, exec, s[14:15]
	v_sub_u32_e32 v4, v62, v64
	v_lshl_add_u32 v70, v64, 2, v60
	v_lshlrev_b32_e32 v69, 2, v4
	ds_read_b32 v65, v70
	ds_read_b32 v66, v69
	v_add_u32_e32 v64, v64, v17
	v_cmp_le_i32_e64 s[14:15], v34, v64
	v_cmp_gt_i32_e64 s[12:13], v35, v4
                                        ; implicit-def: $vgpr67
                                        ; implicit-def: $vgpr68
	s_waitcnt lgkmcnt(0)
	v_cmp_lt_i32_e64 s[16:17], v66, v65
	s_or_b64 s[14:15], s[14:15], s[16:17]
	s_and_b64 s[12:13], s[12:13], s[14:15]
	s_xor_b64 s[14:15], s[12:13], -1
	s_and_saveexec_b64 s[16:17], s[14:15]
	s_xor_b64 s[14:15], exec, s[16:17]
	s_cbranch_execz .LBB13_48
; %bb.47:                               ;   in Loop: Header=BB13_2 Depth=1
	ds_read_b32 v68, v70 offset:4
	v_mov_b32_e32 v67, v66
                                        ; implicit-def: $vgpr69
.LBB13_48:                              ;   in Loop: Header=BB13_2 Depth=1
	s_andn2_saveexec_b64 s[14:15], s[14:15]
	s_cbranch_execz .LBB13_50
; %bb.49:                               ;   in Loop: Header=BB13_2 Depth=1
	ds_read_b32 v67, v69 offset:4
	s_waitcnt lgkmcnt(1)
	v_mov_b32_e32 v68, v65
.LBB13_50:                              ;   in Loop: Header=BB13_2 Depth=1
	s_or_b64 exec, exec, s[14:15]
	v_add_u32_e32 v69, 1, v64
	v_cndmask_b32_e64 v66, v65, v66, s[12:13]
	v_add_u32_e32 v65, 1, v4
	v_cndmask_b32_e64 v69, v69, v64, s[12:13]
	v_cndmask_b32_e64 v65, v4, v65, s[12:13]
	v_cmp_ge_i32_e64 s[14:15], v69, v34
	s_waitcnt lgkmcnt(0)
	v_cmp_lt_i32_e64 s[16:17], v67, v68
	v_cndmask_b32_e64 v4, v64, v4, s[12:13]
	v_cmp_lt_i32_e64 s[12:13], v65, v35
	s_or_b64 s[14:15], s[14:15], s[16:17]
	s_and_b64 s[12:13], s[12:13], s[14:15]
	v_cndmask_b32_e64 v64, v69, v65, s[12:13]
	s_barrier
	ds_write2_b32 v6, v2, v3 offset1:1
	v_lshlrev_b32_e32 v2, 2, v4
	s_waitcnt lgkmcnt(0)
	s_barrier
	v_lshlrev_b32_e32 v3, 2, v64
	ds_read_b32 v64, v2
	ds_read_b32 v65, v3
	v_cndmask_b32_e64 v67, v68, v67, s[12:13]
	v_mov_b32_e32 v2, v56
	s_waitcnt lgkmcnt(0)
	s_barrier
	ds_write2_b32 v6, v66, v67 offset1:1
	s_waitcnt lgkmcnt(0)
	s_barrier
	s_and_saveexec_b64 s[14:15], s[10:11]
	s_cbranch_execz .LBB13_54
; %bb.51:                               ;   in Loop: Header=BB13_2 Depth=1
	s_mov_b64 s[16:17], 0
	v_mov_b32_e32 v2, v56
	v_mov_b32_e32 v3, v57
.LBB13_52:                              ;   Parent Loop BB13_2 Depth=1
                                        ; =>  This Inner Loop Header: Depth=2
	v_sub_u32_e32 v4, v3, v2
	v_lshrrev_b32_e32 v66, 31, v4
	v_add_u32_e32 v4, v4, v66
	v_ashrrev_i32_e32 v4, 1, v4
	v_add_u32_e32 v4, v4, v2
	v_xad_u32 v67, v4, -1, v5
	v_mov_b32_e32 v68, 0x200
	v_lshlrev_b32_e32 v66, 2, v4
	v_lshl_add_u32 v67, v67, 2, v68
	ds_read_b32 v66, v66
	ds_read_b32 v67, v67
	v_add_u32_e32 v68, 1, v4
	s_waitcnt lgkmcnt(0)
	v_cmp_lt_i32_e64 s[12:13], v67, v66
	s_nop 1
	v_cndmask_b32_e64 v3, v3, v4, s[12:13]
	v_cndmask_b32_e64 v2, v68, v2, s[12:13]
	v_cmp_ge_i32_e64 s[12:13], v2, v3
	s_or_b64 s[16:17], s[12:13], s[16:17]
	s_andn2_b64 exec, exec, s[16:17]
	s_cbranch_execnz .LBB13_52
; %bb.53:                               ;   in Loop: Header=BB13_2 Depth=1
	s_or_b64 exec, exec, s[16:17]
.LBB13_54:                              ;   in Loop: Header=BB13_2 Depth=1
	s_or_b64 exec, exec, s[14:15]
	v_sub_u32_e32 v4, v63, v2
	v_lshlrev_b32_e32 v71, 2, v2
	v_lshlrev_b32_e32 v70, 2, v4
	ds_read_b32 v66, v71
	ds_read_b32 v67, v70
	v_cmp_le_i32_e64 s[14:15], v1, v2
	v_cmp_gt_i32_e64 s[12:13], s20, v4
                                        ; implicit-def: $vgpr69
                                        ; implicit-def: $vgpr3
                                        ; implicit-def: $vgpr68
	s_waitcnt lgkmcnt(0)
	v_cmp_lt_i32_e64 s[16:17], v67, v66
	s_or_b64 s[14:15], s[14:15], s[16:17]
	s_and_b64 s[12:13], s[12:13], s[14:15]
	s_xor_b64 s[14:15], s[12:13], -1
	s_and_saveexec_b64 s[16:17], s[14:15]
	s_xor_b64 s[14:15], exec, s[16:17]
	s_cbranch_execz .LBB13_56
; %bb.55:                               ;   in Loop: Header=BB13_2 Depth=1
	ds_read_b32 v3, v71 offset:4
	v_add_u32_e32 v68, 1, v2
	v_mov_b32_e32 v69, v67
                                        ; implicit-def: $vgpr70
.LBB13_56:                              ;   in Loop: Header=BB13_2 Depth=1
	s_andn2_saveexec_b64 s[14:15], s[14:15]
	s_cbranch_execz .LBB13_1
; %bb.57:                               ;   in Loop: Header=BB13_2 Depth=1
	ds_read_b32 v69, v70 offset:4
	v_mov_b32_e32 v68, v2
	v_add_u32_e32 v70, 1, v4
	s_waitcnt lgkmcnt(1)
	v_mov_b64_e32 v[2:3], v[4:5]
	v_mov_b32_e32 v4, v70
	v_mov_b32_e32 v3, v66
	s_branch .LBB13_1
.LBB13_58:
	s_add_u32 s0, s22, s24
	s_waitcnt lgkmcnt(1)
	v_add_u32_e32 v1, v2, v4
	s_addc_u32 s1, s23, s25
	v_lshlrev_b32_e32 v0, 2, v0
	s_waitcnt lgkmcnt(0)
	v_add_u32_e32 v2, v3, v64
	global_store_dword v0, v1, s[0:1]
	global_store_dword v0, v2, s[0:1] offset:512
	s_endpgm
	.section	.rodata,"a",@progbits
	.p2align	6, 0x0
	.amdhsa_kernel _Z17sort_pairs_kernelIiLj128ELj2EN10test_utils4lessELj10EEvPKT_PS2_T2_
		.amdhsa_group_segment_fixed_size 1028
		.amdhsa_private_segment_fixed_size 0
		.amdhsa_kernarg_size 20
		.amdhsa_user_sgpr_count 2
		.amdhsa_user_sgpr_dispatch_ptr 0
		.amdhsa_user_sgpr_queue_ptr 0
		.amdhsa_user_sgpr_kernarg_segment_ptr 1
		.amdhsa_user_sgpr_dispatch_id 0
		.amdhsa_user_sgpr_kernarg_preload_length 0
		.amdhsa_user_sgpr_kernarg_preload_offset 0
		.amdhsa_user_sgpr_private_segment_size 0
		.amdhsa_uses_dynamic_stack 0
		.amdhsa_enable_private_segment 0
		.amdhsa_system_sgpr_workgroup_id_x 1
		.amdhsa_system_sgpr_workgroup_id_y 0
		.amdhsa_system_sgpr_workgroup_id_z 0
		.amdhsa_system_sgpr_workgroup_info 0
		.amdhsa_system_vgpr_workitem_id 0
		.amdhsa_next_free_vgpr 72
		.amdhsa_next_free_sgpr 28
		.amdhsa_accum_offset 72
		.amdhsa_reserve_vcc 1
		.amdhsa_float_round_mode_32 0
		.amdhsa_float_round_mode_16_64 0
		.amdhsa_float_denorm_mode_32 3
		.amdhsa_float_denorm_mode_16_64 3
		.amdhsa_dx10_clamp 1
		.amdhsa_ieee_mode 1
		.amdhsa_fp16_overflow 0
		.amdhsa_tg_split 0
		.amdhsa_exception_fp_ieee_invalid_op 0
		.amdhsa_exception_fp_denorm_src 0
		.amdhsa_exception_fp_ieee_div_zero 0
		.amdhsa_exception_fp_ieee_overflow 0
		.amdhsa_exception_fp_ieee_underflow 0
		.amdhsa_exception_fp_ieee_inexact 0
		.amdhsa_exception_int_div_zero 0
	.end_amdhsa_kernel
	.section	.text._Z17sort_pairs_kernelIiLj128ELj2EN10test_utils4lessELj10EEvPKT_PS2_T2_,"axG",@progbits,_Z17sort_pairs_kernelIiLj128ELj2EN10test_utils4lessELj10EEvPKT_PS2_T2_,comdat
.Lfunc_end13:
	.size	_Z17sort_pairs_kernelIiLj128ELj2EN10test_utils4lessELj10EEvPKT_PS2_T2_, .Lfunc_end13-_Z17sort_pairs_kernelIiLj128ELj2EN10test_utils4lessELj10EEvPKT_PS2_T2_
                                        ; -- End function
	.section	.AMDGPU.csdata,"",@progbits
; Kernel info:
; codeLenInByte = 3660
; NumSgprs: 34
; NumVgprs: 72
; NumAgprs: 0
; TotalNumVgprs: 72
; ScratchSize: 0
; MemoryBound: 0
; FloatMode: 240
; IeeeMode: 1
; LDSByteSize: 1028 bytes/workgroup (compile time only)
; SGPRBlocks: 4
; VGPRBlocks: 8
; NumSGPRsForWavesPerEU: 34
; NumVGPRsForWavesPerEU: 72
; AccumOffset: 72
; Occupancy: 7
; WaveLimiterHint : 1
; COMPUTE_PGM_RSRC2:SCRATCH_EN: 0
; COMPUTE_PGM_RSRC2:USER_SGPR: 2
; COMPUTE_PGM_RSRC2:TRAP_HANDLER: 0
; COMPUTE_PGM_RSRC2:TGID_X_EN: 1
; COMPUTE_PGM_RSRC2:TGID_Y_EN: 0
; COMPUTE_PGM_RSRC2:TGID_Z_EN: 0
; COMPUTE_PGM_RSRC2:TIDIG_COMP_CNT: 0
; COMPUTE_PGM_RSRC3_GFX90A:ACCUM_OFFSET: 17
; COMPUTE_PGM_RSRC3_GFX90A:TG_SPLIT: 0
	.section	.text._Z16sort_keys_kernelIiLj128ELj3EN10test_utils4lessELj10EEvPKT_PS2_T2_,"axG",@progbits,_Z16sort_keys_kernelIiLj128ELj3EN10test_utils4lessELj10EEvPKT_PS2_T2_,comdat
	.protected	_Z16sort_keys_kernelIiLj128ELj3EN10test_utils4lessELj10EEvPKT_PS2_T2_ ; -- Begin function _Z16sort_keys_kernelIiLj128ELj3EN10test_utils4lessELj10EEvPKT_PS2_T2_
	.globl	_Z16sort_keys_kernelIiLj128ELj3EN10test_utils4lessELj10EEvPKT_PS2_T2_
	.p2align	8
	.type	_Z16sort_keys_kernelIiLj128ELj3EN10test_utils4lessELj10EEvPKT_PS2_T2_,@function
_Z16sort_keys_kernelIiLj128ELj3EN10test_utils4lessELj10EEvPKT_PS2_T2_: ; @_Z16sort_keys_kernelIiLj128ELj3EN10test_utils4lessELj10EEvPKT_PS2_T2_
; %bb.0:
	s_load_dwordx4 s[20:23], s[0:1], 0x0
	s_mul_i32 s24, s2, 0x180
	s_mov_b32 s25, 0
	s_lshl_b64 s[26:27], s[24:25], 2
	v_lshlrev_b32_e32 v1, 2, v0
	s_waitcnt lgkmcnt(0)
	s_add_u32 s0, s20, s26
	s_addc_u32 s1, s21, s27
	global_load_dword v62, v1, s[0:1]
	global_load_dword v63, v1, s[0:1] offset:512
	global_load_dword v64, v1, s[0:1] offset:1024
	v_and_b32_e32 v2, 0x7e, v0
	v_mul_u32_u24_e32 v5, 3, v2
	v_and_b32_e32 v2, 1, v0
	v_min_u32_e32 v3, 0x180, v5
	v_min_u32_e32 v48, 0x17d, v5
	v_min_u32_e32 v5, 0x17a, v5
	v_cmp_eq_u32_e32 vcc, 1, v2
	v_add_u32_e32 v4, 3, v48
	v_add_u32_e32 v5, 6, v5
	v_cndmask_b32_e64 v2, 0, 3, vcc
	v_sub_u32_e32 v6, v5, v4
	v_sub_u32_e32 v8, v2, v6
	v_cmp_ge_i32_e32 vcc, v2, v6
	v_and_b32_e32 v14, 3, v0
	v_and_b32_e32 v21, 7, v0
	v_cndmask_b32_e32 v6, 0, v8, vcc
	v_and_b32_e32 v8, 0x7c, v0
	v_mul_u32_u24_e32 v11, 3, v8
	v_min_u32_e32 v9, 0x180, v11
	v_min_u32_e32 v49, 0x17a, v11
	;; [unrolled: 1-line block ×3, first 2 shown]
	v_add_u32_e32 v10, 6, v49
	v_add_u32_e32 v11, 12, v11
	v_mul_u32_u24_e32 v8, 3, v14
	v_sub_u32_e32 v12, v11, v10
	v_sub_u32_e32 v15, v8, v12
	v_cmp_ge_i32_e64 s[0:1], v8, v12
	v_and_b32_e32 v28, 15, v0
	v_and_b32_e32 v35, 31, v0
	v_cndmask_b32_e64 v12, 0, v15, s[0:1]
	v_and_b32_e32 v15, 0x78, v0
	v_mul_u32_u24_e32 v18, 3, v15
	v_min_u32_e32 v16, 0x180, v18
	v_min_u32_e32 v50, 0x174, v18
	;; [unrolled: 1-line block ×3, first 2 shown]
	v_add_u32_e32 v17, 12, v50
	v_add_u32_e32 v18, 24, v18
	v_mul_u32_u24_e32 v15, 3, v21
	v_sub_u32_e32 v19, v18, v17
	v_sub_u32_e32 v22, v15, v19
	v_cmp_ge_i32_e64 s[2:3], v15, v19
	v_mov_b32_e32 v42, 0x60
	v_and_b32_e32 v44, 63, v0
	v_cndmask_b32_e64 v19, 0, v22, s[2:3]
	v_and_b32_e32 v22, 0x70, v0
	v_mul_u32_u24_e32 v25, 3, v22
	v_min_u32_e32 v23, 0x180, v25
	v_min_u32_e32 v40, 0x168, v25
	;; [unrolled: 1-line block ×3, first 2 shown]
	v_add_u32_e32 v24, 24, v40
	v_add_u32_e32 v25, 48, v25
	v_mul_u32_u24_e32 v22, 3, v28
	v_sub_u32_e32 v26, v25, v24
	v_sub_u32_e32 v29, v22, v26
	v_cmp_ge_i32_e64 s[4:5], v22, v26
	v_lshl_add_u32 v40, v40, 2, v42
	v_mov_b32_e32 v42, 0x180
	v_cndmask_b32_e64 v26, 0, v29, s[4:5]
	v_and_b32_e32 v29, 0x60, v0
	v_mul_u32_u24_e32 v32, 3, v29
	v_min_u32_e32 v30, 0x180, v32
	v_min_u32_e32 v51, 0x150, v32
	;; [unrolled: 1-line block ×3, first 2 shown]
	v_add_u32_e32 v31, 48, v51
	v_add_u32_e32 v32, 0x60, v32
	v_mul_u32_u24_e32 v29, 3, v35
	v_sub_u32_e32 v33, v32, v31
	v_sub_u32_e32 v36, v29, v33
	v_cmp_ge_i32_e64 s[6:7], v29, v33
	v_mul_u32_u24_e32 v1, 3, v0
	v_sub_u32_e32 v7, v4, v3
	v_cndmask_b32_e64 v33, 0, v36, s[6:7]
	v_and_b32_e32 v36, 64, v0
	v_mul_u32_u24_e32 v39, 3, v36
	v_min_u32_e32 v37, 0x180, v39
	v_min_u32_e32 v41, 0x120, v39
	;; [unrolled: 1-line block ×3, first 2 shown]
	v_add_u32_e32 v38, 0x60, v41
	v_add_u32_e32 v39, 0xc0, v39
	v_mul_u32_u24_e32 v36, 3, v44
	v_lshl_add_u32 v41, v41, 2, v42
	v_sub_u32_e32 v42, v39, v38
	v_sub_u32_e32 v45, v36, v42
	v_cmp_ge_i32_e64 s[8:9], v36, v42
	v_sub_u32_e32 v13, v10, v9
	v_sub_u32_e32 v20, v17, v16
	;; [unrolled: 1-line block ×5, first 2 shown]
	v_cndmask_b32_e64 v42, 0, v45, s[8:9]
	v_mov_b32_e32 v45, 0xc0
	v_min_i32_e32 v7, v2, v7
	v_min_i32_e32 v13, v8, v13
	;; [unrolled: 1-line block ×6, first 2 shown]
	v_sub_u32_e64 v46, v1, v45 clamp
	v_min_i32_e32 v47, 0xc0, v1
	s_movk_i32 s28, 0x180
	v_cmp_lt_i32_e32 vcc, v6, v7
	v_cmp_lt_i32_e64 s[0:1], v12, v13
	v_mad_u32_u24 v14, v14, 3, v10
	v_cmp_lt_i32_e64 s[2:3], v19, v20
	v_mad_u32_u24 v21, v21, 3, v17
	;; [unrolled: 2-line block ×5, first 2 shown]
	v_cmp_lt_i32_e64 s[10:11], v46, v47
	v_lshl_add_u32 v48, v48, 2, 12
	v_lshl_add_u32 v49, v49, 2, 24
	;; [unrolled: 1-line block ×4, first 2 shown]
	v_lshlrev_b32_e32 v52, 2, v1
	v_lshlrev_b32_e32 v53, 2, v3
	v_add_u32_e32 v54, v4, v2
	v_lshlrev_b32_e32 v55, 2, v9
	v_lshlrev_b32_e32 v56, 2, v16
	;; [unrolled: 1-line block ×5, first 2 shown]
	v_mad_u32_u24 v60, v0, 3, v45
	v_mov_b32_e32 v61, 0x300
	s_branch .LBB14_2
.LBB14_1:                               ;   in Loop: Header=BB14_2 Depth=1
	s_or_b64 exec, exec, s[16:17]
	v_cndmask_b32_e64 v62, v62, v63, s[12:13]
	v_cndmask_b32_e64 v63, v66, v65, s[14:15]
	v_cmp_ge_i32_e64 s[14:15], v69, v45
	s_waitcnt lgkmcnt(0)
	v_cmp_lt_i32_e64 s[16:17], v70, v64
	v_cmp_gt_i32_e64 s[12:13], s28, v67
	s_or_b64 s[14:15], s[14:15], s[16:17]
	s_add_i32 s25, s25, 1
	s_and_b64 s[12:13], s[12:13], s[14:15]
	s_cmp_eq_u32 s25, 10
	v_cndmask_b32_e64 v64, v64, v70, s[12:13]
	s_cbranch_scc1 .LBB14_86
.LBB14_2:                               ; =>This Loop Header: Depth=1
                                        ;     Child Loop BB14_4 Depth 2
                                        ;     Child Loop BB14_16 Depth 2
	;; [unrolled: 1-line block ×7, first 2 shown]
	s_waitcnt vmcnt(1)
	v_cmp_lt_i32_e64 s[12:13], v63, v62
	v_min_i32_e32 v67, v63, v62
	s_nop 0
	v_cndmask_b32_e64 v65, v62, v63, s[12:13]
	v_cndmask_b32_e64 v66, v63, v62, s[12:13]
	v_max_i32_e32 v62, v63, v62
	s_waitcnt vmcnt(0)
	v_cmp_lt_i32_e64 s[12:13], v64, v62
	s_barrier
	s_nop 0
	v_cndmask_b32_e64 v63, v64, v62, s[12:13]
	v_cndmask_b32_e64 v66, v66, v64, s[12:13]
	v_min_i32_e32 v62, v64, v62
	v_cmp_lt_i32_e64 s[12:13], v64, v67
	s_nop 1
	v_cndmask_b32_e64 v62, v65, v62, s[12:13]
	v_cndmask_b32_e64 v64, v66, v67, s[12:13]
	ds_write2_b32 v52, v62, v64 offset1:1
	ds_write_b32 v52, v63 offset:8
	v_mov_b32_e32 v64, v6
	s_waitcnt lgkmcnt(0)
	s_barrier
	s_and_saveexec_b64 s[14:15], vcc
	s_cbranch_execz .LBB14_6
; %bb.3:                                ;   in Loop: Header=BB14_2 Depth=1
	s_mov_b64 s[16:17], 0
	v_mov_b32_e32 v64, v6
	v_mov_b32_e32 v62, v7
.LBB14_4:                               ;   Parent Loop BB14_2 Depth=1
                                        ; =>  This Inner Loop Header: Depth=2
	v_sub_u32_e32 v63, v62, v64
	v_lshrrev_b32_e32 v65, 31, v63
	v_add_u32_e32 v63, v63, v65
	v_ashrrev_i32_e32 v63, 1, v63
	v_add_u32_e32 v63, v63, v64
	v_xad_u32 v66, v63, -1, v2
	v_lshl_add_u32 v65, v63, 2, v53
	v_lshl_add_u32 v66, v66, 2, v48
	ds_read_b32 v65, v65
	ds_read_b32 v66, v66
	v_add_u32_e32 v67, 1, v63
	s_waitcnt lgkmcnt(0)
	v_cmp_lt_i32_e64 s[12:13], v66, v65
	s_nop 1
	v_cndmask_b32_e64 v62, v62, v63, s[12:13]
	v_cndmask_b32_e64 v64, v67, v64, s[12:13]
	v_cmp_ge_i32_e64 s[12:13], v64, v62
	s_or_b64 s[16:17], s[12:13], s[16:17]
	s_andn2_b64 exec, exec, s[16:17]
	s_cbranch_execnz .LBB14_4
; %bb.5:                                ;   in Loop: Header=BB14_2 Depth=1
	s_or_b64 exec, exec, s[16:17]
.LBB14_6:                               ;   in Loop: Header=BB14_2 Depth=1
	s_or_b64 exec, exec, s[14:15]
	v_sub_u32_e32 v66, v54, v64
	v_lshl_add_u32 v69, v64, 2, v53
	v_lshlrev_b32_e32 v68, 2, v66
	ds_read_b32 v62, v69
	ds_read_b32 v63, v68
	v_add_u32_e32 v67, v64, v3
	v_cmp_le_i32_e64 s[14:15], v4, v67
	v_cmp_gt_i32_e64 s[12:13], v5, v66
                                        ; implicit-def: $vgpr64
                                        ; implicit-def: $vgpr65
	s_waitcnt lgkmcnt(0)
	v_cmp_lt_i32_e64 s[16:17], v63, v62
	s_or_b64 s[14:15], s[14:15], s[16:17]
	s_and_b64 s[12:13], s[12:13], s[14:15]
	s_xor_b64 s[14:15], s[12:13], -1
	s_and_saveexec_b64 s[16:17], s[14:15]
	s_xor_b64 s[14:15], exec, s[16:17]
	s_cbranch_execz .LBB14_8
; %bb.7:                                ;   in Loop: Header=BB14_2 Depth=1
	ds_read_b32 v65, v69 offset:4
	v_mov_b32_e32 v64, v63
                                        ; implicit-def: $vgpr68
.LBB14_8:                               ;   in Loop: Header=BB14_2 Depth=1
	s_andn2_saveexec_b64 s[14:15], s[14:15]
	s_cbranch_execz .LBB14_10
; %bb.9:                                ;   in Loop: Header=BB14_2 Depth=1
	ds_read_b32 v64, v68 offset:4
	s_waitcnt lgkmcnt(1)
	v_mov_b32_e32 v65, v62
.LBB14_10:                              ;   in Loop: Header=BB14_2 Depth=1
	s_or_b64 exec, exec, s[14:15]
	v_add_u32_e32 v69, 1, v67
	v_add_u32_e32 v68, 1, v66
	v_cndmask_b32_e64 v67, v69, v67, s[12:13]
	v_cndmask_b32_e64 v66, v66, v68, s[12:13]
	v_cmp_ge_i32_e64 s[16:17], v67, v4
	s_waitcnt lgkmcnt(0)
	v_cmp_lt_i32_e64 s[18:19], v64, v65
	v_cmp_lt_i32_e64 s[14:15], v66, v5
	s_or_b64 s[16:17], s[16:17], s[18:19]
	s_and_b64 s[14:15], s[14:15], s[16:17]
	s_xor_b64 s[16:17], s[14:15], -1
                                        ; implicit-def: $vgpr68
	s_and_saveexec_b64 s[18:19], s[16:17]
	s_xor_b64 s[16:17], exec, s[18:19]
	s_cbranch_execz .LBB14_12
; %bb.11:                               ;   in Loop: Header=BB14_2 Depth=1
	v_lshlrev_b32_e32 v68, 2, v67
	ds_read_b32 v68, v68 offset:4
.LBB14_12:                              ;   in Loop: Header=BB14_2 Depth=1
	s_or_saveexec_b64 s[16:17], s[16:17]
	v_mov_b32_e32 v69, v64
	s_xor_b64 exec, exec, s[16:17]
	s_cbranch_execz .LBB14_14
; %bb.13:                               ;   in Loop: Header=BB14_2 Depth=1
	s_waitcnt lgkmcnt(0)
	v_lshlrev_b32_e32 v68, 2, v66
	ds_read_b32 v69, v68 offset:4
	v_mov_b32_e32 v68, v65
.LBB14_14:                              ;   in Loop: Header=BB14_2 Depth=1
	s_or_b64 exec, exec, s[16:17]
	v_cndmask_b32_e64 v64, v65, v64, s[14:15]
	v_add_u32_e32 v65, 1, v66
	v_add_u32_e32 v70, 1, v67
	v_cndmask_b32_e64 v65, v66, v65, s[14:15]
	v_cndmask_b32_e64 v66, v70, v67, s[14:15]
	v_cmp_ge_i32_e64 s[14:15], v66, v4
	s_waitcnt lgkmcnt(0)
	v_cmp_lt_i32_e64 s[16:17], v69, v68
	v_cndmask_b32_e64 v62, v62, v63, s[12:13]
	v_cmp_lt_i32_e64 s[12:13], v65, v5
	s_or_b64 s[14:15], s[14:15], s[16:17]
	s_and_b64 s[12:13], s[12:13], s[14:15]
	v_cndmask_b32_e64 v63, v68, v69, s[12:13]
	s_barrier
	ds_write2_b32 v52, v62, v64 offset1:1
	ds_write_b32 v52, v63 offset:8
	v_mov_b32_e32 v64, v12
	s_waitcnt lgkmcnt(0)
	s_barrier
	s_and_saveexec_b64 s[14:15], s[0:1]
	s_cbranch_execz .LBB14_18
; %bb.15:                               ;   in Loop: Header=BB14_2 Depth=1
	s_mov_b64 s[16:17], 0
	v_mov_b32_e32 v64, v12
	v_mov_b32_e32 v62, v13
.LBB14_16:                              ;   Parent Loop BB14_2 Depth=1
                                        ; =>  This Inner Loop Header: Depth=2
	v_sub_u32_e32 v63, v62, v64
	v_lshrrev_b32_e32 v65, 31, v63
	v_add_u32_e32 v63, v63, v65
	v_ashrrev_i32_e32 v63, 1, v63
	v_add_u32_e32 v63, v63, v64
	v_xad_u32 v66, v63, -1, v8
	v_lshl_add_u32 v65, v63, 2, v55
	v_lshl_add_u32 v66, v66, 2, v49
	ds_read_b32 v65, v65
	ds_read_b32 v66, v66
	v_add_u32_e32 v67, 1, v63
	s_waitcnt lgkmcnt(0)
	v_cmp_lt_i32_e64 s[12:13], v66, v65
	s_nop 1
	v_cndmask_b32_e64 v62, v62, v63, s[12:13]
	v_cndmask_b32_e64 v64, v67, v64, s[12:13]
	v_cmp_ge_i32_e64 s[12:13], v64, v62
	s_or_b64 s[16:17], s[12:13], s[16:17]
	s_andn2_b64 exec, exec, s[16:17]
	s_cbranch_execnz .LBB14_16
; %bb.17:                               ;   in Loop: Header=BB14_2 Depth=1
	s_or_b64 exec, exec, s[16:17]
.LBB14_18:                              ;   in Loop: Header=BB14_2 Depth=1
	s_or_b64 exec, exec, s[14:15]
	v_sub_u32_e32 v66, v14, v64
	v_lshl_add_u32 v69, v64, 2, v55
	v_lshlrev_b32_e32 v68, 2, v66
	ds_read_b32 v62, v69
	ds_read_b32 v63, v68
	v_add_u32_e32 v67, v64, v9
	v_cmp_le_i32_e64 s[14:15], v10, v67
	v_cmp_gt_i32_e64 s[12:13], v11, v66
                                        ; implicit-def: $vgpr64
                                        ; implicit-def: $vgpr65
	s_waitcnt lgkmcnt(0)
	v_cmp_lt_i32_e64 s[16:17], v63, v62
	s_or_b64 s[14:15], s[14:15], s[16:17]
	s_and_b64 s[12:13], s[12:13], s[14:15]
	s_xor_b64 s[14:15], s[12:13], -1
	s_and_saveexec_b64 s[16:17], s[14:15]
	s_xor_b64 s[14:15], exec, s[16:17]
	s_cbranch_execz .LBB14_20
; %bb.19:                               ;   in Loop: Header=BB14_2 Depth=1
	ds_read_b32 v65, v69 offset:4
	v_mov_b32_e32 v64, v63
                                        ; implicit-def: $vgpr68
.LBB14_20:                              ;   in Loop: Header=BB14_2 Depth=1
	s_andn2_saveexec_b64 s[14:15], s[14:15]
	s_cbranch_execz .LBB14_22
; %bb.21:                               ;   in Loop: Header=BB14_2 Depth=1
	ds_read_b32 v64, v68 offset:4
	s_waitcnt lgkmcnt(1)
	v_mov_b32_e32 v65, v62
.LBB14_22:                              ;   in Loop: Header=BB14_2 Depth=1
	s_or_b64 exec, exec, s[14:15]
	v_add_u32_e32 v69, 1, v67
	v_add_u32_e32 v68, 1, v66
	v_cndmask_b32_e64 v67, v69, v67, s[12:13]
	v_cndmask_b32_e64 v66, v66, v68, s[12:13]
	v_cmp_ge_i32_e64 s[16:17], v67, v10
	s_waitcnt lgkmcnt(0)
	v_cmp_lt_i32_e64 s[18:19], v64, v65
	v_cmp_lt_i32_e64 s[14:15], v66, v11
	s_or_b64 s[16:17], s[16:17], s[18:19]
	s_and_b64 s[14:15], s[14:15], s[16:17]
	s_xor_b64 s[16:17], s[14:15], -1
                                        ; implicit-def: $vgpr68
	s_and_saveexec_b64 s[18:19], s[16:17]
	s_xor_b64 s[16:17], exec, s[18:19]
	s_cbranch_execz .LBB14_24
; %bb.23:                               ;   in Loop: Header=BB14_2 Depth=1
	v_lshlrev_b32_e32 v68, 2, v67
	ds_read_b32 v68, v68 offset:4
.LBB14_24:                              ;   in Loop: Header=BB14_2 Depth=1
	s_or_saveexec_b64 s[16:17], s[16:17]
	v_mov_b32_e32 v69, v64
	s_xor_b64 exec, exec, s[16:17]
	s_cbranch_execz .LBB14_26
; %bb.25:                               ;   in Loop: Header=BB14_2 Depth=1
	s_waitcnt lgkmcnt(0)
	v_lshlrev_b32_e32 v68, 2, v66
	ds_read_b32 v69, v68 offset:4
	v_mov_b32_e32 v68, v65
.LBB14_26:                              ;   in Loop: Header=BB14_2 Depth=1
	s_or_b64 exec, exec, s[16:17]
	v_cndmask_b32_e64 v64, v65, v64, s[14:15]
	v_add_u32_e32 v65, 1, v66
	v_add_u32_e32 v70, 1, v67
	v_cndmask_b32_e64 v65, v66, v65, s[14:15]
	v_cndmask_b32_e64 v66, v70, v67, s[14:15]
	v_cmp_ge_i32_e64 s[14:15], v66, v10
	s_waitcnt lgkmcnt(0)
	v_cmp_lt_i32_e64 s[16:17], v69, v68
	v_cndmask_b32_e64 v62, v62, v63, s[12:13]
	v_cmp_lt_i32_e64 s[12:13], v65, v11
	s_or_b64 s[14:15], s[14:15], s[16:17]
	s_and_b64 s[12:13], s[12:13], s[14:15]
	v_cndmask_b32_e64 v63, v68, v69, s[12:13]
	s_barrier
	ds_write2_b32 v52, v62, v64 offset1:1
	ds_write_b32 v52, v63 offset:8
	v_mov_b32_e32 v64, v19
	s_waitcnt lgkmcnt(0)
	s_barrier
	s_and_saveexec_b64 s[14:15], s[2:3]
	s_cbranch_execz .LBB14_30
; %bb.27:                               ;   in Loop: Header=BB14_2 Depth=1
	s_mov_b64 s[16:17], 0
	v_mov_b32_e32 v64, v19
	v_mov_b32_e32 v62, v20
.LBB14_28:                              ;   Parent Loop BB14_2 Depth=1
                                        ; =>  This Inner Loop Header: Depth=2
	v_sub_u32_e32 v63, v62, v64
	v_lshrrev_b32_e32 v65, 31, v63
	v_add_u32_e32 v63, v63, v65
	v_ashrrev_i32_e32 v63, 1, v63
	v_add_u32_e32 v63, v63, v64
	v_xad_u32 v66, v63, -1, v15
	v_lshl_add_u32 v65, v63, 2, v56
	v_lshl_add_u32 v66, v66, 2, v50
	ds_read_b32 v65, v65
	ds_read_b32 v66, v66
	v_add_u32_e32 v67, 1, v63
	s_waitcnt lgkmcnt(0)
	v_cmp_lt_i32_e64 s[12:13], v66, v65
	s_nop 1
	v_cndmask_b32_e64 v62, v62, v63, s[12:13]
	v_cndmask_b32_e64 v64, v67, v64, s[12:13]
	v_cmp_ge_i32_e64 s[12:13], v64, v62
	s_or_b64 s[16:17], s[12:13], s[16:17]
	s_andn2_b64 exec, exec, s[16:17]
	s_cbranch_execnz .LBB14_28
; %bb.29:                               ;   in Loop: Header=BB14_2 Depth=1
	s_or_b64 exec, exec, s[16:17]
.LBB14_30:                              ;   in Loop: Header=BB14_2 Depth=1
	s_or_b64 exec, exec, s[14:15]
	v_sub_u32_e32 v66, v21, v64
	v_lshl_add_u32 v69, v64, 2, v56
	v_lshlrev_b32_e32 v68, 2, v66
	ds_read_b32 v62, v69
	ds_read_b32 v63, v68
	v_add_u32_e32 v67, v64, v16
	v_cmp_le_i32_e64 s[14:15], v17, v67
	v_cmp_gt_i32_e64 s[12:13], v18, v66
                                        ; implicit-def: $vgpr64
                                        ; implicit-def: $vgpr65
	s_waitcnt lgkmcnt(0)
	v_cmp_lt_i32_e64 s[16:17], v63, v62
	s_or_b64 s[14:15], s[14:15], s[16:17]
	s_and_b64 s[12:13], s[12:13], s[14:15]
	s_xor_b64 s[14:15], s[12:13], -1
	s_and_saveexec_b64 s[16:17], s[14:15]
	s_xor_b64 s[14:15], exec, s[16:17]
	s_cbranch_execz .LBB14_32
; %bb.31:                               ;   in Loop: Header=BB14_2 Depth=1
	ds_read_b32 v65, v69 offset:4
	v_mov_b32_e32 v64, v63
                                        ; implicit-def: $vgpr68
.LBB14_32:                              ;   in Loop: Header=BB14_2 Depth=1
	s_andn2_saveexec_b64 s[14:15], s[14:15]
	s_cbranch_execz .LBB14_34
; %bb.33:                               ;   in Loop: Header=BB14_2 Depth=1
	ds_read_b32 v64, v68 offset:4
	s_waitcnt lgkmcnt(1)
	v_mov_b32_e32 v65, v62
.LBB14_34:                              ;   in Loop: Header=BB14_2 Depth=1
	s_or_b64 exec, exec, s[14:15]
	v_add_u32_e32 v69, 1, v67
	v_add_u32_e32 v68, 1, v66
	v_cndmask_b32_e64 v67, v69, v67, s[12:13]
	v_cndmask_b32_e64 v66, v66, v68, s[12:13]
	v_cmp_ge_i32_e64 s[16:17], v67, v17
	s_waitcnt lgkmcnt(0)
	v_cmp_lt_i32_e64 s[18:19], v64, v65
	v_cmp_lt_i32_e64 s[14:15], v66, v18
	s_or_b64 s[16:17], s[16:17], s[18:19]
	s_and_b64 s[14:15], s[14:15], s[16:17]
	s_xor_b64 s[16:17], s[14:15], -1
                                        ; implicit-def: $vgpr68
	s_and_saveexec_b64 s[18:19], s[16:17]
	s_xor_b64 s[16:17], exec, s[18:19]
	s_cbranch_execz .LBB14_36
; %bb.35:                               ;   in Loop: Header=BB14_2 Depth=1
	v_lshlrev_b32_e32 v68, 2, v67
	ds_read_b32 v68, v68 offset:4
.LBB14_36:                              ;   in Loop: Header=BB14_2 Depth=1
	s_or_saveexec_b64 s[16:17], s[16:17]
	v_mov_b32_e32 v69, v64
	s_xor_b64 exec, exec, s[16:17]
	s_cbranch_execz .LBB14_38
; %bb.37:                               ;   in Loop: Header=BB14_2 Depth=1
	s_waitcnt lgkmcnt(0)
	v_lshlrev_b32_e32 v68, 2, v66
	ds_read_b32 v69, v68 offset:4
	v_mov_b32_e32 v68, v65
.LBB14_38:                              ;   in Loop: Header=BB14_2 Depth=1
	s_or_b64 exec, exec, s[16:17]
	v_cndmask_b32_e64 v64, v65, v64, s[14:15]
	v_add_u32_e32 v65, 1, v66
	v_add_u32_e32 v70, 1, v67
	v_cndmask_b32_e64 v65, v66, v65, s[14:15]
	v_cndmask_b32_e64 v66, v70, v67, s[14:15]
	v_cmp_ge_i32_e64 s[14:15], v66, v17
	s_waitcnt lgkmcnt(0)
	v_cmp_lt_i32_e64 s[16:17], v69, v68
	v_cndmask_b32_e64 v62, v62, v63, s[12:13]
	v_cmp_lt_i32_e64 s[12:13], v65, v18
	s_or_b64 s[14:15], s[14:15], s[16:17]
	s_and_b64 s[12:13], s[12:13], s[14:15]
	v_cndmask_b32_e64 v63, v68, v69, s[12:13]
	s_barrier
	ds_write2_b32 v52, v62, v64 offset1:1
	ds_write_b32 v52, v63 offset:8
	v_mov_b32_e32 v64, v26
	s_waitcnt lgkmcnt(0)
	s_barrier
	s_and_saveexec_b64 s[14:15], s[4:5]
	s_cbranch_execz .LBB14_42
; %bb.39:                               ;   in Loop: Header=BB14_2 Depth=1
	s_mov_b64 s[16:17], 0
	v_mov_b32_e32 v64, v26
	v_mov_b32_e32 v62, v27
.LBB14_40:                              ;   Parent Loop BB14_2 Depth=1
                                        ; =>  This Inner Loop Header: Depth=2
	v_sub_u32_e32 v63, v62, v64
	v_lshrrev_b32_e32 v65, 31, v63
	v_add_u32_e32 v63, v63, v65
	v_ashrrev_i32_e32 v63, 1, v63
	v_add_u32_e32 v63, v63, v64
	v_xad_u32 v66, v63, -1, v22
	v_lshl_add_u32 v65, v63, 2, v57
	v_lshl_add_u32 v66, v66, 2, v40
	ds_read_b32 v65, v65
	ds_read_b32 v66, v66
	v_add_u32_e32 v67, 1, v63
	s_waitcnt lgkmcnt(0)
	v_cmp_lt_i32_e64 s[12:13], v66, v65
	s_nop 1
	v_cndmask_b32_e64 v62, v62, v63, s[12:13]
	v_cndmask_b32_e64 v64, v67, v64, s[12:13]
	v_cmp_ge_i32_e64 s[12:13], v64, v62
	s_or_b64 s[16:17], s[12:13], s[16:17]
	s_andn2_b64 exec, exec, s[16:17]
	s_cbranch_execnz .LBB14_40
; %bb.41:                               ;   in Loop: Header=BB14_2 Depth=1
	s_or_b64 exec, exec, s[16:17]
.LBB14_42:                              ;   in Loop: Header=BB14_2 Depth=1
	s_or_b64 exec, exec, s[14:15]
	v_sub_u32_e32 v66, v28, v64
	v_lshl_add_u32 v69, v64, 2, v57
	v_lshlrev_b32_e32 v68, 2, v66
	ds_read_b32 v62, v69
	ds_read_b32 v63, v68
	v_add_u32_e32 v67, v64, v23
	v_cmp_le_i32_e64 s[14:15], v24, v67
	v_cmp_gt_i32_e64 s[12:13], v25, v66
                                        ; implicit-def: $vgpr64
                                        ; implicit-def: $vgpr65
	s_waitcnt lgkmcnt(0)
	v_cmp_lt_i32_e64 s[16:17], v63, v62
	s_or_b64 s[14:15], s[14:15], s[16:17]
	s_and_b64 s[12:13], s[12:13], s[14:15]
	s_xor_b64 s[14:15], s[12:13], -1
	s_and_saveexec_b64 s[16:17], s[14:15]
	s_xor_b64 s[14:15], exec, s[16:17]
	s_cbranch_execz .LBB14_44
; %bb.43:                               ;   in Loop: Header=BB14_2 Depth=1
	ds_read_b32 v65, v69 offset:4
	v_mov_b32_e32 v64, v63
                                        ; implicit-def: $vgpr68
.LBB14_44:                              ;   in Loop: Header=BB14_2 Depth=1
	s_andn2_saveexec_b64 s[14:15], s[14:15]
	s_cbranch_execz .LBB14_46
; %bb.45:                               ;   in Loop: Header=BB14_2 Depth=1
	ds_read_b32 v64, v68 offset:4
	s_waitcnt lgkmcnt(1)
	v_mov_b32_e32 v65, v62
.LBB14_46:                              ;   in Loop: Header=BB14_2 Depth=1
	s_or_b64 exec, exec, s[14:15]
	v_add_u32_e32 v69, 1, v67
	v_add_u32_e32 v68, 1, v66
	v_cndmask_b32_e64 v67, v69, v67, s[12:13]
	v_cndmask_b32_e64 v66, v66, v68, s[12:13]
	v_cmp_ge_i32_e64 s[16:17], v67, v24
	s_waitcnt lgkmcnt(0)
	v_cmp_lt_i32_e64 s[18:19], v64, v65
	v_cmp_lt_i32_e64 s[14:15], v66, v25
	s_or_b64 s[16:17], s[16:17], s[18:19]
	s_and_b64 s[14:15], s[14:15], s[16:17]
	s_xor_b64 s[16:17], s[14:15], -1
                                        ; implicit-def: $vgpr68
	s_and_saveexec_b64 s[18:19], s[16:17]
	s_xor_b64 s[16:17], exec, s[18:19]
	s_cbranch_execz .LBB14_48
; %bb.47:                               ;   in Loop: Header=BB14_2 Depth=1
	v_lshlrev_b32_e32 v68, 2, v67
	ds_read_b32 v68, v68 offset:4
.LBB14_48:                              ;   in Loop: Header=BB14_2 Depth=1
	s_or_saveexec_b64 s[16:17], s[16:17]
	v_mov_b32_e32 v69, v64
	s_xor_b64 exec, exec, s[16:17]
	s_cbranch_execz .LBB14_50
; %bb.49:                               ;   in Loop: Header=BB14_2 Depth=1
	s_waitcnt lgkmcnt(0)
	v_lshlrev_b32_e32 v68, 2, v66
	ds_read_b32 v69, v68 offset:4
	v_mov_b32_e32 v68, v65
.LBB14_50:                              ;   in Loop: Header=BB14_2 Depth=1
	s_or_b64 exec, exec, s[16:17]
	v_cndmask_b32_e64 v64, v65, v64, s[14:15]
	v_add_u32_e32 v65, 1, v66
	v_add_u32_e32 v70, 1, v67
	v_cndmask_b32_e64 v65, v66, v65, s[14:15]
	v_cndmask_b32_e64 v66, v70, v67, s[14:15]
	v_cmp_ge_i32_e64 s[14:15], v66, v24
	s_waitcnt lgkmcnt(0)
	v_cmp_lt_i32_e64 s[16:17], v69, v68
	v_cndmask_b32_e64 v62, v62, v63, s[12:13]
	v_cmp_lt_i32_e64 s[12:13], v65, v25
	s_or_b64 s[14:15], s[14:15], s[16:17]
	s_and_b64 s[12:13], s[12:13], s[14:15]
	v_cndmask_b32_e64 v63, v68, v69, s[12:13]
	s_barrier
	ds_write2_b32 v52, v62, v64 offset1:1
	ds_write_b32 v52, v63 offset:8
	v_mov_b32_e32 v64, v33
	s_waitcnt lgkmcnt(0)
	s_barrier
	s_and_saveexec_b64 s[14:15], s[6:7]
	s_cbranch_execz .LBB14_54
; %bb.51:                               ;   in Loop: Header=BB14_2 Depth=1
	s_mov_b64 s[16:17], 0
	v_mov_b32_e32 v64, v33
	v_mov_b32_e32 v62, v34
.LBB14_52:                              ;   Parent Loop BB14_2 Depth=1
                                        ; =>  This Inner Loop Header: Depth=2
	v_sub_u32_e32 v63, v62, v64
	v_lshrrev_b32_e32 v65, 31, v63
	v_add_u32_e32 v63, v63, v65
	v_ashrrev_i32_e32 v63, 1, v63
	v_add_u32_e32 v63, v63, v64
	v_xad_u32 v66, v63, -1, v29
	v_lshl_add_u32 v65, v63, 2, v58
	v_lshl_add_u32 v66, v66, 2, v51
	ds_read_b32 v65, v65
	ds_read_b32 v66, v66
	v_add_u32_e32 v67, 1, v63
	s_waitcnt lgkmcnt(0)
	v_cmp_lt_i32_e64 s[12:13], v66, v65
	s_nop 1
	v_cndmask_b32_e64 v62, v62, v63, s[12:13]
	v_cndmask_b32_e64 v64, v67, v64, s[12:13]
	v_cmp_ge_i32_e64 s[12:13], v64, v62
	s_or_b64 s[16:17], s[12:13], s[16:17]
	s_andn2_b64 exec, exec, s[16:17]
	s_cbranch_execnz .LBB14_52
; %bb.53:                               ;   in Loop: Header=BB14_2 Depth=1
	s_or_b64 exec, exec, s[16:17]
.LBB14_54:                              ;   in Loop: Header=BB14_2 Depth=1
	s_or_b64 exec, exec, s[14:15]
	v_sub_u32_e32 v66, v35, v64
	v_lshl_add_u32 v69, v64, 2, v58
	v_lshlrev_b32_e32 v68, 2, v66
	ds_read_b32 v62, v69
	ds_read_b32 v63, v68
	v_add_u32_e32 v67, v64, v30
	v_cmp_le_i32_e64 s[14:15], v31, v67
	v_cmp_gt_i32_e64 s[12:13], v32, v66
                                        ; implicit-def: $vgpr64
                                        ; implicit-def: $vgpr65
	s_waitcnt lgkmcnt(0)
	v_cmp_lt_i32_e64 s[16:17], v63, v62
	s_or_b64 s[14:15], s[14:15], s[16:17]
	s_and_b64 s[12:13], s[12:13], s[14:15]
	s_xor_b64 s[14:15], s[12:13], -1
	s_and_saveexec_b64 s[16:17], s[14:15]
	s_xor_b64 s[14:15], exec, s[16:17]
	s_cbranch_execz .LBB14_56
; %bb.55:                               ;   in Loop: Header=BB14_2 Depth=1
	ds_read_b32 v65, v69 offset:4
	v_mov_b32_e32 v64, v63
                                        ; implicit-def: $vgpr68
.LBB14_56:                              ;   in Loop: Header=BB14_2 Depth=1
	s_andn2_saveexec_b64 s[14:15], s[14:15]
	s_cbranch_execz .LBB14_58
; %bb.57:                               ;   in Loop: Header=BB14_2 Depth=1
	ds_read_b32 v64, v68 offset:4
	s_waitcnt lgkmcnt(1)
	v_mov_b32_e32 v65, v62
.LBB14_58:                              ;   in Loop: Header=BB14_2 Depth=1
	s_or_b64 exec, exec, s[14:15]
	v_add_u32_e32 v69, 1, v67
	v_add_u32_e32 v68, 1, v66
	v_cndmask_b32_e64 v67, v69, v67, s[12:13]
	v_cndmask_b32_e64 v66, v66, v68, s[12:13]
	v_cmp_ge_i32_e64 s[16:17], v67, v31
	s_waitcnt lgkmcnt(0)
	v_cmp_lt_i32_e64 s[18:19], v64, v65
	v_cmp_lt_i32_e64 s[14:15], v66, v32
	s_or_b64 s[16:17], s[16:17], s[18:19]
	s_and_b64 s[14:15], s[14:15], s[16:17]
	s_xor_b64 s[16:17], s[14:15], -1
                                        ; implicit-def: $vgpr68
	s_and_saveexec_b64 s[18:19], s[16:17]
	s_xor_b64 s[16:17], exec, s[18:19]
	s_cbranch_execz .LBB14_60
; %bb.59:                               ;   in Loop: Header=BB14_2 Depth=1
	v_lshlrev_b32_e32 v68, 2, v67
	ds_read_b32 v68, v68 offset:4
.LBB14_60:                              ;   in Loop: Header=BB14_2 Depth=1
	s_or_saveexec_b64 s[16:17], s[16:17]
	v_mov_b32_e32 v69, v64
	s_xor_b64 exec, exec, s[16:17]
	s_cbranch_execz .LBB14_62
; %bb.61:                               ;   in Loop: Header=BB14_2 Depth=1
	s_waitcnt lgkmcnt(0)
	v_lshlrev_b32_e32 v68, 2, v66
	ds_read_b32 v69, v68 offset:4
	v_mov_b32_e32 v68, v65
.LBB14_62:                              ;   in Loop: Header=BB14_2 Depth=1
	s_or_b64 exec, exec, s[16:17]
	v_cndmask_b32_e64 v64, v65, v64, s[14:15]
	v_add_u32_e32 v65, 1, v66
	v_add_u32_e32 v70, 1, v67
	v_cndmask_b32_e64 v65, v66, v65, s[14:15]
	v_cndmask_b32_e64 v66, v70, v67, s[14:15]
	v_cmp_ge_i32_e64 s[14:15], v66, v31
	s_waitcnt lgkmcnt(0)
	v_cmp_lt_i32_e64 s[16:17], v69, v68
	v_cndmask_b32_e64 v62, v62, v63, s[12:13]
	v_cmp_lt_i32_e64 s[12:13], v65, v32
	s_or_b64 s[14:15], s[14:15], s[16:17]
	s_and_b64 s[12:13], s[12:13], s[14:15]
	v_cndmask_b32_e64 v63, v68, v69, s[12:13]
	s_barrier
	ds_write2_b32 v52, v62, v64 offset1:1
	ds_write_b32 v52, v63 offset:8
	v_mov_b32_e32 v64, v42
	s_waitcnt lgkmcnt(0)
	s_barrier
	s_and_saveexec_b64 s[14:15], s[8:9]
	s_cbranch_execz .LBB14_66
; %bb.63:                               ;   in Loop: Header=BB14_2 Depth=1
	s_mov_b64 s[16:17], 0
	v_mov_b32_e32 v64, v42
	v_mov_b32_e32 v62, v43
.LBB14_64:                              ;   Parent Loop BB14_2 Depth=1
                                        ; =>  This Inner Loop Header: Depth=2
	v_sub_u32_e32 v63, v62, v64
	v_lshrrev_b32_e32 v65, 31, v63
	v_add_u32_e32 v63, v63, v65
	v_ashrrev_i32_e32 v63, 1, v63
	v_add_u32_e32 v63, v63, v64
	v_xad_u32 v66, v63, -1, v36
	v_lshl_add_u32 v65, v63, 2, v59
	v_lshl_add_u32 v66, v66, 2, v41
	ds_read_b32 v65, v65
	ds_read_b32 v66, v66
	v_add_u32_e32 v67, 1, v63
	s_waitcnt lgkmcnt(0)
	v_cmp_lt_i32_e64 s[12:13], v66, v65
	s_nop 1
	v_cndmask_b32_e64 v62, v62, v63, s[12:13]
	v_cndmask_b32_e64 v64, v67, v64, s[12:13]
	v_cmp_ge_i32_e64 s[12:13], v64, v62
	s_or_b64 s[16:17], s[12:13], s[16:17]
	s_andn2_b64 exec, exec, s[16:17]
	s_cbranch_execnz .LBB14_64
; %bb.65:                               ;   in Loop: Header=BB14_2 Depth=1
	s_or_b64 exec, exec, s[16:17]
.LBB14_66:                              ;   in Loop: Header=BB14_2 Depth=1
	s_or_b64 exec, exec, s[14:15]
	v_sub_u32_e32 v66, v44, v64
	v_lshl_add_u32 v69, v64, 2, v59
	v_lshlrev_b32_e32 v68, 2, v66
	ds_read_b32 v62, v69
	ds_read_b32 v63, v68
	v_add_u32_e32 v67, v64, v37
	v_cmp_le_i32_e64 s[14:15], v38, v67
	v_cmp_gt_i32_e64 s[12:13], v39, v66
                                        ; implicit-def: $vgpr64
                                        ; implicit-def: $vgpr65
	s_waitcnt lgkmcnt(0)
	v_cmp_lt_i32_e64 s[16:17], v63, v62
	s_or_b64 s[14:15], s[14:15], s[16:17]
	s_and_b64 s[12:13], s[12:13], s[14:15]
	s_xor_b64 s[14:15], s[12:13], -1
	s_and_saveexec_b64 s[16:17], s[14:15]
	s_xor_b64 s[14:15], exec, s[16:17]
	s_cbranch_execz .LBB14_68
; %bb.67:                               ;   in Loop: Header=BB14_2 Depth=1
	ds_read_b32 v65, v69 offset:4
	v_mov_b32_e32 v64, v63
                                        ; implicit-def: $vgpr68
.LBB14_68:                              ;   in Loop: Header=BB14_2 Depth=1
	s_andn2_saveexec_b64 s[14:15], s[14:15]
	s_cbranch_execz .LBB14_70
; %bb.69:                               ;   in Loop: Header=BB14_2 Depth=1
	ds_read_b32 v64, v68 offset:4
	s_waitcnt lgkmcnt(1)
	v_mov_b32_e32 v65, v62
.LBB14_70:                              ;   in Loop: Header=BB14_2 Depth=1
	s_or_b64 exec, exec, s[14:15]
	v_add_u32_e32 v69, 1, v67
	v_add_u32_e32 v68, 1, v66
	v_cndmask_b32_e64 v67, v69, v67, s[12:13]
	v_cndmask_b32_e64 v66, v66, v68, s[12:13]
	v_cmp_ge_i32_e64 s[16:17], v67, v38
	s_waitcnt lgkmcnt(0)
	v_cmp_lt_i32_e64 s[18:19], v64, v65
	v_cmp_lt_i32_e64 s[14:15], v66, v39
	s_or_b64 s[16:17], s[16:17], s[18:19]
	s_and_b64 s[14:15], s[14:15], s[16:17]
	s_xor_b64 s[16:17], s[14:15], -1
                                        ; implicit-def: $vgpr68
	s_and_saveexec_b64 s[18:19], s[16:17]
	s_xor_b64 s[16:17], exec, s[18:19]
	s_cbranch_execz .LBB14_72
; %bb.71:                               ;   in Loop: Header=BB14_2 Depth=1
	v_lshlrev_b32_e32 v68, 2, v67
	ds_read_b32 v68, v68 offset:4
.LBB14_72:                              ;   in Loop: Header=BB14_2 Depth=1
	s_or_saveexec_b64 s[16:17], s[16:17]
	v_mov_b32_e32 v69, v64
	s_xor_b64 exec, exec, s[16:17]
	s_cbranch_execz .LBB14_74
; %bb.73:                               ;   in Loop: Header=BB14_2 Depth=1
	s_waitcnt lgkmcnt(0)
	v_lshlrev_b32_e32 v68, 2, v66
	ds_read_b32 v69, v68 offset:4
	v_mov_b32_e32 v68, v65
.LBB14_74:                              ;   in Loop: Header=BB14_2 Depth=1
	s_or_b64 exec, exec, s[16:17]
	v_cndmask_b32_e64 v64, v65, v64, s[14:15]
	v_add_u32_e32 v65, 1, v66
	v_add_u32_e32 v70, 1, v67
	v_cndmask_b32_e64 v65, v66, v65, s[14:15]
	v_cndmask_b32_e64 v66, v70, v67, s[14:15]
	v_cmp_ge_i32_e64 s[14:15], v66, v38
	s_waitcnt lgkmcnt(0)
	v_cmp_lt_i32_e64 s[16:17], v69, v68
	v_cndmask_b32_e64 v62, v62, v63, s[12:13]
	v_cmp_lt_i32_e64 s[12:13], v65, v39
	s_or_b64 s[14:15], s[14:15], s[16:17]
	s_and_b64 s[12:13], s[12:13], s[14:15]
	v_cndmask_b32_e64 v63, v68, v69, s[12:13]
	s_barrier
	ds_write2_b32 v52, v62, v64 offset1:1
	ds_write_b32 v52, v63 offset:8
	v_mov_b32_e32 v64, v46
	s_waitcnt lgkmcnt(0)
	s_barrier
	s_and_saveexec_b64 s[14:15], s[10:11]
	s_cbranch_execz .LBB14_78
; %bb.75:                               ;   in Loop: Header=BB14_2 Depth=1
	s_mov_b64 s[16:17], 0
	v_mov_b32_e32 v64, v46
	v_mov_b32_e32 v62, v47
.LBB14_76:                              ;   Parent Loop BB14_2 Depth=1
                                        ; =>  This Inner Loop Header: Depth=2
	v_sub_u32_e32 v63, v62, v64
	v_lshrrev_b32_e32 v65, 31, v63
	v_add_u32_e32 v63, v63, v65
	v_ashrrev_i32_e32 v63, 1, v63
	v_add_u32_e32 v63, v63, v64
	v_xad_u32 v66, v63, -1, v1
	v_lshlrev_b32_e32 v65, 2, v63
	v_lshl_add_u32 v66, v66, 2, v61
	ds_read_b32 v65, v65
	ds_read_b32 v66, v66
	v_add_u32_e32 v67, 1, v63
	s_waitcnt lgkmcnt(0)
	v_cmp_lt_i32_e64 s[12:13], v66, v65
	s_nop 1
	v_cndmask_b32_e64 v62, v62, v63, s[12:13]
	v_cndmask_b32_e64 v64, v67, v64, s[12:13]
	v_cmp_ge_i32_e64 s[12:13], v64, v62
	s_or_b64 s[16:17], s[12:13], s[16:17]
	s_andn2_b64 exec, exec, s[16:17]
	s_cbranch_execnz .LBB14_76
; %bb.77:                               ;   in Loop: Header=BB14_2 Depth=1
	s_or_b64 exec, exec, s[16:17]
.LBB14_78:                              ;   in Loop: Header=BB14_2 Depth=1
	s_or_b64 exec, exec, s[14:15]
	v_sub_u32_e32 v67, v60, v64
	v_lshlrev_b32_e32 v69, 2, v64
	v_lshlrev_b32_e32 v68, 2, v67
	ds_read_b32 v62, v69
	ds_read_b32 v63, v68
	v_cmp_le_i32_e64 s[14:15], v45, v64
	v_cmp_gt_i32_e64 s[12:13], s28, v67
                                        ; implicit-def: $vgpr65
                                        ; implicit-def: $vgpr66
	s_waitcnt lgkmcnt(0)
	v_cmp_lt_i32_e64 s[16:17], v63, v62
	s_or_b64 s[14:15], s[14:15], s[16:17]
	s_and_b64 s[12:13], s[12:13], s[14:15]
	s_xor_b64 s[14:15], s[12:13], -1
	s_and_saveexec_b64 s[16:17], s[14:15]
	s_xor_b64 s[14:15], exec, s[16:17]
	s_cbranch_execz .LBB14_80
; %bb.79:                               ;   in Loop: Header=BB14_2 Depth=1
	ds_read_b32 v66, v69 offset:4
	v_mov_b32_e32 v65, v63
                                        ; implicit-def: $vgpr68
.LBB14_80:                              ;   in Loop: Header=BB14_2 Depth=1
	s_andn2_saveexec_b64 s[14:15], s[14:15]
	s_cbranch_execz .LBB14_82
; %bb.81:                               ;   in Loop: Header=BB14_2 Depth=1
	ds_read_b32 v65, v68 offset:4
	s_waitcnt lgkmcnt(1)
	v_mov_b32_e32 v66, v62
.LBB14_82:                              ;   in Loop: Header=BB14_2 Depth=1
	s_or_b64 exec, exec, s[14:15]
	v_add_u32_e32 v68, 1, v67
	v_add_u32_e32 v69, 1, v64
	v_cndmask_b32_e64 v67, v67, v68, s[12:13]
	v_cndmask_b32_e64 v68, v69, v64, s[12:13]
	v_cmp_ge_i32_e64 s[16:17], v68, v45
	s_waitcnt lgkmcnt(0)
	v_cmp_lt_i32_e64 s[18:19], v65, v66
	v_cmp_gt_i32_e64 s[14:15], s28, v67
	s_or_b64 s[16:17], s[16:17], s[18:19]
	s_and_b64 s[14:15], s[14:15], s[16:17]
	s_xor_b64 s[16:17], s[14:15], -1
                                        ; implicit-def: $vgpr64
                                        ; implicit-def: $vgpr69
	s_and_saveexec_b64 s[18:19], s[16:17]
	s_xor_b64 s[16:17], exec, s[18:19]
	s_cbranch_execz .LBB14_84
; %bb.83:                               ;   in Loop: Header=BB14_2 Depth=1
	v_lshlrev_b32_e32 v64, 2, v68
	ds_read_b32 v64, v64 offset:4
	v_add_u32_e32 v69, 1, v68
                                        ; implicit-def: $vgpr68
.LBB14_84:                              ;   in Loop: Header=BB14_2 Depth=1
	s_or_saveexec_b64 s[16:17], s[16:17]
	v_mov_b32_e32 v70, v65
	s_xor_b64 exec, exec, s[16:17]
	s_cbranch_execz .LBB14_1
; %bb.85:                               ;   in Loop: Header=BB14_2 Depth=1
	s_waitcnt lgkmcnt(0)
	v_lshlrev_b32_e32 v64, 2, v67
	ds_read_b32 v70, v64 offset:4
	v_add_u32_e32 v67, 1, v67
	v_mov_b32_e32 v69, v68
	v_mov_b32_e32 v64, v66
	s_branch .LBB14_1
.LBB14_86:
	s_add_u32 s0, s22, s26
	s_addc_u32 s1, s23, s27
	v_lshlrev_b32_e32 v0, 2, v0
	global_store_dword v0, v62, s[0:1]
	global_store_dword v0, v63, s[0:1] offset:512
	global_store_dword v0, v64, s[0:1] offset:1024
	s_endpgm
	.section	.rodata,"a",@progbits
	.p2align	6, 0x0
	.amdhsa_kernel _Z16sort_keys_kernelIiLj128ELj3EN10test_utils4lessELj10EEvPKT_PS2_T2_
		.amdhsa_group_segment_fixed_size 1540
		.amdhsa_private_segment_fixed_size 0
		.amdhsa_kernarg_size 20
		.amdhsa_user_sgpr_count 2
		.amdhsa_user_sgpr_dispatch_ptr 0
		.amdhsa_user_sgpr_queue_ptr 0
		.amdhsa_user_sgpr_kernarg_segment_ptr 1
		.amdhsa_user_sgpr_dispatch_id 0
		.amdhsa_user_sgpr_kernarg_preload_length 0
		.amdhsa_user_sgpr_kernarg_preload_offset 0
		.amdhsa_user_sgpr_private_segment_size 0
		.amdhsa_uses_dynamic_stack 0
		.amdhsa_enable_private_segment 0
		.amdhsa_system_sgpr_workgroup_id_x 1
		.amdhsa_system_sgpr_workgroup_id_y 0
		.amdhsa_system_sgpr_workgroup_id_z 0
		.amdhsa_system_sgpr_workgroup_info 0
		.amdhsa_system_vgpr_workitem_id 0
		.amdhsa_next_free_vgpr 71
		.amdhsa_next_free_sgpr 29
		.amdhsa_accum_offset 72
		.amdhsa_reserve_vcc 1
		.amdhsa_float_round_mode_32 0
		.amdhsa_float_round_mode_16_64 0
		.amdhsa_float_denorm_mode_32 3
		.amdhsa_float_denorm_mode_16_64 3
		.amdhsa_dx10_clamp 1
		.amdhsa_ieee_mode 1
		.amdhsa_fp16_overflow 0
		.amdhsa_tg_split 0
		.amdhsa_exception_fp_ieee_invalid_op 0
		.amdhsa_exception_fp_denorm_src 0
		.amdhsa_exception_fp_ieee_div_zero 0
		.amdhsa_exception_fp_ieee_overflow 0
		.amdhsa_exception_fp_ieee_underflow 0
		.amdhsa_exception_fp_ieee_inexact 0
		.amdhsa_exception_int_div_zero 0
	.end_amdhsa_kernel
	.section	.text._Z16sort_keys_kernelIiLj128ELj3EN10test_utils4lessELj10EEvPKT_PS2_T2_,"axG",@progbits,_Z16sort_keys_kernelIiLj128ELj3EN10test_utils4lessELj10EEvPKT_PS2_T2_,comdat
.Lfunc_end14:
	.size	_Z16sort_keys_kernelIiLj128ELj3EN10test_utils4lessELj10EEvPKT_PS2_T2_, .Lfunc_end14-_Z16sort_keys_kernelIiLj128ELj3EN10test_utils4lessELj10EEvPKT_PS2_T2_
                                        ; -- End function
	.section	.AMDGPU.csdata,"",@progbits
; Kernel info:
; codeLenInByte = 4564
; NumSgprs: 35
; NumVgprs: 71
; NumAgprs: 0
; TotalNumVgprs: 71
; ScratchSize: 0
; MemoryBound: 0
; FloatMode: 240
; IeeeMode: 1
; LDSByteSize: 1540 bytes/workgroup (compile time only)
; SGPRBlocks: 4
; VGPRBlocks: 8
; NumSGPRsForWavesPerEU: 35
; NumVGPRsForWavesPerEU: 71
; AccumOffset: 72
; Occupancy: 7
; WaveLimiterHint : 1
; COMPUTE_PGM_RSRC2:SCRATCH_EN: 0
; COMPUTE_PGM_RSRC2:USER_SGPR: 2
; COMPUTE_PGM_RSRC2:TRAP_HANDLER: 0
; COMPUTE_PGM_RSRC2:TGID_X_EN: 1
; COMPUTE_PGM_RSRC2:TGID_Y_EN: 0
; COMPUTE_PGM_RSRC2:TGID_Z_EN: 0
; COMPUTE_PGM_RSRC2:TIDIG_COMP_CNT: 0
; COMPUTE_PGM_RSRC3_GFX90A:ACCUM_OFFSET: 17
; COMPUTE_PGM_RSRC3_GFX90A:TG_SPLIT: 0
	.section	.text._Z17sort_pairs_kernelIiLj128ELj3EN10test_utils4lessELj10EEvPKT_PS2_T2_,"axG",@progbits,_Z17sort_pairs_kernelIiLj128ELj3EN10test_utils4lessELj10EEvPKT_PS2_T2_,comdat
	.protected	_Z17sort_pairs_kernelIiLj128ELj3EN10test_utils4lessELj10EEvPKT_PS2_T2_ ; -- Begin function _Z17sort_pairs_kernelIiLj128ELj3EN10test_utils4lessELj10EEvPKT_PS2_T2_
	.globl	_Z17sort_pairs_kernelIiLj128ELj3EN10test_utils4lessELj10EEvPKT_PS2_T2_
	.p2align	8
	.type	_Z17sort_pairs_kernelIiLj128ELj3EN10test_utils4lessELj10EEvPKT_PS2_T2_,@function
_Z17sort_pairs_kernelIiLj128ELj3EN10test_utils4lessELj10EEvPKT_PS2_T2_: ; @_Z17sort_pairs_kernelIiLj128ELj3EN10test_utils4lessELj10EEvPKT_PS2_T2_
; %bb.0:
	s_load_dwordx4 s[24:27], s[0:1], 0x0
	s_mul_i32 s30, s2, 0x180
	s_mov_b32 s31, 0
	s_lshl_b64 s[28:29], s[30:31], 2
	v_lshlrev_b32_e32 v1, 2, v0
	s_waitcnt lgkmcnt(0)
	s_add_u32 s0, s24, s28
	s_addc_u32 s1, s25, s29
	global_load_dword v65, v1, s[0:1]
	global_load_dword v66, v1, s[0:1] offset:512
	global_load_dword v64, v1, s[0:1] offset:1024
	v_and_b32_e32 v3, 0x7e, v0
	v_and_b32_e32 v5, 0x7c, v0
	;; [unrolled: 1-line block ×4, first 2 shown]
	v_mul_u32_u24_e32 v9, 3, v3
	v_and_b32_e32 v4, 1, v0
	v_and_b32_e32 v8, 0x60, v0
	v_mul_u32_u24_e32 v10, 3, v5
	v_mul_u32_u24_e32 v11, 3, v6
	;; [unrolled: 1-line block ×3, first 2 shown]
	v_min_u32_e32 v49, 0x17d, v9
	v_min_u32_e32 v13, 0x17a, v9
	v_cmp_eq_u32_e32 vcc, 1, v4
	v_mul_u32_u24_e32 v33, 3, v8
	v_min_u32_e32 v7, 0x180, v9
	v_min_u32_e32 v8, 0x180, v10
	;; [unrolled: 1-line block ×10, first 2 shown]
	v_add_u32_e32 v11, 3, v49
	v_add_u32_e32 v12, 6, v13
	v_and_b32_e32 v19, 3, v0
	v_cndmask_b32_e64 v3, 0, 3, vcc
	v_add_u32_e32 v13, 6, v50
	v_add_u32_e32 v14, 12, v14
	v_sub_u32_e32 v26, v12, v11
	v_and_b32_e32 v20, 7, v0
	v_mul_u32_u24_e32 v4, 3, v19
	v_add_u32_e32 v15, 12, v51
	v_add_u32_e32 v16, 24, v16
	v_sub_u32_e32 v27, v14, v13
	v_sub_u32_e32 v30, v3, v26
	v_cmp_ge_i32_e32 vcc, v3, v26
	v_and_b32_e32 v21, 15, v0
	v_mul_u32_u24_e32 v5, 3, v20
	v_add_u32_e32 v17, 24, v46
	v_add_u32_e32 v18, 48, v18
	v_sub_u32_e32 v28, v16, v15
	v_sub_u32_e32 v31, v4, v27
	v_cndmask_b32_e32 v26, 0, v30, vcc
	v_cmp_ge_i32_e32 vcc, v4, v27
	v_mul_u32_u24_e32 v6, 3, v21
	v_sub_u32_e32 v29, v18, v17
	v_sub_u32_e32 v32, v5, v28
	v_cndmask_b32_e32 v27, 0, v31, vcc
	v_cmp_ge_i32_e32 vcc, v5, v28
	v_min_u32_e32 v31, 0x180, v33
	v_min_u32_e32 v52, 0x150, v33
	;; [unrolled: 1-line block ×3, first 2 shown]
	v_sub_u32_e32 v34, v6, v29
	v_cndmask_b32_e32 v28, 0, v32, vcc
	v_cmp_ge_i32_e32 vcc, v6, v29
	v_and_b32_e32 v36, 31, v0
	v_add_u32_e32 v32, 48, v52
	v_add_u32_e32 v33, 0x60, v33
	v_cndmask_b32_e32 v29, 0, v34, vcc
	v_mul_u32_u24_e32 v30, 3, v36
	v_sub_u32_e32 v34, v33, v32
	v_sub_u32_e32 v37, v30, v34
	v_cmp_ge_i32_e64 s[6:7], v30, v34
	v_and_b32_e32 v44, 63, v0
	v_mov_b32_e32 v48, 0x60
	v_cndmask_b32_e64 v34, 0, v37, s[6:7]
	v_and_b32_e32 v37, 64, v0
	v_mul_u32_u24_e32 v41, 3, v37
	v_min_u32_e32 v38, 0x180, v41
	v_min_u32_e32 v47, 0x120, v41
	;; [unrolled: 1-line block ×3, first 2 shown]
	v_add_u32_e32 v39, 0x60, v47
	v_add_u32_e32 v41, 0xc0, v41
	v_mul_u32_u24_e32 v37, 3, v44
	v_sub_u32_e32 v42, v41, v39
	v_mul_u32_u24_e32 v1, 3, v0
	v_sub_u32_e32 v22, v11, v7
	v_sub_u32_e32 v23, v13, v8
	v_sub_u32_e32 v24, v15, v9
	v_sub_u32_e32 v25, v17, v10
	v_sub_u32_e32 v35, v32, v31
	v_mov_b32_e32 v40, 0xc0
	v_sub_u32_e32 v43, v39, v38
	v_sub_u32_e32 v45, v37, v42
	v_cmp_ge_i32_e64 s[8:9], v37, v42
	v_lshl_add_u32 v46, v46, 2, v48
	v_mov_b32_e32 v48, 0x180
	v_min_i32_e32 v22, v3, v22
	v_min_i32_e32 v23, v4, v23
	;; [unrolled: 1-line block ×5, first 2 shown]
	v_cndmask_b32_e64 v42, 0, v45, s[8:9]
	v_min_i32_e32 v43, v37, v43
	v_sub_u32_e64 v45, v1, v40 clamp
	v_lshl_add_u32 v47, v47, 2, v48
	v_min_i32_e32 v48, 0xc0, v1
	s_movk_i32 s30, 0x180
	v_lshlrev_b32_e32 v2, 2, v1
	v_mad_u32_u24 v19, v19, 3, v13
	v_mad_u32_u24 v20, v20, 3, v15
	;; [unrolled: 1-line block ×3, first 2 shown]
	v_cmp_lt_i32_e32 vcc, v26, v22
	v_cmp_lt_i32_e64 s[0:1], v27, v23
	v_cmp_lt_i32_e64 s[2:3], v28, v24
	;; [unrolled: 1-line block ×3, first 2 shown]
	s_waitcnt vmcnt(2)
	v_add_u32_e32 v61, 1, v65
	s_waitcnt vmcnt(1)
	v_add_u32_e32 v63, 1, v66
	;; [unrolled: 2-line block ×3, first 2 shown]
	v_cmp_lt_i32_e64 s[6:7], v34, v35
	v_mad_u32_u24 v36, v36, 3, v32
	v_cmp_lt_i32_e64 s[8:9], v42, v43
	v_mad_u32_u24 v44, v44, 3, v39
	v_cmp_lt_i32_e64 s[10:11], v45, v48
	v_lshl_add_u32 v49, v49, 2, 12
	v_lshl_add_u32 v50, v50, 2, 24
	;; [unrolled: 1-line block ×4, first 2 shown]
	v_lshlrev_b32_e32 v53, 2, v7
	v_add_u32_e32 v54, v11, v3
	v_lshlrev_b32_e32 v55, 2, v8
	v_lshlrev_b32_e32 v56, 2, v9
	;; [unrolled: 1-line block ×5, first 2 shown]
	v_mad_u32_u24 v60, v0, 3, v40
	s_branch .LBB15_2
.LBB15_1:                               ;   in Loop: Header=BB15_2 Depth=1
	s_or_b64 exec, exec, s[16:17]
	v_cmp_ge_i32_e64 s[18:19], v72, v40
	s_waitcnt lgkmcnt(0)
	v_cmp_lt_i32_e64 s[20:21], v75, v73
	v_cmp_gt_i32_e64 s[16:17], s30, v70
	s_or_b64 s[18:19], s[18:19], s[20:21]
	v_cndmask_b32_e64 v69, v64, v69, s[12:13]
	s_and_b64 s[16:17], s[16:17], s[18:19]
	v_cndmask_b32_e64 v70, v72, v70, s[16:17]
	s_barrier
	ds_write2_b32 v2, v61, v62 offset1:1
	ds_write_b32 v2, v63 offset:8
	v_lshlrev_b32_e32 v61, 2, v69
	v_lshlrev_b32_e32 v62, 2, v74
	s_waitcnt lgkmcnt(0)
	s_barrier
	v_lshlrev_b32_e32 v69, 2, v70
	ds_read_b32 v61, v61
	ds_read_b32 v63, v62
	;; [unrolled: 1-line block ×3, first 2 shown]
	s_add_i32 s31, s31, 1
	v_cndmask_b32_e64 v64, v73, v75, s[16:17]
	v_cndmask_b32_e64 v65, v65, v66, s[12:13]
	s_cmp_eq_u32 s31, 10
	v_cndmask_b32_e64 v66, v68, v67, s[14:15]
	s_cbranch_scc1 .LBB15_86
.LBB15_2:                               ; =>This Loop Header: Depth=1
                                        ;     Child Loop BB15_4 Depth 2
                                        ;     Child Loop BB15_16 Depth 2
	;; [unrolled: 1-line block ×7, first 2 shown]
	v_cmp_lt_i32_e64 s[12:13], v66, v65
	s_barrier
	s_nop 0
	v_cndmask_b32_e64 v67, v65, v66, s[12:13]
	v_cndmask_b32_e64 v68, v66, v65, s[12:13]
	v_max_i32_e32 v65, v66, v65
	v_cmp_lt_i32_e64 s[14:15], v64, v65
	s_nop 1
	v_cndmask_b32_e64 v66, v64, v65, s[14:15]
	v_cndmask_b32_e64 v68, v68, v64, s[14:15]
	v_min_i32_e32 v64, v64, v65
	v_cmp_lt_i32_e64 s[16:17], v64, v67
	s_nop 1
	v_cndmask_b32_e64 v65, v68, v67, s[16:17]
	v_cndmask_b32_e64 v64, v67, v64, s[16:17]
	ds_write2_b32 v2, v64, v65 offset1:1
	ds_write_b32 v2, v66 offset:8
	v_mov_b32_e32 v66, v26
	s_waitcnt lgkmcnt(0)
	s_barrier
	s_and_saveexec_b64 s[20:21], vcc
	s_cbranch_execz .LBB15_6
; %bb.3:                                ;   in Loop: Header=BB15_2 Depth=1
	s_mov_b64 s[22:23], 0
	v_mov_b32_e32 v66, v26
	v_mov_b32_e32 v64, v22
.LBB15_4:                               ;   Parent Loop BB15_2 Depth=1
                                        ; =>  This Inner Loop Header: Depth=2
	v_sub_u32_e32 v65, v64, v66
	v_lshrrev_b32_e32 v67, 31, v65
	v_add_u32_e32 v65, v65, v67
	v_ashrrev_i32_e32 v65, 1, v65
	v_add_u32_e32 v65, v65, v66
	v_xad_u32 v68, v65, -1, v3
	v_lshl_add_u32 v67, v65, 2, v53
	v_lshl_add_u32 v68, v68, 2, v49
	ds_read_b32 v67, v67
	ds_read_b32 v68, v68
	v_add_u32_e32 v69, 1, v65
	s_waitcnt lgkmcnt(0)
	v_cmp_lt_i32_e64 s[18:19], v68, v67
	s_nop 1
	v_cndmask_b32_e64 v64, v64, v65, s[18:19]
	v_cndmask_b32_e64 v66, v69, v66, s[18:19]
	v_cmp_ge_i32_e64 s[18:19], v66, v64
	s_or_b64 s[22:23], s[18:19], s[22:23]
	s_andn2_b64 exec, exec, s[22:23]
	s_cbranch_execnz .LBB15_4
; %bb.5:                                ;   in Loop: Header=BB15_2 Depth=1
	s_or_b64 exec, exec, s[22:23]
.LBB15_6:                               ;   in Loop: Header=BB15_2 Depth=1
	s_or_b64 exec, exec, s[20:21]
	v_sub_u32_e32 v64, v54, v66
	v_lshl_add_u32 v71, v66, 2, v53
	v_lshlrev_b32_e32 v70, 2, v64
	ds_read_b32 v65, v71
	ds_read_b32 v67, v70
	v_add_u32_e32 v66, v66, v7
	v_cmp_le_i32_e64 s[20:21], v11, v66
	v_cmp_gt_i32_e64 s[18:19], v12, v64
                                        ; implicit-def: $vgpr68
                                        ; implicit-def: $vgpr69
	s_waitcnt lgkmcnt(0)
	v_cmp_lt_i32_e64 s[22:23], v67, v65
	s_or_b64 s[20:21], s[20:21], s[22:23]
	s_and_b64 s[18:19], s[18:19], s[20:21]
	s_xor_b64 s[20:21], s[18:19], -1
	s_and_saveexec_b64 s[22:23], s[20:21]
	s_xor_b64 s[20:21], exec, s[22:23]
	s_cbranch_execz .LBB15_8
; %bb.7:                                ;   in Loop: Header=BB15_2 Depth=1
	ds_read_b32 v69, v71 offset:4
	v_mov_b32_e32 v68, v67
                                        ; implicit-def: $vgpr70
.LBB15_8:                               ;   in Loop: Header=BB15_2 Depth=1
	s_andn2_saveexec_b64 s[20:21], s[20:21]
	s_cbranch_execz .LBB15_10
; %bb.9:                                ;   in Loop: Header=BB15_2 Depth=1
	ds_read_b32 v68, v70 offset:4
	s_waitcnt lgkmcnt(1)
	v_mov_b32_e32 v69, v65
.LBB15_10:                              ;   in Loop: Header=BB15_2 Depth=1
	s_or_b64 exec, exec, s[20:21]
	v_add_u32_e32 v71, 1, v66
	v_add_u32_e32 v70, 1, v64
	v_cndmask_b32_e64 v72, v71, v66, s[18:19]
	v_cndmask_b32_e64 v70, v64, v70, s[18:19]
	v_cmp_ge_i32_e64 s[22:23], v72, v11
	s_waitcnt lgkmcnt(0)
	v_cmp_lt_i32_e64 s[24:25], v68, v69
	v_cmp_lt_i32_e64 s[20:21], v70, v12
	s_or_b64 s[22:23], s[22:23], s[24:25]
	s_and_b64 s[20:21], s[20:21], s[22:23]
	s_xor_b64 s[22:23], s[20:21], -1
                                        ; implicit-def: $vgpr71
	s_and_saveexec_b64 s[24:25], s[22:23]
	s_xor_b64 s[22:23], exec, s[24:25]
	s_cbranch_execz .LBB15_12
; %bb.11:                               ;   in Loop: Header=BB15_2 Depth=1
	v_lshlrev_b32_e32 v71, 2, v72
	ds_read_b32 v71, v71 offset:4
.LBB15_12:                              ;   in Loop: Header=BB15_2 Depth=1
	s_or_saveexec_b64 s[22:23], s[22:23]
	v_mov_b32_e32 v73, v68
	s_xor_b64 exec, exec, s[22:23]
	s_cbranch_execz .LBB15_14
; %bb.13:                               ;   in Loop: Header=BB15_2 Depth=1
	s_waitcnt lgkmcnt(0)
	v_lshlrev_b32_e32 v71, 2, v70
	ds_read_b32 v73, v71 offset:4
	v_mov_b32_e32 v71, v69
.LBB15_14:                              ;   in Loop: Header=BB15_2 Depth=1
	s_or_b64 exec, exec, s[22:23]
	v_add_u32_e32 v74, 1, v72
	v_cndmask_b32_e64 v64, v66, v64, s[18:19]
	v_cndmask_b32_e64 v66, v61, v63, s[12:13]
	v_cndmask_b32_e64 v61, v63, v61, s[12:13]
	v_cndmask_b32_e64 v68, v69, v68, s[20:21]
	v_add_u32_e32 v69, 1, v70
	v_cndmask_b32_e64 v74, v74, v72, s[20:21]
	v_cndmask_b32_e64 v63, v62, v61, s[14:15]
	;; [unrolled: 1-line block ×6, first 2 shown]
	v_cmp_ge_i32_e64 s[14:15], v74, v11
	s_waitcnt lgkmcnt(0)
	v_cmp_lt_i32_e64 s[16:17], v73, v71
	v_cmp_lt_i32_e64 s[12:13], v69, v12
	s_or_b64 s[14:15], s[14:15], s[16:17]
	s_and_b64 s[12:13], s[12:13], s[14:15]
	v_cndmask_b32_e64 v70, v72, v70, s[20:21]
	v_cndmask_b32_e64 v65, v65, v67, s[18:19]
	v_cndmask_b32_e64 v67, v74, v69, s[12:13]
	s_barrier
	ds_write2_b32 v2, v61, v62 offset1:1
	ds_write_b32 v2, v63 offset:8
	v_lshlrev_b32_e32 v61, 2, v64
	v_lshlrev_b32_e32 v62, 2, v70
	;; [unrolled: 1-line block ×3, first 2 shown]
	s_waitcnt lgkmcnt(0)
	s_barrier
	ds_read_b32 v61, v61
	ds_read_b32 v62, v62
	;; [unrolled: 1-line block ×3, first 2 shown]
	v_cndmask_b32_e64 v66, v71, v73, s[12:13]
	s_waitcnt lgkmcnt(0)
	s_barrier
	ds_write2_b32 v2, v65, v68 offset1:1
	ds_write_b32 v2, v66 offset:8
	v_mov_b32_e32 v66, v27
	s_waitcnt lgkmcnt(0)
	s_barrier
	s_and_saveexec_b64 s[14:15], s[0:1]
	s_cbranch_execz .LBB15_18
; %bb.15:                               ;   in Loop: Header=BB15_2 Depth=1
	s_mov_b64 s[16:17], 0
	v_mov_b32_e32 v66, v27
	v_mov_b32_e32 v64, v23
.LBB15_16:                              ;   Parent Loop BB15_2 Depth=1
                                        ; =>  This Inner Loop Header: Depth=2
	v_sub_u32_e32 v65, v64, v66
	v_lshrrev_b32_e32 v67, 31, v65
	v_add_u32_e32 v65, v65, v67
	v_ashrrev_i32_e32 v65, 1, v65
	v_add_u32_e32 v65, v65, v66
	v_xad_u32 v68, v65, -1, v4
	v_lshl_add_u32 v67, v65, 2, v55
	v_lshl_add_u32 v68, v68, 2, v50
	ds_read_b32 v67, v67
	ds_read_b32 v68, v68
	v_add_u32_e32 v69, 1, v65
	s_waitcnt lgkmcnt(0)
	v_cmp_lt_i32_e64 s[12:13], v68, v67
	s_nop 1
	v_cndmask_b32_e64 v64, v64, v65, s[12:13]
	v_cndmask_b32_e64 v66, v69, v66, s[12:13]
	v_cmp_ge_i32_e64 s[12:13], v66, v64
	s_or_b64 s[16:17], s[12:13], s[16:17]
	s_andn2_b64 exec, exec, s[16:17]
	s_cbranch_execnz .LBB15_16
; %bb.17:                               ;   in Loop: Header=BB15_2 Depth=1
	s_or_b64 exec, exec, s[16:17]
.LBB15_18:                              ;   in Loop: Header=BB15_2 Depth=1
	s_or_b64 exec, exec, s[14:15]
	v_sub_u32_e32 v64, v19, v66
	v_lshl_add_u32 v71, v66, 2, v55
	v_lshlrev_b32_e32 v70, 2, v64
	ds_read_b32 v65, v71
	ds_read_b32 v67, v70
	v_add_u32_e32 v66, v66, v8
	v_cmp_le_i32_e64 s[14:15], v13, v66
	v_cmp_gt_i32_e64 s[12:13], v14, v64
                                        ; implicit-def: $vgpr68
                                        ; implicit-def: $vgpr69
	s_waitcnt lgkmcnt(0)
	v_cmp_lt_i32_e64 s[16:17], v67, v65
	s_or_b64 s[14:15], s[14:15], s[16:17]
	s_and_b64 s[12:13], s[12:13], s[14:15]
	s_xor_b64 s[14:15], s[12:13], -1
	s_and_saveexec_b64 s[16:17], s[14:15]
	s_xor_b64 s[14:15], exec, s[16:17]
	s_cbranch_execz .LBB15_20
; %bb.19:                               ;   in Loop: Header=BB15_2 Depth=1
	ds_read_b32 v69, v71 offset:4
	v_mov_b32_e32 v68, v67
                                        ; implicit-def: $vgpr70
.LBB15_20:                              ;   in Loop: Header=BB15_2 Depth=1
	s_andn2_saveexec_b64 s[14:15], s[14:15]
	s_cbranch_execz .LBB15_22
; %bb.21:                               ;   in Loop: Header=BB15_2 Depth=1
	ds_read_b32 v68, v70 offset:4
	s_waitcnt lgkmcnt(1)
	v_mov_b32_e32 v69, v65
.LBB15_22:                              ;   in Loop: Header=BB15_2 Depth=1
	s_or_b64 exec, exec, s[14:15]
	v_add_u32_e32 v71, 1, v66
	v_add_u32_e32 v70, 1, v64
	v_cndmask_b32_e64 v71, v71, v66, s[12:13]
	v_cndmask_b32_e64 v70, v64, v70, s[12:13]
	v_cmp_ge_i32_e64 s[16:17], v71, v13
	s_waitcnt lgkmcnt(0)
	v_cmp_lt_i32_e64 s[18:19], v68, v69
	v_cmp_lt_i32_e64 s[14:15], v70, v14
	s_or_b64 s[16:17], s[16:17], s[18:19]
	s_and_b64 s[14:15], s[14:15], s[16:17]
	s_xor_b64 s[16:17], s[14:15], -1
                                        ; implicit-def: $vgpr72
	s_and_saveexec_b64 s[18:19], s[16:17]
	s_xor_b64 s[16:17], exec, s[18:19]
	s_cbranch_execz .LBB15_24
; %bb.23:                               ;   in Loop: Header=BB15_2 Depth=1
	v_lshlrev_b32_e32 v72, 2, v71
	ds_read_b32 v72, v72 offset:4
.LBB15_24:                              ;   in Loop: Header=BB15_2 Depth=1
	s_or_saveexec_b64 s[16:17], s[16:17]
	v_mov_b32_e32 v73, v68
	s_xor_b64 exec, exec, s[16:17]
	s_cbranch_execz .LBB15_26
; %bb.25:                               ;   in Loop: Header=BB15_2 Depth=1
	s_waitcnt lgkmcnt(0)
	v_lshlrev_b32_e32 v72, 2, v70
	ds_read_b32 v73, v72 offset:4
	v_mov_b32_e32 v72, v69
.LBB15_26:                              ;   in Loop: Header=BB15_2 Depth=1
	s_or_b64 exec, exec, s[16:17]
	v_add_u32_e32 v74, 1, v71
	v_cndmask_b32_e64 v68, v69, v68, s[14:15]
	v_add_u32_e32 v69, 1, v70
	v_cndmask_b32_e64 v74, v74, v71, s[14:15]
	v_cndmask_b32_e64 v69, v70, v69, s[14:15]
	;; [unrolled: 1-line block ×3, first 2 shown]
	v_cmp_ge_i32_e64 s[14:15], v74, v13
	s_waitcnt lgkmcnt(0)
	v_cmp_lt_i32_e64 s[16:17], v73, v72
	v_cndmask_b32_e64 v65, v65, v67, s[12:13]
	v_cndmask_b32_e64 v64, v66, v64, s[12:13]
	v_cmp_lt_i32_e64 s[12:13], v69, v14
	s_or_b64 s[14:15], s[14:15], s[16:17]
	s_and_b64 s[12:13], s[12:13], s[14:15]
	v_cndmask_b32_e64 v67, v74, v69, s[12:13]
	s_barrier
	ds_write2_b32 v2, v61, v62 offset1:1
	ds_write_b32 v2, v63 offset:8
	v_lshlrev_b32_e32 v61, 2, v64
	v_lshlrev_b32_e32 v62, 2, v70
	;; [unrolled: 1-line block ×3, first 2 shown]
	s_waitcnt lgkmcnt(0)
	s_barrier
	ds_read_b32 v61, v61
	ds_read_b32 v62, v62
	;; [unrolled: 1-line block ×3, first 2 shown]
	v_cndmask_b32_e64 v66, v72, v73, s[12:13]
	s_waitcnt lgkmcnt(0)
	s_barrier
	ds_write2_b32 v2, v65, v68 offset1:1
	ds_write_b32 v2, v66 offset:8
	v_mov_b32_e32 v66, v28
	s_waitcnt lgkmcnt(0)
	s_barrier
	s_and_saveexec_b64 s[14:15], s[2:3]
	s_cbranch_execz .LBB15_30
; %bb.27:                               ;   in Loop: Header=BB15_2 Depth=1
	s_mov_b64 s[16:17], 0
	v_mov_b32_e32 v66, v28
	v_mov_b32_e32 v64, v24
.LBB15_28:                              ;   Parent Loop BB15_2 Depth=1
                                        ; =>  This Inner Loop Header: Depth=2
	v_sub_u32_e32 v65, v64, v66
	v_lshrrev_b32_e32 v67, 31, v65
	v_add_u32_e32 v65, v65, v67
	v_ashrrev_i32_e32 v65, 1, v65
	v_add_u32_e32 v65, v65, v66
	v_xad_u32 v68, v65, -1, v5
	v_lshl_add_u32 v67, v65, 2, v56
	v_lshl_add_u32 v68, v68, 2, v51
	ds_read_b32 v67, v67
	ds_read_b32 v68, v68
	v_add_u32_e32 v69, 1, v65
	s_waitcnt lgkmcnt(0)
	v_cmp_lt_i32_e64 s[12:13], v68, v67
	s_nop 1
	v_cndmask_b32_e64 v64, v64, v65, s[12:13]
	v_cndmask_b32_e64 v66, v69, v66, s[12:13]
	v_cmp_ge_i32_e64 s[12:13], v66, v64
	s_or_b64 s[16:17], s[12:13], s[16:17]
	s_andn2_b64 exec, exec, s[16:17]
	s_cbranch_execnz .LBB15_28
; %bb.29:                               ;   in Loop: Header=BB15_2 Depth=1
	s_or_b64 exec, exec, s[16:17]
.LBB15_30:                              ;   in Loop: Header=BB15_2 Depth=1
	s_or_b64 exec, exec, s[14:15]
	v_sub_u32_e32 v64, v20, v66
	v_lshl_add_u32 v71, v66, 2, v56
	v_lshlrev_b32_e32 v70, 2, v64
	ds_read_b32 v65, v71
	ds_read_b32 v67, v70
	v_add_u32_e32 v66, v66, v9
	v_cmp_le_i32_e64 s[14:15], v15, v66
	v_cmp_gt_i32_e64 s[12:13], v16, v64
                                        ; implicit-def: $vgpr68
                                        ; implicit-def: $vgpr69
	s_waitcnt lgkmcnt(0)
	v_cmp_lt_i32_e64 s[16:17], v67, v65
	s_or_b64 s[14:15], s[14:15], s[16:17]
	s_and_b64 s[12:13], s[12:13], s[14:15]
	s_xor_b64 s[14:15], s[12:13], -1
	s_and_saveexec_b64 s[16:17], s[14:15]
	s_xor_b64 s[14:15], exec, s[16:17]
	s_cbranch_execz .LBB15_32
; %bb.31:                               ;   in Loop: Header=BB15_2 Depth=1
	ds_read_b32 v69, v71 offset:4
	v_mov_b32_e32 v68, v67
                                        ; implicit-def: $vgpr70
.LBB15_32:                              ;   in Loop: Header=BB15_2 Depth=1
	s_andn2_saveexec_b64 s[14:15], s[14:15]
	s_cbranch_execz .LBB15_34
; %bb.33:                               ;   in Loop: Header=BB15_2 Depth=1
	ds_read_b32 v68, v70 offset:4
	s_waitcnt lgkmcnt(1)
	v_mov_b32_e32 v69, v65
.LBB15_34:                              ;   in Loop: Header=BB15_2 Depth=1
	s_or_b64 exec, exec, s[14:15]
	v_add_u32_e32 v71, 1, v66
	v_add_u32_e32 v70, 1, v64
	v_cndmask_b32_e64 v71, v71, v66, s[12:13]
	v_cndmask_b32_e64 v70, v64, v70, s[12:13]
	v_cmp_ge_i32_e64 s[16:17], v71, v15
	s_waitcnt lgkmcnt(0)
	v_cmp_lt_i32_e64 s[18:19], v68, v69
	v_cmp_lt_i32_e64 s[14:15], v70, v16
	s_or_b64 s[16:17], s[16:17], s[18:19]
	s_and_b64 s[14:15], s[14:15], s[16:17]
	s_xor_b64 s[16:17], s[14:15], -1
                                        ; implicit-def: $vgpr72
	s_and_saveexec_b64 s[18:19], s[16:17]
	s_xor_b64 s[16:17], exec, s[18:19]
	s_cbranch_execz .LBB15_36
; %bb.35:                               ;   in Loop: Header=BB15_2 Depth=1
	v_lshlrev_b32_e32 v72, 2, v71
	ds_read_b32 v72, v72 offset:4
.LBB15_36:                              ;   in Loop: Header=BB15_2 Depth=1
	s_or_saveexec_b64 s[16:17], s[16:17]
	v_mov_b32_e32 v73, v68
	s_xor_b64 exec, exec, s[16:17]
	s_cbranch_execz .LBB15_38
; %bb.37:                               ;   in Loop: Header=BB15_2 Depth=1
	s_waitcnt lgkmcnt(0)
	v_lshlrev_b32_e32 v72, 2, v70
	ds_read_b32 v73, v72 offset:4
	v_mov_b32_e32 v72, v69
.LBB15_38:                              ;   in Loop: Header=BB15_2 Depth=1
	s_or_b64 exec, exec, s[16:17]
	v_add_u32_e32 v74, 1, v71
	v_cndmask_b32_e64 v68, v69, v68, s[14:15]
	v_add_u32_e32 v69, 1, v70
	v_cndmask_b32_e64 v74, v74, v71, s[14:15]
	v_cndmask_b32_e64 v69, v70, v69, s[14:15]
	;; [unrolled: 1-line block ×3, first 2 shown]
	v_cmp_ge_i32_e64 s[14:15], v74, v15
	s_waitcnt lgkmcnt(0)
	v_cmp_lt_i32_e64 s[16:17], v73, v72
	v_cndmask_b32_e64 v65, v65, v67, s[12:13]
	v_cndmask_b32_e64 v64, v66, v64, s[12:13]
	v_cmp_lt_i32_e64 s[12:13], v69, v16
	s_or_b64 s[14:15], s[14:15], s[16:17]
	s_and_b64 s[12:13], s[12:13], s[14:15]
	v_cndmask_b32_e64 v67, v74, v69, s[12:13]
	s_barrier
	ds_write2_b32 v2, v61, v62 offset1:1
	ds_write_b32 v2, v63 offset:8
	v_lshlrev_b32_e32 v61, 2, v64
	v_lshlrev_b32_e32 v62, 2, v70
	;; [unrolled: 1-line block ×3, first 2 shown]
	s_waitcnt lgkmcnt(0)
	s_barrier
	ds_read_b32 v61, v61
	ds_read_b32 v62, v62
	;; [unrolled: 1-line block ×3, first 2 shown]
	v_cndmask_b32_e64 v66, v72, v73, s[12:13]
	s_waitcnt lgkmcnt(0)
	s_barrier
	ds_write2_b32 v2, v65, v68 offset1:1
	ds_write_b32 v2, v66 offset:8
	v_mov_b32_e32 v66, v29
	s_waitcnt lgkmcnt(0)
	s_barrier
	s_and_saveexec_b64 s[14:15], s[4:5]
	s_cbranch_execz .LBB15_42
; %bb.39:                               ;   in Loop: Header=BB15_2 Depth=1
	s_mov_b64 s[16:17], 0
	v_mov_b32_e32 v66, v29
	v_mov_b32_e32 v64, v25
.LBB15_40:                              ;   Parent Loop BB15_2 Depth=1
                                        ; =>  This Inner Loop Header: Depth=2
	v_sub_u32_e32 v65, v64, v66
	v_lshrrev_b32_e32 v67, 31, v65
	v_add_u32_e32 v65, v65, v67
	v_ashrrev_i32_e32 v65, 1, v65
	v_add_u32_e32 v65, v65, v66
	v_xad_u32 v68, v65, -1, v6
	v_lshl_add_u32 v67, v65, 2, v57
	v_lshl_add_u32 v68, v68, 2, v46
	ds_read_b32 v67, v67
	ds_read_b32 v68, v68
	v_add_u32_e32 v69, 1, v65
	s_waitcnt lgkmcnt(0)
	v_cmp_lt_i32_e64 s[12:13], v68, v67
	s_nop 1
	v_cndmask_b32_e64 v64, v64, v65, s[12:13]
	v_cndmask_b32_e64 v66, v69, v66, s[12:13]
	v_cmp_ge_i32_e64 s[12:13], v66, v64
	s_or_b64 s[16:17], s[12:13], s[16:17]
	s_andn2_b64 exec, exec, s[16:17]
	s_cbranch_execnz .LBB15_40
; %bb.41:                               ;   in Loop: Header=BB15_2 Depth=1
	s_or_b64 exec, exec, s[16:17]
.LBB15_42:                              ;   in Loop: Header=BB15_2 Depth=1
	s_or_b64 exec, exec, s[14:15]
	v_sub_u32_e32 v64, v21, v66
	v_lshl_add_u32 v71, v66, 2, v57
	v_lshlrev_b32_e32 v70, 2, v64
	ds_read_b32 v65, v71
	ds_read_b32 v67, v70
	v_add_u32_e32 v66, v66, v10
	v_cmp_le_i32_e64 s[14:15], v17, v66
	v_cmp_gt_i32_e64 s[12:13], v18, v64
                                        ; implicit-def: $vgpr68
                                        ; implicit-def: $vgpr69
	s_waitcnt lgkmcnt(0)
	v_cmp_lt_i32_e64 s[16:17], v67, v65
	s_or_b64 s[14:15], s[14:15], s[16:17]
	s_and_b64 s[12:13], s[12:13], s[14:15]
	s_xor_b64 s[14:15], s[12:13], -1
	s_and_saveexec_b64 s[16:17], s[14:15]
	s_xor_b64 s[14:15], exec, s[16:17]
	s_cbranch_execz .LBB15_44
; %bb.43:                               ;   in Loop: Header=BB15_2 Depth=1
	ds_read_b32 v69, v71 offset:4
	v_mov_b32_e32 v68, v67
                                        ; implicit-def: $vgpr70
.LBB15_44:                              ;   in Loop: Header=BB15_2 Depth=1
	s_andn2_saveexec_b64 s[14:15], s[14:15]
	s_cbranch_execz .LBB15_46
; %bb.45:                               ;   in Loop: Header=BB15_2 Depth=1
	ds_read_b32 v68, v70 offset:4
	s_waitcnt lgkmcnt(1)
	v_mov_b32_e32 v69, v65
.LBB15_46:                              ;   in Loop: Header=BB15_2 Depth=1
	s_or_b64 exec, exec, s[14:15]
	v_add_u32_e32 v71, 1, v66
	v_add_u32_e32 v70, 1, v64
	v_cndmask_b32_e64 v71, v71, v66, s[12:13]
	v_cndmask_b32_e64 v70, v64, v70, s[12:13]
	v_cmp_ge_i32_e64 s[16:17], v71, v17
	s_waitcnt lgkmcnt(0)
	v_cmp_lt_i32_e64 s[18:19], v68, v69
	v_cmp_lt_i32_e64 s[14:15], v70, v18
	s_or_b64 s[16:17], s[16:17], s[18:19]
	s_and_b64 s[14:15], s[14:15], s[16:17]
	s_xor_b64 s[16:17], s[14:15], -1
                                        ; implicit-def: $vgpr72
	s_and_saveexec_b64 s[18:19], s[16:17]
	s_xor_b64 s[16:17], exec, s[18:19]
	s_cbranch_execz .LBB15_48
; %bb.47:                               ;   in Loop: Header=BB15_2 Depth=1
	v_lshlrev_b32_e32 v72, 2, v71
	ds_read_b32 v72, v72 offset:4
.LBB15_48:                              ;   in Loop: Header=BB15_2 Depth=1
	s_or_saveexec_b64 s[16:17], s[16:17]
	v_mov_b32_e32 v73, v68
	s_xor_b64 exec, exec, s[16:17]
	s_cbranch_execz .LBB15_50
; %bb.49:                               ;   in Loop: Header=BB15_2 Depth=1
	s_waitcnt lgkmcnt(0)
	v_lshlrev_b32_e32 v72, 2, v70
	ds_read_b32 v73, v72 offset:4
	v_mov_b32_e32 v72, v69
.LBB15_50:                              ;   in Loop: Header=BB15_2 Depth=1
	s_or_b64 exec, exec, s[16:17]
	v_add_u32_e32 v74, 1, v71
	v_cndmask_b32_e64 v68, v69, v68, s[14:15]
	v_add_u32_e32 v69, 1, v70
	v_cndmask_b32_e64 v74, v74, v71, s[14:15]
	v_cndmask_b32_e64 v69, v70, v69, s[14:15]
	;; [unrolled: 1-line block ×3, first 2 shown]
	v_cmp_ge_i32_e64 s[14:15], v74, v17
	s_waitcnt lgkmcnt(0)
	v_cmp_lt_i32_e64 s[16:17], v73, v72
	v_cndmask_b32_e64 v65, v65, v67, s[12:13]
	v_cndmask_b32_e64 v64, v66, v64, s[12:13]
	v_cmp_lt_i32_e64 s[12:13], v69, v18
	s_or_b64 s[14:15], s[14:15], s[16:17]
	s_and_b64 s[12:13], s[12:13], s[14:15]
	v_cndmask_b32_e64 v67, v74, v69, s[12:13]
	s_barrier
	ds_write2_b32 v2, v61, v62 offset1:1
	ds_write_b32 v2, v63 offset:8
	v_lshlrev_b32_e32 v61, 2, v64
	v_lshlrev_b32_e32 v62, 2, v70
	v_lshlrev_b32_e32 v63, 2, v67
	s_waitcnt lgkmcnt(0)
	s_barrier
	ds_read_b32 v61, v61
	ds_read_b32 v62, v62
	ds_read_b32 v63, v63
	v_cndmask_b32_e64 v66, v72, v73, s[12:13]
	s_waitcnt lgkmcnt(0)
	s_barrier
	ds_write2_b32 v2, v65, v68 offset1:1
	ds_write_b32 v2, v66 offset:8
	v_mov_b32_e32 v66, v34
	s_waitcnt lgkmcnt(0)
	s_barrier
	s_and_saveexec_b64 s[14:15], s[6:7]
	s_cbranch_execz .LBB15_54
; %bb.51:                               ;   in Loop: Header=BB15_2 Depth=1
	s_mov_b64 s[16:17], 0
	v_mov_b32_e32 v66, v34
	v_mov_b32_e32 v64, v35
.LBB15_52:                              ;   Parent Loop BB15_2 Depth=1
                                        ; =>  This Inner Loop Header: Depth=2
	v_sub_u32_e32 v65, v64, v66
	v_lshrrev_b32_e32 v67, 31, v65
	v_add_u32_e32 v65, v65, v67
	v_ashrrev_i32_e32 v65, 1, v65
	v_add_u32_e32 v65, v65, v66
	v_xad_u32 v68, v65, -1, v30
	v_lshl_add_u32 v67, v65, 2, v58
	v_lshl_add_u32 v68, v68, 2, v52
	ds_read_b32 v67, v67
	ds_read_b32 v68, v68
	v_add_u32_e32 v69, 1, v65
	s_waitcnt lgkmcnt(0)
	v_cmp_lt_i32_e64 s[12:13], v68, v67
	s_nop 1
	v_cndmask_b32_e64 v64, v64, v65, s[12:13]
	v_cndmask_b32_e64 v66, v69, v66, s[12:13]
	v_cmp_ge_i32_e64 s[12:13], v66, v64
	s_or_b64 s[16:17], s[12:13], s[16:17]
	s_andn2_b64 exec, exec, s[16:17]
	s_cbranch_execnz .LBB15_52
; %bb.53:                               ;   in Loop: Header=BB15_2 Depth=1
	s_or_b64 exec, exec, s[16:17]
.LBB15_54:                              ;   in Loop: Header=BB15_2 Depth=1
	s_or_b64 exec, exec, s[14:15]
	v_sub_u32_e32 v64, v36, v66
	v_lshl_add_u32 v71, v66, 2, v58
	v_lshlrev_b32_e32 v70, 2, v64
	ds_read_b32 v65, v71
	ds_read_b32 v67, v70
	v_add_u32_e32 v66, v66, v31
	v_cmp_le_i32_e64 s[14:15], v32, v66
	v_cmp_gt_i32_e64 s[12:13], v33, v64
                                        ; implicit-def: $vgpr68
                                        ; implicit-def: $vgpr69
	s_waitcnt lgkmcnt(0)
	v_cmp_lt_i32_e64 s[16:17], v67, v65
	s_or_b64 s[14:15], s[14:15], s[16:17]
	s_and_b64 s[12:13], s[12:13], s[14:15]
	s_xor_b64 s[14:15], s[12:13], -1
	s_and_saveexec_b64 s[16:17], s[14:15]
	s_xor_b64 s[14:15], exec, s[16:17]
	s_cbranch_execz .LBB15_56
; %bb.55:                               ;   in Loop: Header=BB15_2 Depth=1
	ds_read_b32 v69, v71 offset:4
	v_mov_b32_e32 v68, v67
                                        ; implicit-def: $vgpr70
.LBB15_56:                              ;   in Loop: Header=BB15_2 Depth=1
	s_andn2_saveexec_b64 s[14:15], s[14:15]
	s_cbranch_execz .LBB15_58
; %bb.57:                               ;   in Loop: Header=BB15_2 Depth=1
	ds_read_b32 v68, v70 offset:4
	s_waitcnt lgkmcnt(1)
	v_mov_b32_e32 v69, v65
.LBB15_58:                              ;   in Loop: Header=BB15_2 Depth=1
	s_or_b64 exec, exec, s[14:15]
	v_add_u32_e32 v71, 1, v66
	v_add_u32_e32 v70, 1, v64
	v_cndmask_b32_e64 v71, v71, v66, s[12:13]
	v_cndmask_b32_e64 v70, v64, v70, s[12:13]
	v_cmp_ge_i32_e64 s[16:17], v71, v32
	s_waitcnt lgkmcnt(0)
	v_cmp_lt_i32_e64 s[18:19], v68, v69
	v_cmp_lt_i32_e64 s[14:15], v70, v33
	s_or_b64 s[16:17], s[16:17], s[18:19]
	s_and_b64 s[14:15], s[14:15], s[16:17]
	s_xor_b64 s[16:17], s[14:15], -1
                                        ; implicit-def: $vgpr72
	s_and_saveexec_b64 s[18:19], s[16:17]
	s_xor_b64 s[16:17], exec, s[18:19]
	s_cbranch_execz .LBB15_60
; %bb.59:                               ;   in Loop: Header=BB15_2 Depth=1
	v_lshlrev_b32_e32 v72, 2, v71
	ds_read_b32 v72, v72 offset:4
.LBB15_60:                              ;   in Loop: Header=BB15_2 Depth=1
	s_or_saveexec_b64 s[16:17], s[16:17]
	v_mov_b32_e32 v73, v68
	s_xor_b64 exec, exec, s[16:17]
	s_cbranch_execz .LBB15_62
; %bb.61:                               ;   in Loop: Header=BB15_2 Depth=1
	s_waitcnt lgkmcnt(0)
	v_lshlrev_b32_e32 v72, 2, v70
	ds_read_b32 v73, v72 offset:4
	v_mov_b32_e32 v72, v69
.LBB15_62:                              ;   in Loop: Header=BB15_2 Depth=1
	s_or_b64 exec, exec, s[16:17]
	v_add_u32_e32 v74, 1, v71
	v_cndmask_b32_e64 v68, v69, v68, s[14:15]
	v_add_u32_e32 v69, 1, v70
	v_cndmask_b32_e64 v74, v74, v71, s[14:15]
	v_cndmask_b32_e64 v69, v70, v69, s[14:15]
	;; [unrolled: 1-line block ×3, first 2 shown]
	v_cmp_ge_i32_e64 s[14:15], v74, v32
	s_waitcnt lgkmcnt(0)
	v_cmp_lt_i32_e64 s[16:17], v73, v72
	v_cndmask_b32_e64 v65, v65, v67, s[12:13]
	v_cndmask_b32_e64 v64, v66, v64, s[12:13]
	v_cmp_lt_i32_e64 s[12:13], v69, v33
	s_or_b64 s[14:15], s[14:15], s[16:17]
	s_and_b64 s[12:13], s[12:13], s[14:15]
	v_cndmask_b32_e64 v67, v74, v69, s[12:13]
	s_barrier
	ds_write2_b32 v2, v61, v62 offset1:1
	ds_write_b32 v2, v63 offset:8
	v_lshlrev_b32_e32 v61, 2, v64
	v_lshlrev_b32_e32 v62, 2, v70
	;; [unrolled: 1-line block ×3, first 2 shown]
	s_waitcnt lgkmcnt(0)
	s_barrier
	ds_read_b32 v61, v61
	ds_read_b32 v62, v62
	;; [unrolled: 1-line block ×3, first 2 shown]
	v_cndmask_b32_e64 v66, v72, v73, s[12:13]
	s_waitcnt lgkmcnt(0)
	s_barrier
	ds_write2_b32 v2, v65, v68 offset1:1
	ds_write_b32 v2, v66 offset:8
	v_mov_b32_e32 v66, v42
	s_waitcnt lgkmcnt(0)
	s_barrier
	s_and_saveexec_b64 s[14:15], s[8:9]
	s_cbranch_execz .LBB15_66
; %bb.63:                               ;   in Loop: Header=BB15_2 Depth=1
	s_mov_b64 s[16:17], 0
	v_mov_b32_e32 v66, v42
	v_mov_b32_e32 v64, v43
.LBB15_64:                              ;   Parent Loop BB15_2 Depth=1
                                        ; =>  This Inner Loop Header: Depth=2
	v_sub_u32_e32 v65, v64, v66
	v_lshrrev_b32_e32 v67, 31, v65
	v_add_u32_e32 v65, v65, v67
	v_ashrrev_i32_e32 v65, 1, v65
	v_add_u32_e32 v65, v65, v66
	v_xad_u32 v68, v65, -1, v37
	v_lshl_add_u32 v67, v65, 2, v59
	v_lshl_add_u32 v68, v68, 2, v47
	ds_read_b32 v67, v67
	ds_read_b32 v68, v68
	v_add_u32_e32 v69, 1, v65
	s_waitcnt lgkmcnt(0)
	v_cmp_lt_i32_e64 s[12:13], v68, v67
	s_nop 1
	v_cndmask_b32_e64 v64, v64, v65, s[12:13]
	v_cndmask_b32_e64 v66, v69, v66, s[12:13]
	v_cmp_ge_i32_e64 s[12:13], v66, v64
	s_or_b64 s[16:17], s[12:13], s[16:17]
	s_andn2_b64 exec, exec, s[16:17]
	s_cbranch_execnz .LBB15_64
; %bb.65:                               ;   in Loop: Header=BB15_2 Depth=1
	s_or_b64 exec, exec, s[16:17]
.LBB15_66:                              ;   in Loop: Header=BB15_2 Depth=1
	s_or_b64 exec, exec, s[14:15]
	v_sub_u32_e32 v64, v44, v66
	v_lshl_add_u32 v71, v66, 2, v59
	v_lshlrev_b32_e32 v70, 2, v64
	ds_read_b32 v65, v71
	ds_read_b32 v67, v70
	v_add_u32_e32 v66, v66, v38
	v_cmp_le_i32_e64 s[14:15], v39, v66
	v_cmp_gt_i32_e64 s[12:13], v41, v64
                                        ; implicit-def: $vgpr68
                                        ; implicit-def: $vgpr69
	s_waitcnt lgkmcnt(0)
	v_cmp_lt_i32_e64 s[16:17], v67, v65
	s_or_b64 s[14:15], s[14:15], s[16:17]
	s_and_b64 s[12:13], s[12:13], s[14:15]
	s_xor_b64 s[14:15], s[12:13], -1
	s_and_saveexec_b64 s[16:17], s[14:15]
	s_xor_b64 s[14:15], exec, s[16:17]
	s_cbranch_execz .LBB15_68
; %bb.67:                               ;   in Loop: Header=BB15_2 Depth=1
	ds_read_b32 v69, v71 offset:4
	v_mov_b32_e32 v68, v67
                                        ; implicit-def: $vgpr70
.LBB15_68:                              ;   in Loop: Header=BB15_2 Depth=1
	s_andn2_saveexec_b64 s[14:15], s[14:15]
	s_cbranch_execz .LBB15_70
; %bb.69:                               ;   in Loop: Header=BB15_2 Depth=1
	ds_read_b32 v68, v70 offset:4
	s_waitcnt lgkmcnt(1)
	v_mov_b32_e32 v69, v65
.LBB15_70:                              ;   in Loop: Header=BB15_2 Depth=1
	s_or_b64 exec, exec, s[14:15]
	v_add_u32_e32 v71, 1, v66
	v_add_u32_e32 v70, 1, v64
	v_cndmask_b32_e64 v71, v71, v66, s[12:13]
	v_cndmask_b32_e64 v70, v64, v70, s[12:13]
	v_cmp_ge_i32_e64 s[16:17], v71, v39
	s_waitcnt lgkmcnt(0)
	v_cmp_lt_i32_e64 s[18:19], v68, v69
	v_cmp_lt_i32_e64 s[14:15], v70, v41
	s_or_b64 s[16:17], s[16:17], s[18:19]
	s_and_b64 s[14:15], s[14:15], s[16:17]
	s_xor_b64 s[16:17], s[14:15], -1
                                        ; implicit-def: $vgpr72
	s_and_saveexec_b64 s[18:19], s[16:17]
	s_xor_b64 s[16:17], exec, s[18:19]
	s_cbranch_execz .LBB15_72
; %bb.71:                               ;   in Loop: Header=BB15_2 Depth=1
	v_lshlrev_b32_e32 v72, 2, v71
	ds_read_b32 v72, v72 offset:4
.LBB15_72:                              ;   in Loop: Header=BB15_2 Depth=1
	s_or_saveexec_b64 s[16:17], s[16:17]
	v_mov_b32_e32 v73, v68
	s_xor_b64 exec, exec, s[16:17]
	s_cbranch_execz .LBB15_74
; %bb.73:                               ;   in Loop: Header=BB15_2 Depth=1
	s_waitcnt lgkmcnt(0)
	v_lshlrev_b32_e32 v72, 2, v70
	ds_read_b32 v73, v72 offset:4
	v_mov_b32_e32 v72, v69
.LBB15_74:                              ;   in Loop: Header=BB15_2 Depth=1
	s_or_b64 exec, exec, s[16:17]
	v_add_u32_e32 v74, 1, v71
	v_cndmask_b32_e64 v68, v69, v68, s[14:15]
	v_add_u32_e32 v69, 1, v70
	v_cndmask_b32_e64 v74, v74, v71, s[14:15]
	v_cndmask_b32_e64 v69, v70, v69, s[14:15]
	;; [unrolled: 1-line block ×3, first 2 shown]
	v_cmp_ge_i32_e64 s[14:15], v74, v39
	s_waitcnt lgkmcnt(0)
	v_cmp_lt_i32_e64 s[16:17], v73, v72
	v_cndmask_b32_e64 v65, v65, v67, s[12:13]
	v_cndmask_b32_e64 v64, v66, v64, s[12:13]
	v_cmp_lt_i32_e64 s[12:13], v69, v41
	s_or_b64 s[14:15], s[14:15], s[16:17]
	s_and_b64 s[12:13], s[12:13], s[14:15]
	v_cndmask_b32_e64 v67, v74, v69, s[12:13]
	s_barrier
	ds_write2_b32 v2, v61, v62 offset1:1
	ds_write_b32 v2, v63 offset:8
	v_lshlrev_b32_e32 v61, 2, v64
	v_lshlrev_b32_e32 v62, 2, v70
	;; [unrolled: 1-line block ×3, first 2 shown]
	s_waitcnt lgkmcnt(0)
	s_barrier
	ds_read_b32 v61, v61
	ds_read_b32 v62, v62
	ds_read_b32 v63, v63
	v_mov_b32_e32 v64, v45
	v_cndmask_b32_e64 v66, v72, v73, s[12:13]
	s_waitcnt lgkmcnt(0)
	s_barrier
	ds_write2_b32 v2, v65, v68 offset1:1
	ds_write_b32 v2, v66 offset:8
	s_waitcnt lgkmcnt(0)
	s_barrier
	s_and_saveexec_b64 s[14:15], s[10:11]
	s_cbranch_execz .LBB15_78
; %bb.75:                               ;   in Loop: Header=BB15_2 Depth=1
	s_mov_b64 s[16:17], 0
	v_mov_b32_e32 v64, v45
	v_mov_b32_e32 v65, v48
.LBB15_76:                              ;   Parent Loop BB15_2 Depth=1
                                        ; =>  This Inner Loop Header: Depth=2
	v_sub_u32_e32 v66, v65, v64
	v_lshrrev_b32_e32 v67, 31, v66
	v_add_u32_e32 v66, v66, v67
	v_ashrrev_i32_e32 v66, 1, v66
	v_add_u32_e32 v66, v66, v64
	v_xad_u32 v68, v66, -1, v1
	v_mov_b32_e32 v69, 0x300
	v_lshlrev_b32_e32 v67, 2, v66
	v_lshl_add_u32 v68, v68, 2, v69
	ds_read_b32 v67, v67
	ds_read_b32 v68, v68
	v_add_u32_e32 v69, 1, v66
	s_waitcnt lgkmcnt(0)
	v_cmp_lt_i32_e64 s[12:13], v68, v67
	s_nop 1
	v_cndmask_b32_e64 v65, v65, v66, s[12:13]
	v_cndmask_b32_e64 v64, v69, v64, s[12:13]
	v_cmp_ge_i32_e64 s[12:13], v64, v65
	s_or_b64 s[16:17], s[12:13], s[16:17]
	s_andn2_b64 exec, exec, s[16:17]
	s_cbranch_execnz .LBB15_76
; %bb.77:                               ;   in Loop: Header=BB15_2 Depth=1
	s_or_b64 exec, exec, s[16:17]
.LBB15_78:                              ;   in Loop: Header=BB15_2 Depth=1
	s_or_b64 exec, exec, s[14:15]
	v_sub_u32_e32 v69, v60, v64
	v_lshlrev_b32_e32 v71, 2, v64
	v_lshlrev_b32_e32 v70, 2, v69
	ds_read_b32 v65, v71
	ds_read_b32 v66, v70
	v_cmp_le_i32_e64 s[14:15], v40, v64
	v_cmp_gt_i32_e64 s[12:13], s30, v69
                                        ; implicit-def: $vgpr67
                                        ; implicit-def: $vgpr68
	s_waitcnt lgkmcnt(0)
	v_cmp_lt_i32_e64 s[16:17], v66, v65
	s_or_b64 s[14:15], s[14:15], s[16:17]
	s_and_b64 s[12:13], s[12:13], s[14:15]
	s_xor_b64 s[14:15], s[12:13], -1
	s_and_saveexec_b64 s[16:17], s[14:15]
	s_xor_b64 s[14:15], exec, s[16:17]
	s_cbranch_execz .LBB15_80
; %bb.79:                               ;   in Loop: Header=BB15_2 Depth=1
	ds_read_b32 v68, v71 offset:4
	v_mov_b32_e32 v67, v66
                                        ; implicit-def: $vgpr70
.LBB15_80:                              ;   in Loop: Header=BB15_2 Depth=1
	s_andn2_saveexec_b64 s[14:15], s[14:15]
	s_cbranch_execz .LBB15_82
; %bb.81:                               ;   in Loop: Header=BB15_2 Depth=1
	ds_read_b32 v67, v70 offset:4
	s_waitcnt lgkmcnt(1)
	v_mov_b32_e32 v68, v65
.LBB15_82:                              ;   in Loop: Header=BB15_2 Depth=1
	s_or_b64 exec, exec, s[14:15]
	v_add_u32_e32 v71, 1, v64
	v_add_u32_e32 v70, 1, v69
	v_cndmask_b32_e64 v71, v71, v64, s[12:13]
	v_cndmask_b32_e64 v70, v69, v70, s[12:13]
	v_cmp_ge_i32_e64 s[16:17], v71, v40
	s_waitcnt lgkmcnt(0)
	v_cmp_lt_i32_e64 s[18:19], v67, v68
	v_cmp_gt_i32_e64 s[14:15], s30, v70
	s_or_b64 s[16:17], s[16:17], s[18:19]
	s_and_b64 s[14:15], s[14:15], s[16:17]
	s_xor_b64 s[16:17], s[14:15], -1
                                        ; implicit-def: $vgpr73
                                        ; implicit-def: $vgpr72
	s_and_saveexec_b64 s[18:19], s[16:17]
	s_xor_b64 s[16:17], exec, s[18:19]
	s_cbranch_execz .LBB15_84
; %bb.83:                               ;   in Loop: Header=BB15_2 Depth=1
	v_lshlrev_b32_e32 v72, 2, v71
	ds_read_b32 v73, v72 offset:4
	v_add_u32_e32 v72, 1, v71
.LBB15_84:                              ;   in Loop: Header=BB15_2 Depth=1
	s_or_saveexec_b64 s[16:17], s[16:17]
	v_mov_b32_e32 v74, v71
	v_mov_b32_e32 v75, v67
	s_xor_b64 exec, exec, s[16:17]
	s_cbranch_execz .LBB15_1
; %bb.85:                               ;   in Loop: Header=BB15_2 Depth=1
	v_lshlrev_b32_e32 v72, 2, v70
	ds_read_b32 v75, v72 offset:4
	s_waitcnt lgkmcnt(1)
	v_add_u32_e32 v73, 1, v70
	v_mov_b32_e32 v74, v70
	v_mov_b32_e32 v72, v71
	;; [unrolled: 1-line block ×4, first 2 shown]
	s_branch .LBB15_1
.LBB15_86:
	s_add_u32 s0, s26, s28
	s_waitcnt lgkmcnt(2)
	v_add_u32_e32 v1, v65, v61
	s_addc_u32 s1, s27, s29
	v_lshlrev_b32_e32 v0, 2, v0
	s_waitcnt lgkmcnt(1)
	v_add_u32_e32 v2, v66, v63
	s_waitcnt lgkmcnt(0)
	v_add_u32_e32 v3, v64, v62
	global_store_dword v0, v1, s[0:1]
	global_store_dword v0, v2, s[0:1] offset:512
	global_store_dword v0, v3, s[0:1] offset:1024
	s_endpgm
	.section	.rodata,"a",@progbits
	.p2align	6, 0x0
	.amdhsa_kernel _Z17sort_pairs_kernelIiLj128ELj3EN10test_utils4lessELj10EEvPKT_PS2_T2_
		.amdhsa_group_segment_fixed_size 1540
		.amdhsa_private_segment_fixed_size 0
		.amdhsa_kernarg_size 20
		.amdhsa_user_sgpr_count 2
		.amdhsa_user_sgpr_dispatch_ptr 0
		.amdhsa_user_sgpr_queue_ptr 0
		.amdhsa_user_sgpr_kernarg_segment_ptr 1
		.amdhsa_user_sgpr_dispatch_id 0
		.amdhsa_user_sgpr_kernarg_preload_length 0
		.amdhsa_user_sgpr_kernarg_preload_offset 0
		.amdhsa_user_sgpr_private_segment_size 0
		.amdhsa_uses_dynamic_stack 0
		.amdhsa_enable_private_segment 0
		.amdhsa_system_sgpr_workgroup_id_x 1
		.amdhsa_system_sgpr_workgroup_id_y 0
		.amdhsa_system_sgpr_workgroup_id_z 0
		.amdhsa_system_sgpr_workgroup_info 0
		.amdhsa_system_vgpr_workitem_id 0
		.amdhsa_next_free_vgpr 76
		.amdhsa_next_free_sgpr 32
		.amdhsa_accum_offset 76
		.amdhsa_reserve_vcc 1
		.amdhsa_float_round_mode_32 0
		.amdhsa_float_round_mode_16_64 0
		.amdhsa_float_denorm_mode_32 3
		.amdhsa_float_denorm_mode_16_64 3
		.amdhsa_dx10_clamp 1
		.amdhsa_ieee_mode 1
		.amdhsa_fp16_overflow 0
		.amdhsa_tg_split 0
		.amdhsa_exception_fp_ieee_invalid_op 0
		.amdhsa_exception_fp_denorm_src 0
		.amdhsa_exception_fp_ieee_div_zero 0
		.amdhsa_exception_fp_ieee_overflow 0
		.amdhsa_exception_fp_ieee_underflow 0
		.amdhsa_exception_fp_ieee_inexact 0
		.amdhsa_exception_int_div_zero 0
	.end_amdhsa_kernel
	.section	.text._Z17sort_pairs_kernelIiLj128ELj3EN10test_utils4lessELj10EEvPKT_PS2_T2_,"axG",@progbits,_Z17sort_pairs_kernelIiLj128ELj3EN10test_utils4lessELj10EEvPKT_PS2_T2_,comdat
.Lfunc_end15:
	.size	_Z17sort_pairs_kernelIiLj128ELj3EN10test_utils4lessELj10EEvPKT_PS2_T2_, .Lfunc_end15-_Z17sort_pairs_kernelIiLj128ELj3EN10test_utils4lessELj10EEvPKT_PS2_T2_
                                        ; -- End function
	.section	.AMDGPU.csdata,"",@progbits
; Kernel info:
; codeLenInByte = 5268
; NumSgprs: 38
; NumVgprs: 76
; NumAgprs: 0
; TotalNumVgprs: 76
; ScratchSize: 0
; MemoryBound: 0
; FloatMode: 240
; IeeeMode: 1
; LDSByteSize: 1540 bytes/workgroup (compile time only)
; SGPRBlocks: 4
; VGPRBlocks: 9
; NumSGPRsForWavesPerEU: 38
; NumVGPRsForWavesPerEU: 76
; AccumOffset: 76
; Occupancy: 6
; WaveLimiterHint : 1
; COMPUTE_PGM_RSRC2:SCRATCH_EN: 0
; COMPUTE_PGM_RSRC2:USER_SGPR: 2
; COMPUTE_PGM_RSRC2:TRAP_HANDLER: 0
; COMPUTE_PGM_RSRC2:TGID_X_EN: 1
; COMPUTE_PGM_RSRC2:TGID_Y_EN: 0
; COMPUTE_PGM_RSRC2:TGID_Z_EN: 0
; COMPUTE_PGM_RSRC2:TIDIG_COMP_CNT: 0
; COMPUTE_PGM_RSRC3_GFX90A:ACCUM_OFFSET: 18
; COMPUTE_PGM_RSRC3_GFX90A:TG_SPLIT: 0
	.section	.text._Z16sort_keys_kernelIiLj128ELj4EN10test_utils4lessELj10EEvPKT_PS2_T2_,"axG",@progbits,_Z16sort_keys_kernelIiLj128ELj4EN10test_utils4lessELj10EEvPKT_PS2_T2_,comdat
	.protected	_Z16sort_keys_kernelIiLj128ELj4EN10test_utils4lessELj10EEvPKT_PS2_T2_ ; -- Begin function _Z16sort_keys_kernelIiLj128ELj4EN10test_utils4lessELj10EEvPKT_PS2_T2_
	.globl	_Z16sort_keys_kernelIiLj128ELj4EN10test_utils4lessELj10EEvPKT_PS2_T2_
	.p2align	8
	.type	_Z16sort_keys_kernelIiLj128ELj4EN10test_utils4lessELj10EEvPKT_PS2_T2_,@function
_Z16sort_keys_kernelIiLj128ELj4EN10test_utils4lessELj10EEvPKT_PS2_T2_: ; @_Z16sort_keys_kernelIiLj128ELj4EN10test_utils4lessELj10EEvPKT_PS2_T2_
; %bb.0:
	s_load_dwordx4 s[20:23], s[0:1], 0x0
	s_lshl_b32 s24, s2, 9
	s_mov_b32 s25, 0
	s_lshl_b64 s[26:27], s[24:25], 2
	v_lshlrev_b32_e32 v1, 2, v0
	s_waitcnt lgkmcnt(0)
	s_add_u32 s0, s20, s26
	s_addc_u32 s1, s21, s27
	global_load_dword v62, v1, s[0:1]
	global_load_dword v63, v1, s[0:1] offset:512
	global_load_dword v61, v1, s[0:1] offset:1024
	;; [unrolled: 1-line block ×3, first 2 shown]
	v_and_b32_e32 v39, 0x180, v1
	v_and_b32_e32 v3, 0x1f8, v1
	;; [unrolled: 1-line block ×5, first 2 shown]
	v_or_b32_e32 v41, 64, v39
	v_add_u32_e32 v42, 0x80, v39
	v_and_b32_e32 v47, 0x100, v1
	v_or_b32_e32 v5, 4, v3
	v_add_u32_e32 v6, 8, v3
	v_or_b32_e32 v14, 8, v12
	v_add_u32_e32 v15, 16, v12
	;; [unrolled: 2-line block ×4, first 2 shown]
	v_and_b32_e32 v40, 0x7c, v1
	v_sub_u32_e32 v44, v42, v41
	v_or_b32_e32 v49, 0x80, v47
	v_add_u32_e32 v50, 0x100, v47
	v_and_b32_e32 v4, 4, v1
	v_sub_u32_e32 v9, v6, v5
	v_and_b32_e32 v13, 12, v1
	v_sub_u32_e32 v18, v15, v14
	;; [unrolled: 2-line block ×4, first 2 shown]
	v_sub_u32_e32 v46, v40, v44
	v_cmp_ge_i32_e64 s[6:7], v40, v44
	v_and_b32_e32 v48, 0xfc, v1
	v_sub_u32_e32 v51, v50, v49
	v_sub_u32_e32 v10, v5, v3
	;; [unrolled: 1-line block ×3, first 2 shown]
	v_cmp_ge_i32_e32 vcc, v4, v9
	v_sub_u32_e32 v19, v14, v12
	v_sub_u32_e32 v20, v13, v18
	v_cmp_ge_i32_e64 s[0:1], v13, v18
	v_sub_u32_e32 v28, v23, v21
	v_sub_u32_e32 v29, v22, v27
	v_cmp_ge_i32_e64 s[2:3], v22, v27
	;; [unrolled: 3-line block ×3, first 2 shown]
	v_sub_u32_e32 v45, v41, v39
	v_cndmask_b32_e64 v44, 0, v46, s[6:7]
	v_mov_b32_e32 v46, 0x100
	v_sub_u32_e32 v52, v49, v47
	v_sub_u32_e32 v53, v48, v51
	v_cmp_ge_i32_e64 s[8:9], v48, v51
	v_cndmask_b32_e32 v9, 0, v11, vcc
	v_min_i32_e32 v10, v4, v10
	v_cndmask_b32_e64 v18, 0, v20, s[0:1]
	v_min_i32_e32 v19, v13, v19
	v_cndmask_b32_e64 v27, 0, v29, s[2:3]
	;; [unrolled: 2-line block ×3, first 2 shown]
	v_min_i32_e32 v37, v31, v37
	v_min_i32_e32 v45, v40, v45
	v_cndmask_b32_e64 v51, 0, v53, s[8:9]
	v_min_i32_e32 v52, v48, v52
	v_sub_u32_e64 v53, v1, v46 clamp
	v_min_i32_e32 v54, 0x100, v1
	v_lshlrev_b32_e32 v2, 4, v0
	v_lshlrev_b32_e32 v7, 2, v3
	;; [unrolled: 1-line block ×3, first 2 shown]
	v_cmp_lt_i32_e32 vcc, v9, v10
	v_add_u32_e32 v11, v5, v4
	v_lshlrev_b32_e32 v16, 2, v12
	v_lshlrev_b32_e32 v17, 2, v14
	v_cmp_lt_i32_e64 s[0:1], v18, v19
	v_add_u32_e32 v20, v14, v13
	v_lshlrev_b32_e32 v25, 2, v21
	v_lshlrev_b32_e32 v26, 2, v23
	v_cmp_lt_i32_e64 s[2:3], v27, v28
	;; [unrolled: 4-line block ×3, first 2 shown]
	v_add_u32_e32 v38, v32, v31
	v_lshlrev_b32_e32 v43, 2, v39
	v_cmp_lt_i32_e64 s[6:7], v44, v45
	v_cmp_lt_i32_e64 s[8:9], v51, v52
	v_cmp_lt_i32_e64 s[10:11], v53, v54
	s_movk_i32 s24, 0x200
	v_lshlrev_b32_e32 v55, 2, v41
	v_add_u32_e32 v56, v41, v40
	v_lshlrev_b32_e32 v57, 2, v47
	v_lshlrev_b32_e32 v58, 2, v49
	v_add_u32_e32 v59, v49, v48
	v_add_u32_e32 v60, 0x100, v1
	s_branch .LBB16_2
.LBB16_1:                               ;   in Loop: Header=BB16_2 Depth=1
	s_or_b64 exec, exec, s[18:19]
	v_cndmask_b32_e64 v62, v61, v62, s[12:13]
	v_cndmask_b32_e64 v63, v64, v63, s[14:15]
	;; [unrolled: 1-line block ×3, first 2 shown]
	v_cmp_ge_i32_e64 s[14:15], v70, v46
	s_waitcnt lgkmcnt(0)
	v_cmp_lt_i32_e64 s[16:17], v71, v68
	v_cmp_gt_i32_e64 s[12:13], s24, v67
	s_or_b64 s[14:15], s[14:15], s[16:17]
	s_add_i32 s25, s25, 1
	s_and_b64 s[12:13], s[12:13], s[14:15]
	s_cmp_eq_u32 s25, 10
	v_cndmask_b32_e64 v64, v68, v71, s[12:13]
	s_cbranch_scc1 .LBB16_114
.LBB16_2:                               ; =>This Loop Header: Depth=1
                                        ;     Child Loop BB16_4 Depth 2
                                        ;     Child Loop BB16_20 Depth 2
	;; [unrolled: 1-line block ×7, first 2 shown]
	s_waitcnt vmcnt(2)
	v_cmp_lt_i32_e64 s[12:13], v63, v62
	v_min_i32_e32 v67, v63, v62
	s_waitcnt vmcnt(0)
	v_max_i32_e32 v69, v64, v61
	v_cndmask_b32_e64 v65, v62, v63, s[12:13]
	v_cndmask_b32_e64 v66, v63, v62, s[12:13]
	v_cmp_lt_i32_e64 s[12:13], v64, v61
	v_max_i32_e32 v62, v63, v62
	s_nop 0
	v_cndmask_b32_e64 v63, v64, v61, s[12:13]
	v_cndmask_b32_e64 v68, v61, v64, s[12:13]
	v_min_i32_e32 v61, v64, v61
	v_cmp_lt_i32_e64 s[12:13], v61, v62
	v_min_i32_e32 v70, v61, v62
	s_barrier
	v_cndmask_b32_e64 v64, v68, v62, s[12:13]
	v_cndmask_b32_e64 v66, v66, v61, s[12:13]
	v_cmp_lt_i32_e64 s[12:13], v61, v67
	v_max_i32_e32 v68, v61, v62
	s_nop 0
	v_cndmask_b32_e64 v61, v65, v70, s[12:13]
	v_cndmask_b32_e64 v65, v66, v67, s[12:13]
	;; [unrolled: 1-line block ×3, first 2 shown]
	v_cmp_gt_i32_e64 s[12:13], v62, v69
	s_nop 1
	v_cndmask_b32_e64 v62, v63, v68, s[12:13]
	v_cndmask_b32_e64 v63, v64, v69, s[12:13]
	v_cndmask_b32_e64 v64, v68, v69, s[12:13]
	v_cmp_lt_i32_e64 s[12:13], v64, v66
	s_nop 1
	v_cndmask_b32_e64 v63, v63, v66, s[12:13]
	v_cndmask_b32_e64 v64, v65, v64, s[12:13]
	ds_write2_b32 v2, v61, v64 offset1:1
	ds_write2_b32 v2, v63, v62 offset0:2 offset1:3
	v_mov_b32_e32 v63, v9
	s_waitcnt lgkmcnt(0)
	s_barrier
	s_and_saveexec_b64 s[14:15], vcc
	s_cbranch_execz .LBB16_6
; %bb.3:                                ;   in Loop: Header=BB16_2 Depth=1
	s_mov_b64 s[16:17], 0
	v_mov_b32_e32 v63, v9
	v_mov_b32_e32 v61, v10
.LBB16_4:                               ;   Parent Loop BB16_2 Depth=1
                                        ; =>  This Inner Loop Header: Depth=2
	v_sub_u32_e32 v62, v61, v63
	v_lshrrev_b32_e32 v64, 31, v62
	v_add_u32_e32 v62, v62, v64
	v_ashrrev_i32_e32 v62, 1, v62
	v_add_u32_e32 v62, v62, v63
	v_xad_u32 v65, v62, -1, v4
	v_lshl_add_u32 v64, v62, 2, v7
	v_lshl_add_u32 v65, v65, 2, v8
	ds_read_b32 v64, v64
	ds_read_b32 v65, v65
	v_add_u32_e32 v66, 1, v62
	s_waitcnt lgkmcnt(0)
	v_cmp_lt_i32_e64 s[12:13], v65, v64
	s_nop 1
	v_cndmask_b32_e64 v61, v61, v62, s[12:13]
	v_cndmask_b32_e64 v63, v66, v63, s[12:13]
	v_cmp_ge_i32_e64 s[12:13], v63, v61
	s_or_b64 s[16:17], s[12:13], s[16:17]
	s_andn2_b64 exec, exec, s[16:17]
	s_cbranch_execnz .LBB16_4
; %bb.5:                                ;   in Loop: Header=BB16_2 Depth=1
	s_or_b64 exec, exec, s[16:17]
.LBB16_6:                               ;   in Loop: Header=BB16_2 Depth=1
	s_or_b64 exec, exec, s[14:15]
	v_sub_u32_e32 v65, v11, v63
	v_lshl_add_u32 v68, v63, 2, v7
	v_lshlrev_b32_e32 v67, 2, v65
	ds_read_b32 v61, v68
	ds_read_b32 v62, v67
	v_add_u32_e32 v66, v63, v3
	v_cmp_le_i32_e64 s[14:15], v5, v66
	v_cmp_gt_i32_e64 s[12:13], v6, v65
                                        ; implicit-def: $vgpr63
                                        ; implicit-def: $vgpr64
	s_waitcnt lgkmcnt(0)
	v_cmp_lt_i32_e64 s[16:17], v62, v61
	s_or_b64 s[14:15], s[14:15], s[16:17]
	s_and_b64 s[12:13], s[12:13], s[14:15]
	s_xor_b64 s[14:15], s[12:13], -1
	s_and_saveexec_b64 s[16:17], s[14:15]
	s_xor_b64 s[14:15], exec, s[16:17]
	s_cbranch_execz .LBB16_8
; %bb.7:                                ;   in Loop: Header=BB16_2 Depth=1
	ds_read_b32 v64, v68 offset:4
	v_mov_b32_e32 v63, v62
                                        ; implicit-def: $vgpr67
.LBB16_8:                               ;   in Loop: Header=BB16_2 Depth=1
	s_andn2_saveexec_b64 s[14:15], s[14:15]
	s_cbranch_execz .LBB16_10
; %bb.9:                                ;   in Loop: Header=BB16_2 Depth=1
	ds_read_b32 v63, v67 offset:4
	s_waitcnt lgkmcnt(1)
	v_mov_b32_e32 v64, v61
.LBB16_10:                              ;   in Loop: Header=BB16_2 Depth=1
	s_or_b64 exec, exec, s[14:15]
	v_add_u32_e32 v68, 1, v66
	v_add_u32_e32 v67, 1, v65
	v_cndmask_b32_e64 v68, v68, v66, s[12:13]
	v_cndmask_b32_e64 v67, v65, v67, s[12:13]
	v_cmp_ge_i32_e64 s[16:17], v68, v5
	s_waitcnt lgkmcnt(0)
	v_cmp_lt_i32_e64 s[18:19], v63, v64
	v_cmp_lt_i32_e64 s[14:15], v67, v6
	s_or_b64 s[16:17], s[16:17], s[18:19]
	s_and_b64 s[14:15], s[14:15], s[16:17]
	s_xor_b64 s[16:17], s[14:15], -1
                                        ; implicit-def: $vgpr65
	s_and_saveexec_b64 s[18:19], s[16:17]
	s_xor_b64 s[16:17], exec, s[18:19]
	s_cbranch_execz .LBB16_12
; %bb.11:                               ;   in Loop: Header=BB16_2 Depth=1
	v_lshlrev_b32_e32 v65, 2, v68
	ds_read_b32 v65, v65 offset:4
.LBB16_12:                              ;   in Loop: Header=BB16_2 Depth=1
	s_or_saveexec_b64 s[16:17], s[16:17]
	v_mov_b32_e32 v66, v63
	s_xor_b64 exec, exec, s[16:17]
	s_cbranch_execz .LBB16_14
; %bb.13:                               ;   in Loop: Header=BB16_2 Depth=1
	s_waitcnt lgkmcnt(0)
	v_lshlrev_b32_e32 v65, 2, v67
	ds_read_b32 v66, v65 offset:4
	v_mov_b32_e32 v65, v64
.LBB16_14:                              ;   in Loop: Header=BB16_2 Depth=1
	s_or_b64 exec, exec, s[16:17]
	v_add_u32_e32 v70, 1, v68
	v_add_u32_e32 v69, 1, v67
	v_cndmask_b32_e64 v68, v70, v68, s[14:15]
	v_cndmask_b32_e64 v67, v67, v69, s[14:15]
	v_cmp_ge_i32_e64 s[18:19], v68, v5
	s_waitcnt lgkmcnt(0)
	v_cmp_lt_i32_e64 s[20:21], v66, v65
	v_cmp_lt_i32_e64 s[16:17], v67, v6
	s_or_b64 s[18:19], s[18:19], s[20:21]
	s_and_b64 s[16:17], s[16:17], s[18:19]
	s_xor_b64 s[18:19], s[16:17], -1
                                        ; implicit-def: $vgpr69
	s_and_saveexec_b64 s[20:21], s[18:19]
	s_xor_b64 s[18:19], exec, s[20:21]
	s_cbranch_execz .LBB16_16
; %bb.15:                               ;   in Loop: Header=BB16_2 Depth=1
	v_lshlrev_b32_e32 v69, 2, v68
	ds_read_b32 v69, v69 offset:4
.LBB16_16:                              ;   in Loop: Header=BB16_2 Depth=1
	s_or_saveexec_b64 s[18:19], s[18:19]
	v_mov_b32_e32 v70, v66
	s_xor_b64 exec, exec, s[18:19]
	s_cbranch_execz .LBB16_18
; %bb.17:                               ;   in Loop: Header=BB16_2 Depth=1
	s_waitcnt lgkmcnt(0)
	v_lshlrev_b32_e32 v69, 2, v67
	ds_read_b32 v70, v69 offset:4
	v_mov_b32_e32 v69, v65
.LBB16_18:                              ;   in Loop: Header=BB16_2 Depth=1
	s_or_b64 exec, exec, s[18:19]
	v_cndmask_b32_e64 v65, v65, v66, s[16:17]
	v_add_u32_e32 v66, 1, v67
	v_add_u32_e32 v71, 1, v68
	v_cndmask_b32_e64 v66, v67, v66, s[16:17]
	v_cndmask_b32_e64 v67, v71, v68, s[16:17]
	;; [unrolled: 1-line block ×3, first 2 shown]
	v_cmp_ge_i32_e64 s[14:15], v67, v5
	s_waitcnt lgkmcnt(0)
	v_cmp_lt_i32_e64 s[16:17], v70, v69
	v_cndmask_b32_e64 v61, v61, v62, s[12:13]
	v_cmp_lt_i32_e64 s[12:13], v66, v6
	s_or_b64 s[14:15], s[14:15], s[16:17]
	s_and_b64 s[12:13], s[12:13], s[14:15]
	v_cndmask_b32_e64 v62, v69, v70, s[12:13]
	s_barrier
	ds_write2_b32 v2, v61, v63 offset1:1
	ds_write2_b32 v2, v65, v62 offset0:2 offset1:3
	v_mov_b32_e32 v63, v18
	s_waitcnt lgkmcnt(0)
	s_barrier
	s_and_saveexec_b64 s[14:15], s[0:1]
	s_cbranch_execz .LBB16_22
; %bb.19:                               ;   in Loop: Header=BB16_2 Depth=1
	s_mov_b64 s[16:17], 0
	v_mov_b32_e32 v63, v18
	v_mov_b32_e32 v61, v19
.LBB16_20:                              ;   Parent Loop BB16_2 Depth=1
                                        ; =>  This Inner Loop Header: Depth=2
	v_sub_u32_e32 v62, v61, v63
	v_lshrrev_b32_e32 v64, 31, v62
	v_add_u32_e32 v62, v62, v64
	v_ashrrev_i32_e32 v62, 1, v62
	v_add_u32_e32 v62, v62, v63
	v_xad_u32 v65, v62, -1, v13
	v_lshl_add_u32 v64, v62, 2, v16
	v_lshl_add_u32 v65, v65, 2, v17
	ds_read_b32 v64, v64
	ds_read_b32 v65, v65
	v_add_u32_e32 v66, 1, v62
	s_waitcnt lgkmcnt(0)
	v_cmp_lt_i32_e64 s[12:13], v65, v64
	s_nop 1
	v_cndmask_b32_e64 v61, v61, v62, s[12:13]
	v_cndmask_b32_e64 v63, v66, v63, s[12:13]
	v_cmp_ge_i32_e64 s[12:13], v63, v61
	s_or_b64 s[16:17], s[12:13], s[16:17]
	s_andn2_b64 exec, exec, s[16:17]
	s_cbranch_execnz .LBB16_20
; %bb.21:                               ;   in Loop: Header=BB16_2 Depth=1
	s_or_b64 exec, exec, s[16:17]
.LBB16_22:                              ;   in Loop: Header=BB16_2 Depth=1
	s_or_b64 exec, exec, s[14:15]
	v_sub_u32_e32 v65, v20, v63
	v_lshl_add_u32 v68, v63, 2, v16
	v_lshlrev_b32_e32 v67, 2, v65
	ds_read_b32 v61, v68
	ds_read_b32 v62, v67
	v_add_u32_e32 v66, v63, v12
	v_cmp_le_i32_e64 s[14:15], v14, v66
	v_cmp_gt_i32_e64 s[12:13], v15, v65
                                        ; implicit-def: $vgpr63
                                        ; implicit-def: $vgpr64
	s_waitcnt lgkmcnt(0)
	v_cmp_lt_i32_e64 s[16:17], v62, v61
	s_or_b64 s[14:15], s[14:15], s[16:17]
	s_and_b64 s[12:13], s[12:13], s[14:15]
	s_xor_b64 s[14:15], s[12:13], -1
	s_and_saveexec_b64 s[16:17], s[14:15]
	s_xor_b64 s[14:15], exec, s[16:17]
	s_cbranch_execz .LBB16_24
; %bb.23:                               ;   in Loop: Header=BB16_2 Depth=1
	ds_read_b32 v64, v68 offset:4
	v_mov_b32_e32 v63, v62
                                        ; implicit-def: $vgpr67
.LBB16_24:                              ;   in Loop: Header=BB16_2 Depth=1
	s_andn2_saveexec_b64 s[14:15], s[14:15]
	s_cbranch_execz .LBB16_26
; %bb.25:                               ;   in Loop: Header=BB16_2 Depth=1
	ds_read_b32 v63, v67 offset:4
	s_waitcnt lgkmcnt(1)
	v_mov_b32_e32 v64, v61
.LBB16_26:                              ;   in Loop: Header=BB16_2 Depth=1
	s_or_b64 exec, exec, s[14:15]
	v_add_u32_e32 v68, 1, v66
	v_add_u32_e32 v67, 1, v65
	v_cndmask_b32_e64 v68, v68, v66, s[12:13]
	v_cndmask_b32_e64 v67, v65, v67, s[12:13]
	v_cmp_ge_i32_e64 s[16:17], v68, v14
	s_waitcnt lgkmcnt(0)
	v_cmp_lt_i32_e64 s[18:19], v63, v64
	v_cmp_lt_i32_e64 s[14:15], v67, v15
	s_or_b64 s[16:17], s[16:17], s[18:19]
	s_and_b64 s[14:15], s[14:15], s[16:17]
	s_xor_b64 s[16:17], s[14:15], -1
                                        ; implicit-def: $vgpr65
	s_and_saveexec_b64 s[18:19], s[16:17]
	s_xor_b64 s[16:17], exec, s[18:19]
	s_cbranch_execz .LBB16_28
; %bb.27:                               ;   in Loop: Header=BB16_2 Depth=1
	v_lshlrev_b32_e32 v65, 2, v68
	ds_read_b32 v65, v65 offset:4
.LBB16_28:                              ;   in Loop: Header=BB16_2 Depth=1
	s_or_saveexec_b64 s[16:17], s[16:17]
	v_mov_b32_e32 v66, v63
	s_xor_b64 exec, exec, s[16:17]
	s_cbranch_execz .LBB16_30
; %bb.29:                               ;   in Loop: Header=BB16_2 Depth=1
	s_waitcnt lgkmcnt(0)
	v_lshlrev_b32_e32 v65, 2, v67
	ds_read_b32 v66, v65 offset:4
	v_mov_b32_e32 v65, v64
.LBB16_30:                              ;   in Loop: Header=BB16_2 Depth=1
	s_or_b64 exec, exec, s[16:17]
	v_add_u32_e32 v70, 1, v68
	v_add_u32_e32 v69, 1, v67
	v_cndmask_b32_e64 v68, v70, v68, s[14:15]
	v_cndmask_b32_e64 v67, v67, v69, s[14:15]
	v_cmp_ge_i32_e64 s[18:19], v68, v14
	s_waitcnt lgkmcnt(0)
	v_cmp_lt_i32_e64 s[20:21], v66, v65
	v_cmp_lt_i32_e64 s[16:17], v67, v15
	s_or_b64 s[18:19], s[18:19], s[20:21]
	s_and_b64 s[16:17], s[16:17], s[18:19]
	s_xor_b64 s[18:19], s[16:17], -1
                                        ; implicit-def: $vgpr69
	s_and_saveexec_b64 s[20:21], s[18:19]
	s_xor_b64 s[18:19], exec, s[20:21]
	s_cbranch_execz .LBB16_32
; %bb.31:                               ;   in Loop: Header=BB16_2 Depth=1
	v_lshlrev_b32_e32 v69, 2, v68
	ds_read_b32 v69, v69 offset:4
.LBB16_32:                              ;   in Loop: Header=BB16_2 Depth=1
	s_or_saveexec_b64 s[18:19], s[18:19]
	v_mov_b32_e32 v70, v66
	s_xor_b64 exec, exec, s[18:19]
	s_cbranch_execz .LBB16_34
; %bb.33:                               ;   in Loop: Header=BB16_2 Depth=1
	s_waitcnt lgkmcnt(0)
	v_lshlrev_b32_e32 v69, 2, v67
	ds_read_b32 v70, v69 offset:4
	v_mov_b32_e32 v69, v65
.LBB16_34:                              ;   in Loop: Header=BB16_2 Depth=1
	s_or_b64 exec, exec, s[18:19]
	v_cndmask_b32_e64 v65, v65, v66, s[16:17]
	v_add_u32_e32 v66, 1, v67
	v_add_u32_e32 v71, 1, v68
	v_cndmask_b32_e64 v66, v67, v66, s[16:17]
	v_cndmask_b32_e64 v67, v71, v68, s[16:17]
	;; [unrolled: 1-line block ×3, first 2 shown]
	v_cmp_ge_i32_e64 s[14:15], v67, v14
	s_waitcnt lgkmcnt(0)
	v_cmp_lt_i32_e64 s[16:17], v70, v69
	v_cndmask_b32_e64 v61, v61, v62, s[12:13]
	v_cmp_lt_i32_e64 s[12:13], v66, v15
	s_or_b64 s[14:15], s[14:15], s[16:17]
	s_and_b64 s[12:13], s[12:13], s[14:15]
	v_cndmask_b32_e64 v62, v69, v70, s[12:13]
	s_barrier
	ds_write2_b32 v2, v61, v63 offset1:1
	ds_write2_b32 v2, v65, v62 offset0:2 offset1:3
	v_mov_b32_e32 v63, v27
	s_waitcnt lgkmcnt(0)
	s_barrier
	s_and_saveexec_b64 s[14:15], s[2:3]
	s_cbranch_execz .LBB16_38
; %bb.35:                               ;   in Loop: Header=BB16_2 Depth=1
	s_mov_b64 s[16:17], 0
	v_mov_b32_e32 v63, v27
	v_mov_b32_e32 v61, v28
.LBB16_36:                              ;   Parent Loop BB16_2 Depth=1
                                        ; =>  This Inner Loop Header: Depth=2
	v_sub_u32_e32 v62, v61, v63
	v_lshrrev_b32_e32 v64, 31, v62
	v_add_u32_e32 v62, v62, v64
	v_ashrrev_i32_e32 v62, 1, v62
	v_add_u32_e32 v62, v62, v63
	v_xad_u32 v65, v62, -1, v22
	v_lshl_add_u32 v64, v62, 2, v25
	v_lshl_add_u32 v65, v65, 2, v26
	ds_read_b32 v64, v64
	ds_read_b32 v65, v65
	v_add_u32_e32 v66, 1, v62
	s_waitcnt lgkmcnt(0)
	v_cmp_lt_i32_e64 s[12:13], v65, v64
	s_nop 1
	v_cndmask_b32_e64 v61, v61, v62, s[12:13]
	v_cndmask_b32_e64 v63, v66, v63, s[12:13]
	v_cmp_ge_i32_e64 s[12:13], v63, v61
	s_or_b64 s[16:17], s[12:13], s[16:17]
	s_andn2_b64 exec, exec, s[16:17]
	s_cbranch_execnz .LBB16_36
; %bb.37:                               ;   in Loop: Header=BB16_2 Depth=1
	s_or_b64 exec, exec, s[16:17]
.LBB16_38:                              ;   in Loop: Header=BB16_2 Depth=1
	s_or_b64 exec, exec, s[14:15]
	v_sub_u32_e32 v65, v29, v63
	v_lshl_add_u32 v68, v63, 2, v25
	v_lshlrev_b32_e32 v67, 2, v65
	ds_read_b32 v61, v68
	ds_read_b32 v62, v67
	v_add_u32_e32 v66, v63, v21
	v_cmp_le_i32_e64 s[14:15], v23, v66
	v_cmp_gt_i32_e64 s[12:13], v24, v65
                                        ; implicit-def: $vgpr63
                                        ; implicit-def: $vgpr64
	s_waitcnt lgkmcnt(0)
	v_cmp_lt_i32_e64 s[16:17], v62, v61
	s_or_b64 s[14:15], s[14:15], s[16:17]
	s_and_b64 s[12:13], s[12:13], s[14:15]
	s_xor_b64 s[14:15], s[12:13], -1
	s_and_saveexec_b64 s[16:17], s[14:15]
	s_xor_b64 s[14:15], exec, s[16:17]
	s_cbranch_execz .LBB16_40
; %bb.39:                               ;   in Loop: Header=BB16_2 Depth=1
	ds_read_b32 v64, v68 offset:4
	v_mov_b32_e32 v63, v62
                                        ; implicit-def: $vgpr67
.LBB16_40:                              ;   in Loop: Header=BB16_2 Depth=1
	s_andn2_saveexec_b64 s[14:15], s[14:15]
	s_cbranch_execz .LBB16_42
; %bb.41:                               ;   in Loop: Header=BB16_2 Depth=1
	ds_read_b32 v63, v67 offset:4
	s_waitcnt lgkmcnt(1)
	v_mov_b32_e32 v64, v61
.LBB16_42:                              ;   in Loop: Header=BB16_2 Depth=1
	s_or_b64 exec, exec, s[14:15]
	v_add_u32_e32 v68, 1, v66
	v_add_u32_e32 v67, 1, v65
	v_cndmask_b32_e64 v68, v68, v66, s[12:13]
	v_cndmask_b32_e64 v67, v65, v67, s[12:13]
	v_cmp_ge_i32_e64 s[16:17], v68, v23
	s_waitcnt lgkmcnt(0)
	v_cmp_lt_i32_e64 s[18:19], v63, v64
	v_cmp_lt_i32_e64 s[14:15], v67, v24
	s_or_b64 s[16:17], s[16:17], s[18:19]
	s_and_b64 s[14:15], s[14:15], s[16:17]
	s_xor_b64 s[16:17], s[14:15], -1
                                        ; implicit-def: $vgpr65
	s_and_saveexec_b64 s[18:19], s[16:17]
	s_xor_b64 s[16:17], exec, s[18:19]
	s_cbranch_execz .LBB16_44
; %bb.43:                               ;   in Loop: Header=BB16_2 Depth=1
	v_lshlrev_b32_e32 v65, 2, v68
	ds_read_b32 v65, v65 offset:4
.LBB16_44:                              ;   in Loop: Header=BB16_2 Depth=1
	s_or_saveexec_b64 s[16:17], s[16:17]
	v_mov_b32_e32 v66, v63
	s_xor_b64 exec, exec, s[16:17]
	s_cbranch_execz .LBB16_46
; %bb.45:                               ;   in Loop: Header=BB16_2 Depth=1
	s_waitcnt lgkmcnt(0)
	v_lshlrev_b32_e32 v65, 2, v67
	ds_read_b32 v66, v65 offset:4
	v_mov_b32_e32 v65, v64
.LBB16_46:                              ;   in Loop: Header=BB16_2 Depth=1
	s_or_b64 exec, exec, s[16:17]
	v_add_u32_e32 v70, 1, v68
	v_add_u32_e32 v69, 1, v67
	v_cndmask_b32_e64 v68, v70, v68, s[14:15]
	v_cndmask_b32_e64 v67, v67, v69, s[14:15]
	v_cmp_ge_i32_e64 s[18:19], v68, v23
	s_waitcnt lgkmcnt(0)
	v_cmp_lt_i32_e64 s[20:21], v66, v65
	v_cmp_lt_i32_e64 s[16:17], v67, v24
	s_or_b64 s[18:19], s[18:19], s[20:21]
	s_and_b64 s[16:17], s[16:17], s[18:19]
	s_xor_b64 s[18:19], s[16:17], -1
                                        ; implicit-def: $vgpr69
	s_and_saveexec_b64 s[20:21], s[18:19]
	s_xor_b64 s[18:19], exec, s[20:21]
	s_cbranch_execz .LBB16_48
; %bb.47:                               ;   in Loop: Header=BB16_2 Depth=1
	v_lshlrev_b32_e32 v69, 2, v68
	ds_read_b32 v69, v69 offset:4
.LBB16_48:                              ;   in Loop: Header=BB16_2 Depth=1
	s_or_saveexec_b64 s[18:19], s[18:19]
	v_mov_b32_e32 v70, v66
	s_xor_b64 exec, exec, s[18:19]
	s_cbranch_execz .LBB16_50
; %bb.49:                               ;   in Loop: Header=BB16_2 Depth=1
	s_waitcnt lgkmcnt(0)
	v_lshlrev_b32_e32 v69, 2, v67
	ds_read_b32 v70, v69 offset:4
	v_mov_b32_e32 v69, v65
.LBB16_50:                              ;   in Loop: Header=BB16_2 Depth=1
	s_or_b64 exec, exec, s[18:19]
	v_cndmask_b32_e64 v65, v65, v66, s[16:17]
	v_add_u32_e32 v66, 1, v67
	v_add_u32_e32 v71, 1, v68
	v_cndmask_b32_e64 v66, v67, v66, s[16:17]
	v_cndmask_b32_e64 v67, v71, v68, s[16:17]
	;; [unrolled: 1-line block ×3, first 2 shown]
	v_cmp_ge_i32_e64 s[14:15], v67, v23
	s_waitcnt lgkmcnt(0)
	v_cmp_lt_i32_e64 s[16:17], v70, v69
	v_cndmask_b32_e64 v61, v61, v62, s[12:13]
	v_cmp_lt_i32_e64 s[12:13], v66, v24
	s_or_b64 s[14:15], s[14:15], s[16:17]
	s_and_b64 s[12:13], s[12:13], s[14:15]
	v_cndmask_b32_e64 v62, v69, v70, s[12:13]
	s_barrier
	ds_write2_b32 v2, v61, v63 offset1:1
	ds_write2_b32 v2, v65, v62 offset0:2 offset1:3
	v_mov_b32_e32 v63, v36
	s_waitcnt lgkmcnt(0)
	s_barrier
	s_and_saveexec_b64 s[14:15], s[4:5]
	s_cbranch_execz .LBB16_54
; %bb.51:                               ;   in Loop: Header=BB16_2 Depth=1
	s_mov_b64 s[16:17], 0
	v_mov_b32_e32 v63, v36
	v_mov_b32_e32 v61, v37
.LBB16_52:                              ;   Parent Loop BB16_2 Depth=1
                                        ; =>  This Inner Loop Header: Depth=2
	v_sub_u32_e32 v62, v61, v63
	v_lshrrev_b32_e32 v64, 31, v62
	v_add_u32_e32 v62, v62, v64
	v_ashrrev_i32_e32 v62, 1, v62
	v_add_u32_e32 v62, v62, v63
	v_xad_u32 v65, v62, -1, v31
	v_lshl_add_u32 v64, v62, 2, v34
	v_lshl_add_u32 v65, v65, 2, v35
	ds_read_b32 v64, v64
	ds_read_b32 v65, v65
	v_add_u32_e32 v66, 1, v62
	s_waitcnt lgkmcnt(0)
	v_cmp_lt_i32_e64 s[12:13], v65, v64
	s_nop 1
	v_cndmask_b32_e64 v61, v61, v62, s[12:13]
	v_cndmask_b32_e64 v63, v66, v63, s[12:13]
	v_cmp_ge_i32_e64 s[12:13], v63, v61
	s_or_b64 s[16:17], s[12:13], s[16:17]
	s_andn2_b64 exec, exec, s[16:17]
	s_cbranch_execnz .LBB16_52
; %bb.53:                               ;   in Loop: Header=BB16_2 Depth=1
	s_or_b64 exec, exec, s[16:17]
.LBB16_54:                              ;   in Loop: Header=BB16_2 Depth=1
	s_or_b64 exec, exec, s[14:15]
	v_sub_u32_e32 v65, v38, v63
	v_lshl_add_u32 v68, v63, 2, v34
	v_lshlrev_b32_e32 v67, 2, v65
	ds_read_b32 v61, v68
	ds_read_b32 v62, v67
	v_add_u32_e32 v66, v63, v30
	v_cmp_le_i32_e64 s[14:15], v32, v66
	v_cmp_gt_i32_e64 s[12:13], v33, v65
                                        ; implicit-def: $vgpr63
                                        ; implicit-def: $vgpr64
	s_waitcnt lgkmcnt(0)
	v_cmp_lt_i32_e64 s[16:17], v62, v61
	s_or_b64 s[14:15], s[14:15], s[16:17]
	s_and_b64 s[12:13], s[12:13], s[14:15]
	s_xor_b64 s[14:15], s[12:13], -1
	s_and_saveexec_b64 s[16:17], s[14:15]
	s_xor_b64 s[14:15], exec, s[16:17]
	s_cbranch_execz .LBB16_56
; %bb.55:                               ;   in Loop: Header=BB16_2 Depth=1
	ds_read_b32 v64, v68 offset:4
	v_mov_b32_e32 v63, v62
                                        ; implicit-def: $vgpr67
.LBB16_56:                              ;   in Loop: Header=BB16_2 Depth=1
	s_andn2_saveexec_b64 s[14:15], s[14:15]
	s_cbranch_execz .LBB16_58
; %bb.57:                               ;   in Loop: Header=BB16_2 Depth=1
	ds_read_b32 v63, v67 offset:4
	s_waitcnt lgkmcnt(1)
	v_mov_b32_e32 v64, v61
.LBB16_58:                              ;   in Loop: Header=BB16_2 Depth=1
	s_or_b64 exec, exec, s[14:15]
	v_add_u32_e32 v68, 1, v66
	v_add_u32_e32 v67, 1, v65
	v_cndmask_b32_e64 v68, v68, v66, s[12:13]
	v_cndmask_b32_e64 v67, v65, v67, s[12:13]
	v_cmp_ge_i32_e64 s[16:17], v68, v32
	s_waitcnt lgkmcnt(0)
	v_cmp_lt_i32_e64 s[18:19], v63, v64
	v_cmp_lt_i32_e64 s[14:15], v67, v33
	s_or_b64 s[16:17], s[16:17], s[18:19]
	s_and_b64 s[14:15], s[14:15], s[16:17]
	s_xor_b64 s[16:17], s[14:15], -1
                                        ; implicit-def: $vgpr65
	s_and_saveexec_b64 s[18:19], s[16:17]
	s_xor_b64 s[16:17], exec, s[18:19]
	s_cbranch_execz .LBB16_60
; %bb.59:                               ;   in Loop: Header=BB16_2 Depth=1
	v_lshlrev_b32_e32 v65, 2, v68
	ds_read_b32 v65, v65 offset:4
.LBB16_60:                              ;   in Loop: Header=BB16_2 Depth=1
	s_or_saveexec_b64 s[16:17], s[16:17]
	v_mov_b32_e32 v66, v63
	s_xor_b64 exec, exec, s[16:17]
	s_cbranch_execz .LBB16_62
; %bb.61:                               ;   in Loop: Header=BB16_2 Depth=1
	s_waitcnt lgkmcnt(0)
	v_lshlrev_b32_e32 v65, 2, v67
	ds_read_b32 v66, v65 offset:4
	v_mov_b32_e32 v65, v64
.LBB16_62:                              ;   in Loop: Header=BB16_2 Depth=1
	s_or_b64 exec, exec, s[16:17]
	v_add_u32_e32 v70, 1, v68
	v_add_u32_e32 v69, 1, v67
	v_cndmask_b32_e64 v68, v70, v68, s[14:15]
	v_cndmask_b32_e64 v67, v67, v69, s[14:15]
	v_cmp_ge_i32_e64 s[18:19], v68, v32
	s_waitcnt lgkmcnt(0)
	v_cmp_lt_i32_e64 s[20:21], v66, v65
	v_cmp_lt_i32_e64 s[16:17], v67, v33
	s_or_b64 s[18:19], s[18:19], s[20:21]
	s_and_b64 s[16:17], s[16:17], s[18:19]
	s_xor_b64 s[18:19], s[16:17], -1
                                        ; implicit-def: $vgpr69
	s_and_saveexec_b64 s[20:21], s[18:19]
	s_xor_b64 s[18:19], exec, s[20:21]
	s_cbranch_execz .LBB16_64
; %bb.63:                               ;   in Loop: Header=BB16_2 Depth=1
	v_lshlrev_b32_e32 v69, 2, v68
	ds_read_b32 v69, v69 offset:4
.LBB16_64:                              ;   in Loop: Header=BB16_2 Depth=1
	s_or_saveexec_b64 s[18:19], s[18:19]
	v_mov_b32_e32 v70, v66
	s_xor_b64 exec, exec, s[18:19]
	s_cbranch_execz .LBB16_66
; %bb.65:                               ;   in Loop: Header=BB16_2 Depth=1
	s_waitcnt lgkmcnt(0)
	v_lshlrev_b32_e32 v69, 2, v67
	ds_read_b32 v70, v69 offset:4
	v_mov_b32_e32 v69, v65
.LBB16_66:                              ;   in Loop: Header=BB16_2 Depth=1
	s_or_b64 exec, exec, s[18:19]
	v_cndmask_b32_e64 v65, v65, v66, s[16:17]
	v_add_u32_e32 v66, 1, v67
	v_add_u32_e32 v71, 1, v68
	v_cndmask_b32_e64 v66, v67, v66, s[16:17]
	v_cndmask_b32_e64 v67, v71, v68, s[16:17]
	;; [unrolled: 1-line block ×3, first 2 shown]
	v_cmp_ge_i32_e64 s[14:15], v67, v32
	s_waitcnt lgkmcnt(0)
	v_cmp_lt_i32_e64 s[16:17], v70, v69
	v_cndmask_b32_e64 v61, v61, v62, s[12:13]
	v_cmp_lt_i32_e64 s[12:13], v66, v33
	s_or_b64 s[14:15], s[14:15], s[16:17]
	s_and_b64 s[12:13], s[12:13], s[14:15]
	v_cndmask_b32_e64 v62, v69, v70, s[12:13]
	s_barrier
	ds_write2_b32 v2, v61, v63 offset1:1
	ds_write2_b32 v2, v65, v62 offset0:2 offset1:3
	v_mov_b32_e32 v63, v44
	s_waitcnt lgkmcnt(0)
	s_barrier
	s_and_saveexec_b64 s[14:15], s[6:7]
	s_cbranch_execz .LBB16_70
; %bb.67:                               ;   in Loop: Header=BB16_2 Depth=1
	s_mov_b64 s[16:17], 0
	v_mov_b32_e32 v63, v44
	v_mov_b32_e32 v61, v45
.LBB16_68:                              ;   Parent Loop BB16_2 Depth=1
                                        ; =>  This Inner Loop Header: Depth=2
	v_sub_u32_e32 v62, v61, v63
	v_lshrrev_b32_e32 v64, 31, v62
	v_add_u32_e32 v62, v62, v64
	v_ashrrev_i32_e32 v62, 1, v62
	v_add_u32_e32 v62, v62, v63
	v_xad_u32 v65, v62, -1, v40
	v_lshl_add_u32 v64, v62, 2, v43
	v_lshl_add_u32 v65, v65, 2, v55
	ds_read_b32 v64, v64
	ds_read_b32 v65, v65
	v_add_u32_e32 v66, 1, v62
	s_waitcnt lgkmcnt(0)
	v_cmp_lt_i32_e64 s[12:13], v65, v64
	s_nop 1
	v_cndmask_b32_e64 v61, v61, v62, s[12:13]
	v_cndmask_b32_e64 v63, v66, v63, s[12:13]
	v_cmp_ge_i32_e64 s[12:13], v63, v61
	s_or_b64 s[16:17], s[12:13], s[16:17]
	s_andn2_b64 exec, exec, s[16:17]
	s_cbranch_execnz .LBB16_68
; %bb.69:                               ;   in Loop: Header=BB16_2 Depth=1
	s_or_b64 exec, exec, s[16:17]
.LBB16_70:                              ;   in Loop: Header=BB16_2 Depth=1
	s_or_b64 exec, exec, s[14:15]
	v_sub_u32_e32 v65, v56, v63
	v_lshl_add_u32 v68, v63, 2, v43
	v_lshlrev_b32_e32 v67, 2, v65
	ds_read_b32 v61, v68
	ds_read_b32 v62, v67
	v_add_u32_e32 v66, v63, v39
	v_cmp_le_i32_e64 s[14:15], v41, v66
	v_cmp_gt_i32_e64 s[12:13], v42, v65
                                        ; implicit-def: $vgpr63
                                        ; implicit-def: $vgpr64
	s_waitcnt lgkmcnt(0)
	v_cmp_lt_i32_e64 s[16:17], v62, v61
	s_or_b64 s[14:15], s[14:15], s[16:17]
	s_and_b64 s[12:13], s[12:13], s[14:15]
	s_xor_b64 s[14:15], s[12:13], -1
	s_and_saveexec_b64 s[16:17], s[14:15]
	s_xor_b64 s[14:15], exec, s[16:17]
	s_cbranch_execz .LBB16_72
; %bb.71:                               ;   in Loop: Header=BB16_2 Depth=1
	ds_read_b32 v64, v68 offset:4
	v_mov_b32_e32 v63, v62
                                        ; implicit-def: $vgpr67
.LBB16_72:                              ;   in Loop: Header=BB16_2 Depth=1
	s_andn2_saveexec_b64 s[14:15], s[14:15]
	s_cbranch_execz .LBB16_74
; %bb.73:                               ;   in Loop: Header=BB16_2 Depth=1
	ds_read_b32 v63, v67 offset:4
	s_waitcnt lgkmcnt(1)
	v_mov_b32_e32 v64, v61
.LBB16_74:                              ;   in Loop: Header=BB16_2 Depth=1
	s_or_b64 exec, exec, s[14:15]
	v_add_u32_e32 v68, 1, v66
	v_add_u32_e32 v67, 1, v65
	v_cndmask_b32_e64 v68, v68, v66, s[12:13]
	v_cndmask_b32_e64 v67, v65, v67, s[12:13]
	v_cmp_ge_i32_e64 s[16:17], v68, v41
	s_waitcnt lgkmcnt(0)
	v_cmp_lt_i32_e64 s[18:19], v63, v64
	v_cmp_lt_i32_e64 s[14:15], v67, v42
	s_or_b64 s[16:17], s[16:17], s[18:19]
	s_and_b64 s[14:15], s[14:15], s[16:17]
	s_xor_b64 s[16:17], s[14:15], -1
                                        ; implicit-def: $vgpr65
	s_and_saveexec_b64 s[18:19], s[16:17]
	s_xor_b64 s[16:17], exec, s[18:19]
	s_cbranch_execz .LBB16_76
; %bb.75:                               ;   in Loop: Header=BB16_2 Depth=1
	v_lshlrev_b32_e32 v65, 2, v68
	ds_read_b32 v65, v65 offset:4
.LBB16_76:                              ;   in Loop: Header=BB16_2 Depth=1
	s_or_saveexec_b64 s[16:17], s[16:17]
	v_mov_b32_e32 v66, v63
	s_xor_b64 exec, exec, s[16:17]
	s_cbranch_execz .LBB16_78
; %bb.77:                               ;   in Loop: Header=BB16_2 Depth=1
	s_waitcnt lgkmcnt(0)
	v_lshlrev_b32_e32 v65, 2, v67
	ds_read_b32 v66, v65 offset:4
	v_mov_b32_e32 v65, v64
.LBB16_78:                              ;   in Loop: Header=BB16_2 Depth=1
	s_or_b64 exec, exec, s[16:17]
	v_add_u32_e32 v70, 1, v68
	v_add_u32_e32 v69, 1, v67
	v_cndmask_b32_e64 v68, v70, v68, s[14:15]
	v_cndmask_b32_e64 v67, v67, v69, s[14:15]
	v_cmp_ge_i32_e64 s[18:19], v68, v41
	s_waitcnt lgkmcnt(0)
	v_cmp_lt_i32_e64 s[20:21], v66, v65
	v_cmp_lt_i32_e64 s[16:17], v67, v42
	s_or_b64 s[18:19], s[18:19], s[20:21]
	s_and_b64 s[16:17], s[16:17], s[18:19]
	s_xor_b64 s[18:19], s[16:17], -1
                                        ; implicit-def: $vgpr69
	s_and_saveexec_b64 s[20:21], s[18:19]
	s_xor_b64 s[18:19], exec, s[20:21]
	s_cbranch_execz .LBB16_80
; %bb.79:                               ;   in Loop: Header=BB16_2 Depth=1
	v_lshlrev_b32_e32 v69, 2, v68
	ds_read_b32 v69, v69 offset:4
.LBB16_80:                              ;   in Loop: Header=BB16_2 Depth=1
	s_or_saveexec_b64 s[18:19], s[18:19]
	v_mov_b32_e32 v70, v66
	s_xor_b64 exec, exec, s[18:19]
	s_cbranch_execz .LBB16_82
; %bb.81:                               ;   in Loop: Header=BB16_2 Depth=1
	s_waitcnt lgkmcnt(0)
	v_lshlrev_b32_e32 v69, 2, v67
	ds_read_b32 v70, v69 offset:4
	v_mov_b32_e32 v69, v65
.LBB16_82:                              ;   in Loop: Header=BB16_2 Depth=1
	s_or_b64 exec, exec, s[18:19]
	v_cndmask_b32_e64 v65, v65, v66, s[16:17]
	v_add_u32_e32 v66, 1, v67
	v_add_u32_e32 v71, 1, v68
	v_cndmask_b32_e64 v66, v67, v66, s[16:17]
	v_cndmask_b32_e64 v67, v71, v68, s[16:17]
	;; [unrolled: 1-line block ×3, first 2 shown]
	v_cmp_ge_i32_e64 s[14:15], v67, v41
	s_waitcnt lgkmcnt(0)
	v_cmp_lt_i32_e64 s[16:17], v70, v69
	v_cndmask_b32_e64 v61, v61, v62, s[12:13]
	v_cmp_lt_i32_e64 s[12:13], v66, v42
	s_or_b64 s[14:15], s[14:15], s[16:17]
	s_and_b64 s[12:13], s[12:13], s[14:15]
	v_cndmask_b32_e64 v62, v69, v70, s[12:13]
	s_barrier
	ds_write2_b32 v2, v61, v63 offset1:1
	ds_write2_b32 v2, v65, v62 offset0:2 offset1:3
	v_mov_b32_e32 v63, v51
	s_waitcnt lgkmcnt(0)
	s_barrier
	s_and_saveexec_b64 s[14:15], s[8:9]
	s_cbranch_execz .LBB16_86
; %bb.83:                               ;   in Loop: Header=BB16_2 Depth=1
	s_mov_b64 s[16:17], 0
	v_mov_b32_e32 v63, v51
	v_mov_b32_e32 v61, v52
.LBB16_84:                              ;   Parent Loop BB16_2 Depth=1
                                        ; =>  This Inner Loop Header: Depth=2
	v_sub_u32_e32 v62, v61, v63
	v_lshrrev_b32_e32 v64, 31, v62
	v_add_u32_e32 v62, v62, v64
	v_ashrrev_i32_e32 v62, 1, v62
	v_add_u32_e32 v62, v62, v63
	v_xad_u32 v65, v62, -1, v48
	v_lshl_add_u32 v64, v62, 2, v57
	v_lshl_add_u32 v65, v65, 2, v58
	ds_read_b32 v64, v64
	ds_read_b32 v65, v65
	v_add_u32_e32 v66, 1, v62
	s_waitcnt lgkmcnt(0)
	v_cmp_lt_i32_e64 s[12:13], v65, v64
	s_nop 1
	v_cndmask_b32_e64 v61, v61, v62, s[12:13]
	v_cndmask_b32_e64 v63, v66, v63, s[12:13]
	v_cmp_ge_i32_e64 s[12:13], v63, v61
	s_or_b64 s[16:17], s[12:13], s[16:17]
	s_andn2_b64 exec, exec, s[16:17]
	s_cbranch_execnz .LBB16_84
; %bb.85:                               ;   in Loop: Header=BB16_2 Depth=1
	s_or_b64 exec, exec, s[16:17]
.LBB16_86:                              ;   in Loop: Header=BB16_2 Depth=1
	s_or_b64 exec, exec, s[14:15]
	v_sub_u32_e32 v65, v59, v63
	v_lshl_add_u32 v68, v63, 2, v57
	v_lshlrev_b32_e32 v67, 2, v65
	ds_read_b32 v61, v68
	ds_read_b32 v62, v67
	v_add_u32_e32 v66, v63, v47
	v_cmp_le_i32_e64 s[14:15], v49, v66
	v_cmp_gt_i32_e64 s[12:13], v50, v65
                                        ; implicit-def: $vgpr63
                                        ; implicit-def: $vgpr64
	s_waitcnt lgkmcnt(0)
	v_cmp_lt_i32_e64 s[16:17], v62, v61
	s_or_b64 s[14:15], s[14:15], s[16:17]
	s_and_b64 s[12:13], s[12:13], s[14:15]
	s_xor_b64 s[14:15], s[12:13], -1
	s_and_saveexec_b64 s[16:17], s[14:15]
	s_xor_b64 s[14:15], exec, s[16:17]
	s_cbranch_execz .LBB16_88
; %bb.87:                               ;   in Loop: Header=BB16_2 Depth=1
	ds_read_b32 v64, v68 offset:4
	v_mov_b32_e32 v63, v62
                                        ; implicit-def: $vgpr67
.LBB16_88:                              ;   in Loop: Header=BB16_2 Depth=1
	s_andn2_saveexec_b64 s[14:15], s[14:15]
	s_cbranch_execz .LBB16_90
; %bb.89:                               ;   in Loop: Header=BB16_2 Depth=1
	ds_read_b32 v63, v67 offset:4
	s_waitcnt lgkmcnt(1)
	v_mov_b32_e32 v64, v61
.LBB16_90:                              ;   in Loop: Header=BB16_2 Depth=1
	s_or_b64 exec, exec, s[14:15]
	v_add_u32_e32 v68, 1, v66
	v_add_u32_e32 v67, 1, v65
	v_cndmask_b32_e64 v68, v68, v66, s[12:13]
	v_cndmask_b32_e64 v67, v65, v67, s[12:13]
	v_cmp_ge_i32_e64 s[16:17], v68, v49
	s_waitcnt lgkmcnt(0)
	v_cmp_lt_i32_e64 s[18:19], v63, v64
	v_cmp_lt_i32_e64 s[14:15], v67, v50
	s_or_b64 s[16:17], s[16:17], s[18:19]
	s_and_b64 s[14:15], s[14:15], s[16:17]
	s_xor_b64 s[16:17], s[14:15], -1
                                        ; implicit-def: $vgpr65
	s_and_saveexec_b64 s[18:19], s[16:17]
	s_xor_b64 s[16:17], exec, s[18:19]
	s_cbranch_execz .LBB16_92
; %bb.91:                               ;   in Loop: Header=BB16_2 Depth=1
	v_lshlrev_b32_e32 v65, 2, v68
	ds_read_b32 v65, v65 offset:4
.LBB16_92:                              ;   in Loop: Header=BB16_2 Depth=1
	s_or_saveexec_b64 s[16:17], s[16:17]
	v_mov_b32_e32 v66, v63
	s_xor_b64 exec, exec, s[16:17]
	s_cbranch_execz .LBB16_94
; %bb.93:                               ;   in Loop: Header=BB16_2 Depth=1
	s_waitcnt lgkmcnt(0)
	v_lshlrev_b32_e32 v65, 2, v67
	ds_read_b32 v66, v65 offset:4
	v_mov_b32_e32 v65, v64
.LBB16_94:                              ;   in Loop: Header=BB16_2 Depth=1
	s_or_b64 exec, exec, s[16:17]
	v_add_u32_e32 v70, 1, v68
	v_add_u32_e32 v69, 1, v67
	v_cndmask_b32_e64 v68, v70, v68, s[14:15]
	v_cndmask_b32_e64 v67, v67, v69, s[14:15]
	v_cmp_ge_i32_e64 s[18:19], v68, v49
	s_waitcnt lgkmcnt(0)
	v_cmp_lt_i32_e64 s[20:21], v66, v65
	v_cmp_lt_i32_e64 s[16:17], v67, v50
	s_or_b64 s[18:19], s[18:19], s[20:21]
	s_and_b64 s[16:17], s[16:17], s[18:19]
	s_xor_b64 s[18:19], s[16:17], -1
                                        ; implicit-def: $vgpr69
	s_and_saveexec_b64 s[20:21], s[18:19]
	s_xor_b64 s[18:19], exec, s[20:21]
	s_cbranch_execz .LBB16_96
; %bb.95:                               ;   in Loop: Header=BB16_2 Depth=1
	v_lshlrev_b32_e32 v69, 2, v68
	ds_read_b32 v69, v69 offset:4
.LBB16_96:                              ;   in Loop: Header=BB16_2 Depth=1
	s_or_saveexec_b64 s[18:19], s[18:19]
	v_mov_b32_e32 v70, v66
	s_xor_b64 exec, exec, s[18:19]
	s_cbranch_execz .LBB16_98
; %bb.97:                               ;   in Loop: Header=BB16_2 Depth=1
	s_waitcnt lgkmcnt(0)
	v_lshlrev_b32_e32 v69, 2, v67
	ds_read_b32 v70, v69 offset:4
	v_mov_b32_e32 v69, v65
.LBB16_98:                              ;   in Loop: Header=BB16_2 Depth=1
	s_or_b64 exec, exec, s[18:19]
	v_cndmask_b32_e64 v65, v65, v66, s[16:17]
	v_add_u32_e32 v66, 1, v67
	v_add_u32_e32 v71, 1, v68
	v_cndmask_b32_e64 v66, v67, v66, s[16:17]
	v_cndmask_b32_e64 v67, v71, v68, s[16:17]
	;; [unrolled: 1-line block ×3, first 2 shown]
	v_cmp_ge_i32_e64 s[14:15], v67, v49
	s_waitcnt lgkmcnt(0)
	v_cmp_lt_i32_e64 s[16:17], v70, v69
	v_cndmask_b32_e64 v61, v61, v62, s[12:13]
	v_cmp_lt_i32_e64 s[12:13], v66, v50
	s_or_b64 s[14:15], s[14:15], s[16:17]
	s_and_b64 s[12:13], s[12:13], s[14:15]
	v_cndmask_b32_e64 v62, v69, v70, s[12:13]
	s_barrier
	ds_write2_b32 v2, v61, v63 offset1:1
	ds_write2_b32 v2, v65, v62 offset0:2 offset1:3
	v_mov_b32_e32 v65, v53
	s_waitcnt lgkmcnt(0)
	s_barrier
	s_and_saveexec_b64 s[14:15], s[10:11]
	s_cbranch_execz .LBB16_102
; %bb.99:                               ;   in Loop: Header=BB16_2 Depth=1
	s_mov_b64 s[16:17], 0
	v_mov_b32_e32 v65, v53
	v_mov_b32_e32 v61, v54
.LBB16_100:                             ;   Parent Loop BB16_2 Depth=1
                                        ; =>  This Inner Loop Header: Depth=2
	v_sub_u32_e32 v62, v61, v65
	v_lshrrev_b32_e32 v63, 31, v62
	v_add_u32_e32 v62, v62, v63
	v_ashrrev_i32_e32 v62, 1, v62
	v_add_u32_e32 v62, v62, v65
	v_xad_u32 v64, v62, -1, v1
	v_mov_b32_e32 v66, 0x400
	v_lshlrev_b32_e32 v63, 2, v62
	v_lshl_add_u32 v64, v64, 2, v66
	ds_read_b32 v63, v63
	ds_read_b32 v64, v64
	v_add_u32_e32 v66, 1, v62
	s_waitcnt lgkmcnt(0)
	v_cmp_lt_i32_e64 s[12:13], v64, v63
	s_nop 1
	v_cndmask_b32_e64 v61, v61, v62, s[12:13]
	v_cndmask_b32_e64 v65, v66, v65, s[12:13]
	v_cmp_ge_i32_e64 s[12:13], v65, v61
	s_or_b64 s[16:17], s[12:13], s[16:17]
	s_andn2_b64 exec, exec, s[16:17]
	s_cbranch_execnz .LBB16_100
; %bb.101:                              ;   in Loop: Header=BB16_2 Depth=1
	s_or_b64 exec, exec, s[16:17]
.LBB16_102:                             ;   in Loop: Header=BB16_2 Depth=1
	s_or_b64 exec, exec, s[14:15]
	v_sub_u32_e32 v66, v60, v65
	v_lshlrev_b32_e32 v68, 2, v65
	v_lshlrev_b32_e32 v67, 2, v66
	ds_read_b32 v61, v68
	ds_read_b32 v62, v67
	v_cmp_le_i32_e64 s[14:15], v46, v65
	v_cmp_gt_i32_e64 s[12:13], s24, v66
                                        ; implicit-def: $vgpr63
                                        ; implicit-def: $vgpr64
	s_waitcnt lgkmcnt(0)
	v_cmp_lt_i32_e64 s[16:17], v62, v61
	s_or_b64 s[14:15], s[14:15], s[16:17]
	s_and_b64 s[12:13], s[12:13], s[14:15]
	s_xor_b64 s[14:15], s[12:13], -1
	s_and_saveexec_b64 s[16:17], s[14:15]
	s_xor_b64 s[14:15], exec, s[16:17]
	s_cbranch_execz .LBB16_104
; %bb.103:                              ;   in Loop: Header=BB16_2 Depth=1
	ds_read_b32 v64, v68 offset:4
	v_mov_b32_e32 v63, v62
                                        ; implicit-def: $vgpr67
.LBB16_104:                             ;   in Loop: Header=BB16_2 Depth=1
	s_andn2_saveexec_b64 s[14:15], s[14:15]
	s_cbranch_execz .LBB16_106
; %bb.105:                              ;   in Loop: Header=BB16_2 Depth=1
	ds_read_b32 v63, v67 offset:4
	s_waitcnt lgkmcnt(1)
	v_mov_b32_e32 v64, v61
.LBB16_106:                             ;   in Loop: Header=BB16_2 Depth=1
	s_or_b64 exec, exec, s[14:15]
	v_add_u32_e32 v68, 1, v65
	v_add_u32_e32 v67, 1, v66
	v_cndmask_b32_e64 v68, v68, v65, s[12:13]
	v_cndmask_b32_e64 v67, v66, v67, s[12:13]
	v_cmp_ge_i32_e64 s[16:17], v68, v46
	s_waitcnt lgkmcnt(0)
	v_cmp_lt_i32_e64 s[18:19], v63, v64
	v_cmp_gt_i32_e64 s[14:15], s24, v67
	s_or_b64 s[16:17], s[16:17], s[18:19]
	s_and_b64 s[14:15], s[14:15], s[16:17]
	s_xor_b64 s[16:17], s[14:15], -1
                                        ; implicit-def: $vgpr65
	s_and_saveexec_b64 s[18:19], s[16:17]
	s_xor_b64 s[16:17], exec, s[18:19]
	s_cbranch_execz .LBB16_108
; %bb.107:                              ;   in Loop: Header=BB16_2 Depth=1
	v_lshlrev_b32_e32 v65, 2, v68
	ds_read_b32 v65, v65 offset:4
.LBB16_108:                             ;   in Loop: Header=BB16_2 Depth=1
	s_or_saveexec_b64 s[16:17], s[16:17]
	v_mov_b32_e32 v66, v63
	s_xor_b64 exec, exec, s[16:17]
	s_cbranch_execz .LBB16_110
; %bb.109:                              ;   in Loop: Header=BB16_2 Depth=1
	s_waitcnt lgkmcnt(0)
	v_lshlrev_b32_e32 v65, 2, v67
	ds_read_b32 v66, v65 offset:4
	v_mov_b32_e32 v65, v64
.LBB16_110:                             ;   in Loop: Header=BB16_2 Depth=1
	s_or_b64 exec, exec, s[16:17]
	v_add_u32_e32 v69, 1, v67
	v_add_u32_e32 v70, 1, v68
	v_cndmask_b32_e64 v67, v67, v69, s[14:15]
	v_cndmask_b32_e64 v69, v70, v68, s[14:15]
	v_cmp_ge_i32_e64 s[18:19], v69, v46
	s_waitcnt lgkmcnt(0)
	v_cmp_lt_i32_e64 s[20:21], v66, v65
	v_cmp_gt_i32_e64 s[16:17], s24, v67
	s_or_b64 s[18:19], s[18:19], s[20:21]
	s_and_b64 s[16:17], s[16:17], s[18:19]
	s_xor_b64 s[18:19], s[16:17], -1
                                        ; implicit-def: $vgpr68
                                        ; implicit-def: $vgpr70
	s_and_saveexec_b64 s[20:21], s[18:19]
	s_xor_b64 s[18:19], exec, s[20:21]
	s_cbranch_execz .LBB16_112
; %bb.111:                              ;   in Loop: Header=BB16_2 Depth=1
	v_lshlrev_b32_e32 v68, 2, v69
	ds_read_b32 v68, v68 offset:4
	v_add_u32_e32 v70, 1, v69
                                        ; implicit-def: $vgpr69
.LBB16_112:                             ;   in Loop: Header=BB16_2 Depth=1
	s_or_saveexec_b64 s[18:19], s[18:19]
	v_mov_b32_e32 v71, v66
	s_xor_b64 exec, exec, s[18:19]
	s_cbranch_execz .LBB16_1
; %bb.113:                              ;   in Loop: Header=BB16_2 Depth=1
	s_waitcnt lgkmcnt(0)
	v_lshlrev_b32_e32 v68, 2, v67
	ds_read_b32 v71, v68 offset:4
	v_add_u32_e32 v67, 1, v67
	v_mov_b32_e32 v70, v69
	v_mov_b32_e32 v68, v65
	s_branch .LBB16_1
.LBB16_114:
	s_add_u32 s0, s22, s26
	s_addc_u32 s1, s23, s27
	v_lshlrev_b32_e32 v0, 2, v0
	global_store_dword v0, v62, s[0:1]
	global_store_dword v0, v63, s[0:1] offset:512
	global_store_dword v0, v61, s[0:1] offset:1024
	global_store_dword v0, v64, s[0:1] offset:1536
	s_endpgm
	.section	.rodata,"a",@progbits
	.p2align	6, 0x0
	.amdhsa_kernel _Z16sort_keys_kernelIiLj128ELj4EN10test_utils4lessELj10EEvPKT_PS2_T2_
		.amdhsa_group_segment_fixed_size 2052
		.amdhsa_private_segment_fixed_size 0
		.amdhsa_kernarg_size 20
		.amdhsa_user_sgpr_count 2
		.amdhsa_user_sgpr_dispatch_ptr 0
		.amdhsa_user_sgpr_queue_ptr 0
		.amdhsa_user_sgpr_kernarg_segment_ptr 1
		.amdhsa_user_sgpr_dispatch_id 0
		.amdhsa_user_sgpr_kernarg_preload_length 0
		.amdhsa_user_sgpr_kernarg_preload_offset 0
		.amdhsa_user_sgpr_private_segment_size 0
		.amdhsa_uses_dynamic_stack 0
		.amdhsa_enable_private_segment 0
		.amdhsa_system_sgpr_workgroup_id_x 1
		.amdhsa_system_sgpr_workgroup_id_y 0
		.amdhsa_system_sgpr_workgroup_id_z 0
		.amdhsa_system_sgpr_workgroup_info 0
		.amdhsa_system_vgpr_workitem_id 0
		.amdhsa_next_free_vgpr 72
		.amdhsa_next_free_sgpr 28
		.amdhsa_accum_offset 72
		.amdhsa_reserve_vcc 1
		.amdhsa_float_round_mode_32 0
		.amdhsa_float_round_mode_16_64 0
		.amdhsa_float_denorm_mode_32 3
		.amdhsa_float_denorm_mode_16_64 3
		.amdhsa_dx10_clamp 1
		.amdhsa_ieee_mode 1
		.amdhsa_fp16_overflow 0
		.amdhsa_tg_split 0
		.amdhsa_exception_fp_ieee_invalid_op 0
		.amdhsa_exception_fp_denorm_src 0
		.amdhsa_exception_fp_ieee_div_zero 0
		.amdhsa_exception_fp_ieee_overflow 0
		.amdhsa_exception_fp_ieee_underflow 0
		.amdhsa_exception_fp_ieee_inexact 0
		.amdhsa_exception_int_div_zero 0
	.end_amdhsa_kernel
	.section	.text._Z16sort_keys_kernelIiLj128ELj4EN10test_utils4lessELj10EEvPKT_PS2_T2_,"axG",@progbits,_Z16sort_keys_kernelIiLj128ELj4EN10test_utils4lessELj10EEvPKT_PS2_T2_,comdat
.Lfunc_end16:
	.size	_Z16sort_keys_kernelIiLj128ELj4EN10test_utils4lessELj10EEvPKT_PS2_T2_, .Lfunc_end16-_Z16sort_keys_kernelIiLj128ELj4EN10test_utils4lessELj10EEvPKT_PS2_T2_
                                        ; -- End function
	.section	.AMDGPU.csdata,"",@progbits
; Kernel info:
; codeLenInByte = 5380
; NumSgprs: 34
; NumVgprs: 72
; NumAgprs: 0
; TotalNumVgprs: 72
; ScratchSize: 0
; MemoryBound: 0
; FloatMode: 240
; IeeeMode: 1
; LDSByteSize: 2052 bytes/workgroup (compile time only)
; SGPRBlocks: 4
; VGPRBlocks: 8
; NumSGPRsForWavesPerEU: 34
; NumVGPRsForWavesPerEU: 72
; AccumOffset: 72
; Occupancy: 7
; WaveLimiterHint : 1
; COMPUTE_PGM_RSRC2:SCRATCH_EN: 0
; COMPUTE_PGM_RSRC2:USER_SGPR: 2
; COMPUTE_PGM_RSRC2:TRAP_HANDLER: 0
; COMPUTE_PGM_RSRC2:TGID_X_EN: 1
; COMPUTE_PGM_RSRC2:TGID_Y_EN: 0
; COMPUTE_PGM_RSRC2:TGID_Z_EN: 0
; COMPUTE_PGM_RSRC2:TIDIG_COMP_CNT: 0
; COMPUTE_PGM_RSRC3_GFX90A:ACCUM_OFFSET: 17
; COMPUTE_PGM_RSRC3_GFX90A:TG_SPLIT: 0
	.section	.text._Z17sort_pairs_kernelIiLj128ELj4EN10test_utils4lessELj10EEvPKT_PS2_T2_,"axG",@progbits,_Z17sort_pairs_kernelIiLj128ELj4EN10test_utils4lessELj10EEvPKT_PS2_T2_,comdat
	.protected	_Z17sort_pairs_kernelIiLj128ELj4EN10test_utils4lessELj10EEvPKT_PS2_T2_ ; -- Begin function _Z17sort_pairs_kernelIiLj128ELj4EN10test_utils4lessELj10EEvPKT_PS2_T2_
	.globl	_Z17sort_pairs_kernelIiLj128ELj4EN10test_utils4lessELj10EEvPKT_PS2_T2_
	.p2align	8
	.type	_Z17sort_pairs_kernelIiLj128ELj4EN10test_utils4lessELj10EEvPKT_PS2_T2_,@function
_Z17sort_pairs_kernelIiLj128ELj4EN10test_utils4lessELj10EEvPKT_PS2_T2_: ; @_Z17sort_pairs_kernelIiLj128ELj4EN10test_utils4lessELj10EEvPKT_PS2_T2_
; %bb.0:
	s_load_dwordx4 s[36:39], s[0:1], 0x0
	s_lshl_b32 s42, s2, 9
	s_mov_b32 s43, 0
	s_lshl_b64 s[40:41], s[42:43], 2
	v_lshlrev_b32_e32 v1, 2, v0
	s_waitcnt lgkmcnt(0)
	s_add_u32 s0, s36, s40
	s_addc_u32 s1, s37, s41
	global_load_dword v66, v1, s[0:1]
	global_load_dword v69, v1, s[0:1] offset:512
	global_load_dword v68, v1, s[0:1] offset:1024
	;; [unrolled: 1-line block ×3, first 2 shown]
	v_and_b32_e32 v4, 0x1f8, v1
	v_and_b32_e32 v6, 0x1f0, v1
	v_or_b32_e32 v16, 4, v4
	v_add_u32_e32 v17, 8, v4
	v_and_b32_e32 v5, 4, v1
	v_and_b32_e32 v8, 0x1e0, v1
	v_or_b32_e32 v19, 8, v6
	v_add_u32_e32 v20, 16, v6
	v_sub_u32_e32 v42, v17, v16
	v_and_b32_e32 v7, 12, v1
	v_and_b32_e32 v10, 0x1c0, v1
	v_or_b32_e32 v22, 16, v8
	v_add_u32_e32 v23, 32, v8
	v_sub_u32_e32 v43, v20, v19
	v_sub_u32_e32 v47, v5, v42
	v_cmp_ge_i32_e32 vcc, v5, v42
	v_and_b32_e32 v9, 28, v1
	v_and_b32_e32 v12, 0x180, v1
	;; [unrolled: 1-line block ×3, first 2 shown]
	v_or_b32_e32 v25, 32, v10
	v_add_u32_e32 v26, 64, v10
	v_sub_u32_e32 v44, v23, v22
	v_sub_u32_e32 v49, v7, v43
	v_cndmask_b32_e32 v42, 0, v47, vcc
	v_cmp_ge_i32_e32 vcc, v7, v43
	v_and_b32_e32 v11, 60, v1
	v_or_b32_e32 v27, 64, v12
	v_add_u32_e32 v28, 0x80, v12
	v_or_b32_e32 v29, 0x80, v14
	v_add_u32_e32 v30, 0x100, v14
	v_sub_u32_e32 v45, v26, v25
	v_sub_u32_e32 v50, v9, v44
	v_cndmask_b32_e32 v43, 0, v49, vcc
	v_cmp_ge_i32_e32 vcc, v9, v44
	v_and_b32_e32 v13, 0x7c, v1
	v_and_b32_e32 v15, 0xfc, v1
	v_sub_u32_e32 v46, v28, v27
	v_sub_u32_e32 v51, v11, v45
	v_cndmask_b32_e32 v44, 0, v50, vcc
	v_cmp_ge_i32_e32 vcc, v11, v45
	v_sub_u32_e32 v47, v30, v29
	v_mov_b32_e32 v2, 0x100
	v_sub_u32_e32 v37, v16, v4
	v_sub_u32_e32 v38, v19, v6
	;; [unrolled: 1-line block ×7, first 2 shown]
	v_cndmask_b32_e32 v45, 0, v51, vcc
	v_cmp_ge_i32_e32 vcc, v13, v46
	v_sub_u32_e32 v49, v15, v47
	v_cmp_ge_i32_e64 s[8:9], v15, v47
	v_min_i32_e32 v37, v5, v37
	v_min_i32_e32 v38, v7, v38
	v_min_i32_e32 v39, v9, v39
	v_min_i32_e32 v40, v11, v40
	v_min_i32_e32 v41, v13, v41
	v_cndmask_b32_e32 v46, 0, v52, vcc
	v_cndmask_b32_e64 v47, 0, v49, s[8:9]
	v_min_i32_e32 v48, v15, v48
	v_sub_u32_e64 v49, v1, v2 clamp
	v_min_i32_e32 v50, 0x100, v1
	v_lshlrev_b32_e32 v3, 4, v0
	v_lshlrev_b32_e32 v18, 2, v4
	;; [unrolled: 1-line block ×5, first 2 shown]
	v_add_u32_e32 v32, v16, v5
	v_lshlrev_b32_e32 v33, 2, v19
	v_add_u32_e32 v34, v19, v7
	v_lshlrev_b32_e32 v35, 2, v22
	v_add_u32_e32 v36, v22, v9
	v_cmp_lt_i32_e32 vcc, v42, v37
	v_cmp_lt_i32_e64 s[0:1], v43, v38
	v_cmp_lt_i32_e64 s[2:3], v44, v39
	;; [unrolled: 1-line block ×4, first 2 shown]
	s_waitcnt vmcnt(3)
	v_add_u32_e32 v62, 1, v66
	s_waitcnt vmcnt(2)
	v_add_u32_e32 v64, 1, v69
	;; [unrolled: 2-line block ×4, first 2 shown]
	v_cmp_lt_i32_e64 s[8:9], v47, v48
	v_cmp_lt_i32_e64 s[10:11], v49, v50
	s_movk_i32 s33, 0x200
	v_lshlrev_b32_e32 v51, 2, v10
	v_lshlrev_b32_e32 v52, 2, v25
	v_add_u32_e32 v53, v25, v11
	v_lshlrev_b32_e32 v54, 2, v12
	v_lshlrev_b32_e32 v55, 2, v27
	v_add_u32_e32 v56, v27, v13
	;; [unrolled: 3-line block ×3, first 2 shown]
	v_mov_b32_e32 v60, 0x400
	v_add_u32_e32 v61, 0x100, v1
	s_branch .LBB17_2
.LBB17_1:                               ;   in Loop: Header=BB17_2 Depth=1
	s_or_b64 exec, exec, s[18:19]
	v_cmp_ge_i32_e64 s[18:19], v77, v2
	s_waitcnt lgkmcnt(0)
	v_cmp_lt_i32_e64 s[20:21], v81, v78
	v_cndmask_b32_e64 v66, v66, v71, s[12:13]
	v_cndmask_b32_e64 v70, v67, v70, s[12:13]
	v_cmp_gt_i32_e64 s[12:13], s33, v76
	s_or_b64 s[18:19], s[18:19], s[20:21]
	v_cndmask_b32_e64 v71, v75, v74, s[14:15]
	s_and_b64 s[12:13], s[12:13], s[18:19]
	v_cndmask_b32_e64 v74, v77, v76, s[12:13]
	s_barrier
	ds_write2_b32 v3, v62, v63 offset1:1
	ds_write2_b32 v3, v64, v65 offset0:2 offset1:3
	v_lshlrev_b32_e32 v62, 2, v70
	v_lshlrev_b32_e32 v63, 2, v71
	;; [unrolled: 1-line block ×3, first 2 shown]
	s_waitcnt lgkmcnt(0)
	s_barrier
	v_lshlrev_b32_e32 v70, 2, v74
	ds_read_b32 v62, v62
	ds_read_b32 v64, v63
	;; [unrolled: 1-line block ×4, first 2 shown]
	s_add_i32 s43, s43, 1
	v_cndmask_b32_e64 v67, v78, v81, s[12:13]
	v_cndmask_b32_e64 v69, v69, v68, s[14:15]
	s_cmp_eq_u32 s43, 10
	v_cndmask_b32_e64 v68, v72, v73, s[16:17]
	s_cbranch_scc1 .LBB17_114
.LBB17_2:                               ; =>This Loop Header: Depth=1
                                        ;     Child Loop BB17_4 Depth 2
                                        ;     Child Loop BB17_20 Depth 2
	;; [unrolled: 1-line block ×7, first 2 shown]
	v_cmp_lt_i32_e64 s[12:13], v69, v66
	v_cmp_lt_i32_e64 s[14:15], v67, v68
	s_nop 0
	v_cndmask_b32_e64 v70, v66, v69, s[12:13]
	v_cndmask_b32_e64 v66, v69, v66, s[12:13]
	;; [unrolled: 1-line block ×4, first 2 shown]
	v_min_i32_e32 v67, v67, v68
	v_cmp_lt_i32_e64 s[16:17], v67, v66
	s_barrier
	s_nop 0
	v_cndmask_b32_e64 v68, v71, v66, s[16:17]
	v_cndmask_b32_e64 v71, v66, v67, s[16:17]
	v_min_i32_e32 v66, v67, v66
	v_cmp_lt_i32_e64 s[18:19], v66, v70
	v_cmp_lt_i32_e64 s[20:21], v69, v68
	s_nop 0
	v_cndmask_b32_e64 v66, v70, v66, s[18:19]
	v_cndmask_b32_e64 v67, v71, v70, s[18:19]
	v_cndmask_b32_e64 v70, v69, v68, s[20:21]
	v_cndmask_b32_e64 v71, v68, v69, s[20:21]
	v_min_i32_e32 v68, v69, v68
	v_cmp_lt_i32_e64 s[22:23], v68, v67
	s_nop 1
	v_cndmask_b32_e64 v69, v71, v67, s[22:23]
	v_cndmask_b32_e64 v67, v67, v68, s[22:23]
	v_mov_b32_e32 v68, v42
	ds_write2_b32 v3, v66, v67 offset1:1
	ds_write2_b32 v3, v69, v70 offset0:2 offset1:3
	s_waitcnt lgkmcnt(0)
	s_barrier
	s_and_saveexec_b64 s[26:27], vcc
	s_cbranch_execz .LBB17_6
; %bb.3:                                ;   in Loop: Header=BB17_2 Depth=1
	s_mov_b64 s[28:29], 0
	v_mov_b32_e32 v68, v42
	v_mov_b32_e32 v66, v37
.LBB17_4:                               ;   Parent Loop BB17_2 Depth=1
                                        ; =>  This Inner Loop Header: Depth=2
	v_sub_u32_e32 v67, v66, v68
	v_lshrrev_b32_e32 v69, 31, v67
	v_add_u32_e32 v67, v67, v69
	v_ashrrev_i32_e32 v67, 1, v67
	v_add_u32_e32 v67, v67, v68
	v_xad_u32 v70, v67, -1, v5
	v_lshl_add_u32 v69, v67, 2, v18
	v_lshl_add_u32 v70, v70, 2, v31
	ds_read_b32 v69, v69
	ds_read_b32 v70, v70
	v_add_u32_e32 v71, 1, v67
	s_waitcnt lgkmcnt(0)
	v_cmp_lt_i32_e64 s[24:25], v70, v69
	s_nop 1
	v_cndmask_b32_e64 v66, v66, v67, s[24:25]
	v_cndmask_b32_e64 v68, v71, v68, s[24:25]
	v_cmp_ge_i32_e64 s[24:25], v68, v66
	s_or_b64 s[28:29], s[24:25], s[28:29]
	s_andn2_b64 exec, exec, s[28:29]
	s_cbranch_execnz .LBB17_4
; %bb.5:                                ;   in Loop: Header=BB17_2 Depth=1
	s_or_b64 exec, exec, s[28:29]
.LBB17_6:                               ;   in Loop: Header=BB17_2 Depth=1
	s_or_b64 exec, exec, s[26:27]
	v_sub_u32_e32 v66, v32, v68
	v_lshl_add_u32 v73, v68, 2, v18
	v_lshlrev_b32_e32 v72, 2, v66
	ds_read_b32 v67, v73
	ds_read_b32 v69, v72
	v_add_u32_e32 v68, v68, v4
	v_cmp_le_i32_e64 s[26:27], v16, v68
	v_cmp_gt_i32_e64 s[24:25], v17, v66
                                        ; implicit-def: $vgpr70
                                        ; implicit-def: $vgpr71
	s_waitcnt lgkmcnt(0)
	v_cmp_lt_i32_e64 s[28:29], v69, v67
	s_or_b64 s[26:27], s[26:27], s[28:29]
	s_and_b64 s[24:25], s[24:25], s[26:27]
	s_xor_b64 s[26:27], s[24:25], -1
	s_and_saveexec_b64 s[28:29], s[26:27]
	s_xor_b64 s[26:27], exec, s[28:29]
	s_cbranch_execz .LBB17_8
; %bb.7:                                ;   in Loop: Header=BB17_2 Depth=1
	ds_read_b32 v71, v73 offset:4
	v_mov_b32_e32 v70, v69
                                        ; implicit-def: $vgpr72
.LBB17_8:                               ;   in Loop: Header=BB17_2 Depth=1
	s_andn2_saveexec_b64 s[26:27], s[26:27]
	s_cbranch_execz .LBB17_10
; %bb.9:                                ;   in Loop: Header=BB17_2 Depth=1
	ds_read_b32 v70, v72 offset:4
	s_waitcnt lgkmcnt(1)
	v_mov_b32_e32 v71, v67
.LBB17_10:                              ;   in Loop: Header=BB17_2 Depth=1
	s_or_b64 exec, exec, s[26:27]
	v_add_u32_e32 v73, 1, v68
	v_add_u32_e32 v72, 1, v66
	v_cndmask_b32_e64 v73, v73, v68, s[24:25]
	v_cndmask_b32_e64 v72, v66, v72, s[24:25]
	v_cmp_ge_i32_e64 s[28:29], v73, v16
	s_waitcnt lgkmcnt(0)
	v_cmp_lt_i32_e64 s[30:31], v70, v71
	v_cmp_lt_i32_e64 s[26:27], v72, v17
	s_or_b64 s[28:29], s[28:29], s[30:31]
	s_and_b64 s[26:27], s[26:27], s[28:29]
	s_xor_b64 s[28:29], s[26:27], -1
                                        ; implicit-def: $vgpr74
	s_and_saveexec_b64 s[30:31], s[28:29]
	s_xor_b64 s[28:29], exec, s[30:31]
	s_cbranch_execz .LBB17_12
; %bb.11:                               ;   in Loop: Header=BB17_2 Depth=1
	v_lshlrev_b32_e32 v74, 2, v73
	ds_read_b32 v74, v74 offset:4
.LBB17_12:                              ;   in Loop: Header=BB17_2 Depth=1
	s_or_saveexec_b64 s[28:29], s[28:29]
	v_mov_b32_e32 v75, v70
	s_xor_b64 exec, exec, s[28:29]
	s_cbranch_execz .LBB17_14
; %bb.13:                               ;   in Loop: Header=BB17_2 Depth=1
	s_waitcnt lgkmcnt(0)
	v_lshlrev_b32_e32 v74, 2, v72
	ds_read_b32 v75, v74 offset:4
	v_mov_b32_e32 v74, v71
.LBB17_14:                              ;   in Loop: Header=BB17_2 Depth=1
	s_or_b64 exec, exec, s[28:29]
	v_add_u32_e32 v78, 1, v73
	v_add_u32_e32 v76, 1, v72
	v_cndmask_b32_e64 v78, v78, v73, s[26:27]
	v_cndmask_b32_e64 v77, v72, v76, s[26:27]
	v_cmp_ge_i32_e64 s[30:31], v78, v16
	s_waitcnt lgkmcnt(0)
	v_cmp_lt_i32_e64 s[34:35], v75, v74
	v_cmp_lt_i32_e64 s[28:29], v77, v17
	s_or_b64 s[30:31], s[30:31], s[34:35]
	s_and_b64 s[28:29], s[28:29], s[30:31]
	s_xor_b64 s[30:31], s[28:29], -1
                                        ; implicit-def: $vgpr76
	s_and_saveexec_b64 s[34:35], s[30:31]
	s_xor_b64 s[30:31], exec, s[34:35]
	s_cbranch_execz .LBB17_16
; %bb.15:                               ;   in Loop: Header=BB17_2 Depth=1
	v_lshlrev_b32_e32 v76, 2, v78
	ds_read_b32 v76, v76 offset:4
.LBB17_16:                              ;   in Loop: Header=BB17_2 Depth=1
	s_or_saveexec_b64 s[30:31], s[30:31]
	v_mov_b32_e32 v79, v75
	s_xor_b64 exec, exec, s[30:31]
	s_cbranch_execz .LBB17_18
; %bb.17:                               ;   in Loop: Header=BB17_2 Depth=1
	s_waitcnt lgkmcnt(0)
	v_lshlrev_b32_e32 v76, 2, v77
	ds_read_b32 v79, v76 offset:4
	v_mov_b32_e32 v76, v74
.LBB17_18:                              ;   in Loop: Header=BB17_2 Depth=1
	s_or_b64 exec, exec, s[30:31]
	v_add_u32_e32 v80, 1, v78
	v_cndmask_b32_e64 v74, v74, v75, s[28:29]
	v_add_u32_e32 v75, 1, v77
	v_cndmask_b32_e64 v80, v80, v78, s[28:29]
	v_cndmask_b32_e64 v66, v68, v66, s[24:25]
	;; [unrolled: 1-line block ×9, first 2 shown]
	v_cmp_ge_i32_e64 s[14:15], v80, v16
	s_waitcnt lgkmcnt(0)
	v_cmp_lt_i32_e64 s[16:17], v79, v76
	v_cndmask_b32_e64 v63, v68, v62, s[18:19]
	v_cndmask_b32_e64 v62, v62, v68, s[18:19]
	;; [unrolled: 1-line block ×4, first 2 shown]
	v_cmp_lt_i32_e64 s[12:13], v75, v17
	s_or_b64 s[14:15], s[14:15], s[16:17]
	v_cndmask_b32_e64 v77, v78, v77, s[28:29]
	v_cndmask_b32_e64 v70, v71, v70, s[26:27]
	;; [unrolled: 1-line block ×5, first 2 shown]
	s_and_b64 s[12:13], s[12:13], s[14:15]
	v_cndmask_b32_e64 v64, v80, v75, s[12:13]
	s_barrier
	ds_write2_b32 v3, v63, v62 offset1:1
	ds_write2_b32 v3, v65, v68 offset0:2 offset1:3
	v_lshlrev_b32_e32 v62, 2, v66
	v_lshlrev_b32_e32 v63, 2, v71
	;; [unrolled: 1-line block ×3, first 2 shown]
	s_waitcnt lgkmcnt(0)
	s_barrier
	v_lshlrev_b32_e32 v66, 2, v64
	ds_read_b32 v62, v62
	ds_read_b32 v63, v63
	;; [unrolled: 1-line block ×4, first 2 shown]
	v_cndmask_b32_e64 v67, v67, v69, s[24:25]
	v_mov_b32_e32 v68, v43
	v_cndmask_b32_e64 v69, v76, v79, s[12:13]
	s_waitcnt lgkmcnt(0)
	s_barrier
	ds_write2_b32 v3, v67, v70 offset1:1
	ds_write2_b32 v3, v74, v69 offset0:2 offset1:3
	s_waitcnt lgkmcnt(0)
	s_barrier
	s_and_saveexec_b64 s[14:15], s[0:1]
	s_cbranch_execz .LBB17_22
; %bb.19:                               ;   in Loop: Header=BB17_2 Depth=1
	s_mov_b64 s[16:17], 0
	v_mov_b32_e32 v68, v43
	v_mov_b32_e32 v66, v38
.LBB17_20:                              ;   Parent Loop BB17_2 Depth=1
                                        ; =>  This Inner Loop Header: Depth=2
	v_sub_u32_e32 v67, v66, v68
	v_lshrrev_b32_e32 v69, 31, v67
	v_add_u32_e32 v67, v67, v69
	v_ashrrev_i32_e32 v67, 1, v67
	v_add_u32_e32 v67, v67, v68
	v_xad_u32 v70, v67, -1, v7
	v_lshl_add_u32 v69, v67, 2, v21
	v_lshl_add_u32 v70, v70, 2, v33
	ds_read_b32 v69, v69
	ds_read_b32 v70, v70
	v_add_u32_e32 v71, 1, v67
	s_waitcnt lgkmcnt(0)
	v_cmp_lt_i32_e64 s[12:13], v70, v69
	s_nop 1
	v_cndmask_b32_e64 v66, v66, v67, s[12:13]
	v_cndmask_b32_e64 v68, v71, v68, s[12:13]
	v_cmp_ge_i32_e64 s[12:13], v68, v66
	s_or_b64 s[16:17], s[12:13], s[16:17]
	s_andn2_b64 exec, exec, s[16:17]
	s_cbranch_execnz .LBB17_20
; %bb.21:                               ;   in Loop: Header=BB17_2 Depth=1
	s_or_b64 exec, exec, s[16:17]
.LBB17_22:                              ;   in Loop: Header=BB17_2 Depth=1
	s_or_b64 exec, exec, s[14:15]
	v_sub_u32_e32 v66, v34, v68
	v_lshl_add_u32 v73, v68, 2, v21
	v_lshlrev_b32_e32 v72, 2, v66
	ds_read_b32 v67, v73
	ds_read_b32 v69, v72
	v_add_u32_e32 v68, v68, v6
	v_cmp_le_i32_e64 s[14:15], v19, v68
	v_cmp_gt_i32_e64 s[12:13], v20, v66
                                        ; implicit-def: $vgpr70
                                        ; implicit-def: $vgpr71
	s_waitcnt lgkmcnt(0)
	v_cmp_lt_i32_e64 s[16:17], v69, v67
	s_or_b64 s[14:15], s[14:15], s[16:17]
	s_and_b64 s[12:13], s[12:13], s[14:15]
	s_xor_b64 s[14:15], s[12:13], -1
	s_and_saveexec_b64 s[16:17], s[14:15]
	s_xor_b64 s[14:15], exec, s[16:17]
	s_cbranch_execz .LBB17_24
; %bb.23:                               ;   in Loop: Header=BB17_2 Depth=1
	ds_read_b32 v71, v73 offset:4
	v_mov_b32_e32 v70, v69
                                        ; implicit-def: $vgpr72
.LBB17_24:                              ;   in Loop: Header=BB17_2 Depth=1
	s_andn2_saveexec_b64 s[14:15], s[14:15]
	s_cbranch_execz .LBB17_26
; %bb.25:                               ;   in Loop: Header=BB17_2 Depth=1
	ds_read_b32 v70, v72 offset:4
	s_waitcnt lgkmcnt(1)
	v_mov_b32_e32 v71, v67
.LBB17_26:                              ;   in Loop: Header=BB17_2 Depth=1
	s_or_b64 exec, exec, s[14:15]
	v_add_u32_e32 v73, 1, v68
	v_add_u32_e32 v72, 1, v66
	v_cndmask_b32_e64 v73, v73, v68, s[12:13]
	v_cndmask_b32_e64 v72, v66, v72, s[12:13]
	v_cmp_ge_i32_e64 s[16:17], v73, v19
	s_waitcnt lgkmcnt(0)
	v_cmp_lt_i32_e64 s[18:19], v70, v71
	v_cmp_lt_i32_e64 s[14:15], v72, v20
	s_or_b64 s[16:17], s[16:17], s[18:19]
	s_and_b64 s[14:15], s[14:15], s[16:17]
	s_xor_b64 s[16:17], s[14:15], -1
                                        ; implicit-def: $vgpr74
	s_and_saveexec_b64 s[18:19], s[16:17]
	s_xor_b64 s[16:17], exec, s[18:19]
	s_cbranch_execz .LBB17_28
; %bb.27:                               ;   in Loop: Header=BB17_2 Depth=1
	v_lshlrev_b32_e32 v74, 2, v73
	ds_read_b32 v74, v74 offset:4
.LBB17_28:                              ;   in Loop: Header=BB17_2 Depth=1
	s_or_saveexec_b64 s[16:17], s[16:17]
	v_mov_b32_e32 v75, v70
	s_xor_b64 exec, exec, s[16:17]
	s_cbranch_execz .LBB17_30
; %bb.29:                               ;   in Loop: Header=BB17_2 Depth=1
	s_waitcnt lgkmcnt(0)
	v_lshlrev_b32_e32 v74, 2, v72
	ds_read_b32 v75, v74 offset:4
	v_mov_b32_e32 v74, v71
.LBB17_30:                              ;   in Loop: Header=BB17_2 Depth=1
	s_or_b64 exec, exec, s[16:17]
	v_add_u32_e32 v77, 1, v73
	v_add_u32_e32 v76, 1, v72
	v_cndmask_b32_e64 v77, v77, v73, s[14:15]
	v_cndmask_b32_e64 v76, v72, v76, s[14:15]
	v_cmp_ge_i32_e64 s[18:19], v77, v19
	s_waitcnt lgkmcnt(0)
	v_cmp_lt_i32_e64 s[20:21], v75, v74
	v_cmp_lt_i32_e64 s[16:17], v76, v20
	s_or_b64 s[18:19], s[18:19], s[20:21]
	s_and_b64 s[16:17], s[16:17], s[18:19]
	s_xor_b64 s[18:19], s[16:17], -1
                                        ; implicit-def: $vgpr78
	s_and_saveexec_b64 s[20:21], s[18:19]
	s_xor_b64 s[18:19], exec, s[20:21]
	s_cbranch_execz .LBB17_32
; %bb.31:                               ;   in Loop: Header=BB17_2 Depth=1
	v_lshlrev_b32_e32 v78, 2, v77
	ds_read_b32 v78, v78 offset:4
.LBB17_32:                              ;   in Loop: Header=BB17_2 Depth=1
	s_or_saveexec_b64 s[18:19], s[18:19]
	v_mov_b32_e32 v79, v75
	s_xor_b64 exec, exec, s[18:19]
	s_cbranch_execz .LBB17_34
; %bb.33:                               ;   in Loop: Header=BB17_2 Depth=1
	s_waitcnt lgkmcnt(0)
	v_lshlrev_b32_e32 v78, 2, v76
	ds_read_b32 v79, v78 offset:4
	v_mov_b32_e32 v78, v74
.LBB17_34:                              ;   in Loop: Header=BB17_2 Depth=1
	s_or_b64 exec, exec, s[18:19]
	v_add_u32_e32 v80, 1, v77
	v_cndmask_b32_e64 v74, v74, v75, s[16:17]
	v_add_u32_e32 v75, 1, v76
	v_cndmask_b32_e64 v80, v80, v77, s[16:17]
	v_cndmask_b32_e64 v75, v76, v75, s[16:17]
	;; [unrolled: 1-line block ×5, first 2 shown]
	v_cmp_ge_i32_e64 s[14:15], v80, v19
	s_waitcnt lgkmcnt(0)
	v_cmp_lt_i32_e64 s[16:17], v79, v78
	v_cndmask_b32_e64 v67, v67, v69, s[12:13]
	v_cndmask_b32_e64 v66, v68, v66, s[12:13]
	v_cmp_lt_i32_e64 s[12:13], v75, v20
	s_or_b64 s[14:15], s[14:15], s[16:17]
	s_and_b64 s[12:13], s[12:13], s[14:15]
	v_cndmask_b32_e64 v69, v80, v75, s[12:13]
	s_barrier
	ds_write2_b32 v3, v62, v63 offset1:1
	ds_write2_b32 v3, v64, v65 offset0:2 offset1:3
	v_lshlrev_b32_e32 v62, 2, v66
	v_lshlrev_b32_e32 v63, 2, v71
	;; [unrolled: 1-line block ×4, first 2 shown]
	s_waitcnt lgkmcnt(0)
	s_barrier
	ds_read_b32 v62, v62
	ds_read_b32 v63, v63
	;; [unrolled: 1-line block ×4, first 2 shown]
	v_cndmask_b32_e64 v68, v78, v79, s[12:13]
	s_waitcnt lgkmcnt(0)
	s_barrier
	ds_write2_b32 v3, v67, v70 offset1:1
	ds_write2_b32 v3, v74, v68 offset0:2 offset1:3
	v_mov_b32_e32 v68, v44
	s_waitcnt lgkmcnt(0)
	s_barrier
	s_and_saveexec_b64 s[14:15], s[2:3]
	s_cbranch_execz .LBB17_38
; %bb.35:                               ;   in Loop: Header=BB17_2 Depth=1
	s_mov_b64 s[16:17], 0
	v_mov_b32_e32 v68, v44
	v_mov_b32_e32 v66, v39
.LBB17_36:                              ;   Parent Loop BB17_2 Depth=1
                                        ; =>  This Inner Loop Header: Depth=2
	v_sub_u32_e32 v67, v66, v68
	v_lshrrev_b32_e32 v69, 31, v67
	v_add_u32_e32 v67, v67, v69
	v_ashrrev_i32_e32 v67, 1, v67
	v_add_u32_e32 v67, v67, v68
	v_xad_u32 v70, v67, -1, v9
	v_lshl_add_u32 v69, v67, 2, v24
	v_lshl_add_u32 v70, v70, 2, v35
	ds_read_b32 v69, v69
	ds_read_b32 v70, v70
	v_add_u32_e32 v71, 1, v67
	s_waitcnt lgkmcnt(0)
	v_cmp_lt_i32_e64 s[12:13], v70, v69
	s_nop 1
	v_cndmask_b32_e64 v66, v66, v67, s[12:13]
	v_cndmask_b32_e64 v68, v71, v68, s[12:13]
	v_cmp_ge_i32_e64 s[12:13], v68, v66
	s_or_b64 s[16:17], s[12:13], s[16:17]
	s_andn2_b64 exec, exec, s[16:17]
	s_cbranch_execnz .LBB17_36
; %bb.37:                               ;   in Loop: Header=BB17_2 Depth=1
	s_or_b64 exec, exec, s[16:17]
.LBB17_38:                              ;   in Loop: Header=BB17_2 Depth=1
	s_or_b64 exec, exec, s[14:15]
	v_sub_u32_e32 v66, v36, v68
	v_lshl_add_u32 v73, v68, 2, v24
	v_lshlrev_b32_e32 v72, 2, v66
	ds_read_b32 v67, v73
	ds_read_b32 v69, v72
	v_add_u32_e32 v68, v68, v8
	v_cmp_le_i32_e64 s[14:15], v22, v68
	v_cmp_gt_i32_e64 s[12:13], v23, v66
                                        ; implicit-def: $vgpr70
                                        ; implicit-def: $vgpr71
	s_waitcnt lgkmcnt(0)
	v_cmp_lt_i32_e64 s[16:17], v69, v67
	s_or_b64 s[14:15], s[14:15], s[16:17]
	s_and_b64 s[12:13], s[12:13], s[14:15]
	s_xor_b64 s[14:15], s[12:13], -1
	s_and_saveexec_b64 s[16:17], s[14:15]
	s_xor_b64 s[14:15], exec, s[16:17]
	s_cbranch_execz .LBB17_40
; %bb.39:                               ;   in Loop: Header=BB17_2 Depth=1
	ds_read_b32 v71, v73 offset:4
	v_mov_b32_e32 v70, v69
                                        ; implicit-def: $vgpr72
.LBB17_40:                              ;   in Loop: Header=BB17_2 Depth=1
	s_andn2_saveexec_b64 s[14:15], s[14:15]
	s_cbranch_execz .LBB17_42
; %bb.41:                               ;   in Loop: Header=BB17_2 Depth=1
	ds_read_b32 v70, v72 offset:4
	s_waitcnt lgkmcnt(1)
	v_mov_b32_e32 v71, v67
.LBB17_42:                              ;   in Loop: Header=BB17_2 Depth=1
	s_or_b64 exec, exec, s[14:15]
	v_add_u32_e32 v73, 1, v68
	v_add_u32_e32 v72, 1, v66
	v_cndmask_b32_e64 v73, v73, v68, s[12:13]
	v_cndmask_b32_e64 v72, v66, v72, s[12:13]
	v_cmp_ge_i32_e64 s[16:17], v73, v22
	s_waitcnt lgkmcnt(0)
	v_cmp_lt_i32_e64 s[18:19], v70, v71
	v_cmp_lt_i32_e64 s[14:15], v72, v23
	s_or_b64 s[16:17], s[16:17], s[18:19]
	s_and_b64 s[14:15], s[14:15], s[16:17]
	s_xor_b64 s[16:17], s[14:15], -1
                                        ; implicit-def: $vgpr74
	s_and_saveexec_b64 s[18:19], s[16:17]
	s_xor_b64 s[16:17], exec, s[18:19]
	s_cbranch_execz .LBB17_44
; %bb.43:                               ;   in Loop: Header=BB17_2 Depth=1
	v_lshlrev_b32_e32 v74, 2, v73
	ds_read_b32 v74, v74 offset:4
.LBB17_44:                              ;   in Loop: Header=BB17_2 Depth=1
	s_or_saveexec_b64 s[16:17], s[16:17]
	v_mov_b32_e32 v75, v70
	s_xor_b64 exec, exec, s[16:17]
	s_cbranch_execz .LBB17_46
; %bb.45:                               ;   in Loop: Header=BB17_2 Depth=1
	s_waitcnt lgkmcnt(0)
	v_lshlrev_b32_e32 v74, 2, v72
	ds_read_b32 v75, v74 offset:4
	v_mov_b32_e32 v74, v71
.LBB17_46:                              ;   in Loop: Header=BB17_2 Depth=1
	s_or_b64 exec, exec, s[16:17]
	v_add_u32_e32 v77, 1, v73
	v_add_u32_e32 v76, 1, v72
	v_cndmask_b32_e64 v77, v77, v73, s[14:15]
	v_cndmask_b32_e64 v76, v72, v76, s[14:15]
	v_cmp_ge_i32_e64 s[18:19], v77, v22
	s_waitcnt lgkmcnt(0)
	v_cmp_lt_i32_e64 s[20:21], v75, v74
	v_cmp_lt_i32_e64 s[16:17], v76, v23
	s_or_b64 s[18:19], s[18:19], s[20:21]
	s_and_b64 s[16:17], s[16:17], s[18:19]
	s_xor_b64 s[18:19], s[16:17], -1
                                        ; implicit-def: $vgpr78
	s_and_saveexec_b64 s[20:21], s[18:19]
	s_xor_b64 s[18:19], exec, s[20:21]
	s_cbranch_execz .LBB17_48
; %bb.47:                               ;   in Loop: Header=BB17_2 Depth=1
	v_lshlrev_b32_e32 v78, 2, v77
	ds_read_b32 v78, v78 offset:4
.LBB17_48:                              ;   in Loop: Header=BB17_2 Depth=1
	s_or_saveexec_b64 s[18:19], s[18:19]
	v_mov_b32_e32 v79, v75
	s_xor_b64 exec, exec, s[18:19]
	s_cbranch_execz .LBB17_50
; %bb.49:                               ;   in Loop: Header=BB17_2 Depth=1
	s_waitcnt lgkmcnt(0)
	v_lshlrev_b32_e32 v78, 2, v76
	ds_read_b32 v79, v78 offset:4
	v_mov_b32_e32 v78, v74
.LBB17_50:                              ;   in Loop: Header=BB17_2 Depth=1
	s_or_b64 exec, exec, s[18:19]
	v_add_u32_e32 v80, 1, v77
	v_cndmask_b32_e64 v74, v74, v75, s[16:17]
	v_add_u32_e32 v75, 1, v76
	v_cndmask_b32_e64 v80, v80, v77, s[16:17]
	v_cndmask_b32_e64 v75, v76, v75, s[16:17]
	;; [unrolled: 1-line block ×5, first 2 shown]
	v_cmp_ge_i32_e64 s[14:15], v80, v22
	s_waitcnt lgkmcnt(0)
	v_cmp_lt_i32_e64 s[16:17], v79, v78
	v_cndmask_b32_e64 v67, v67, v69, s[12:13]
	v_cndmask_b32_e64 v66, v68, v66, s[12:13]
	v_cmp_lt_i32_e64 s[12:13], v75, v23
	s_or_b64 s[14:15], s[14:15], s[16:17]
	s_and_b64 s[12:13], s[12:13], s[14:15]
	v_cndmask_b32_e64 v69, v80, v75, s[12:13]
	s_barrier
	ds_write2_b32 v3, v62, v63 offset1:1
	ds_write2_b32 v3, v64, v65 offset0:2 offset1:3
	v_lshlrev_b32_e32 v62, 2, v66
	v_lshlrev_b32_e32 v63, 2, v71
	;; [unrolled: 1-line block ×4, first 2 shown]
	s_waitcnt lgkmcnt(0)
	s_barrier
	ds_read_b32 v62, v62
	ds_read_b32 v63, v63
	;; [unrolled: 1-line block ×4, first 2 shown]
	v_cndmask_b32_e64 v68, v78, v79, s[12:13]
	s_waitcnt lgkmcnt(0)
	s_barrier
	ds_write2_b32 v3, v67, v70 offset1:1
	ds_write2_b32 v3, v74, v68 offset0:2 offset1:3
	v_mov_b32_e32 v68, v45
	s_waitcnt lgkmcnt(0)
	s_barrier
	s_and_saveexec_b64 s[14:15], s[4:5]
	s_cbranch_execz .LBB17_54
; %bb.51:                               ;   in Loop: Header=BB17_2 Depth=1
	s_mov_b64 s[16:17], 0
	v_mov_b32_e32 v68, v45
	v_mov_b32_e32 v66, v40
.LBB17_52:                              ;   Parent Loop BB17_2 Depth=1
                                        ; =>  This Inner Loop Header: Depth=2
	v_sub_u32_e32 v67, v66, v68
	v_lshrrev_b32_e32 v69, 31, v67
	v_add_u32_e32 v67, v67, v69
	v_ashrrev_i32_e32 v67, 1, v67
	v_add_u32_e32 v67, v67, v68
	v_xad_u32 v70, v67, -1, v11
	v_lshl_add_u32 v69, v67, 2, v51
	v_lshl_add_u32 v70, v70, 2, v52
	ds_read_b32 v69, v69
	ds_read_b32 v70, v70
	v_add_u32_e32 v71, 1, v67
	s_waitcnt lgkmcnt(0)
	v_cmp_lt_i32_e64 s[12:13], v70, v69
	s_nop 1
	v_cndmask_b32_e64 v66, v66, v67, s[12:13]
	v_cndmask_b32_e64 v68, v71, v68, s[12:13]
	v_cmp_ge_i32_e64 s[12:13], v68, v66
	s_or_b64 s[16:17], s[12:13], s[16:17]
	s_andn2_b64 exec, exec, s[16:17]
	s_cbranch_execnz .LBB17_52
; %bb.53:                               ;   in Loop: Header=BB17_2 Depth=1
	s_or_b64 exec, exec, s[16:17]
.LBB17_54:                              ;   in Loop: Header=BB17_2 Depth=1
	s_or_b64 exec, exec, s[14:15]
	v_sub_u32_e32 v66, v53, v68
	v_lshl_add_u32 v73, v68, 2, v51
	v_lshlrev_b32_e32 v72, 2, v66
	ds_read_b32 v67, v73
	ds_read_b32 v69, v72
	v_add_u32_e32 v68, v68, v10
	v_cmp_le_i32_e64 s[14:15], v25, v68
	v_cmp_gt_i32_e64 s[12:13], v26, v66
                                        ; implicit-def: $vgpr70
                                        ; implicit-def: $vgpr71
	s_waitcnt lgkmcnt(0)
	v_cmp_lt_i32_e64 s[16:17], v69, v67
	s_or_b64 s[14:15], s[14:15], s[16:17]
	s_and_b64 s[12:13], s[12:13], s[14:15]
	s_xor_b64 s[14:15], s[12:13], -1
	s_and_saveexec_b64 s[16:17], s[14:15]
	s_xor_b64 s[14:15], exec, s[16:17]
	s_cbranch_execz .LBB17_56
; %bb.55:                               ;   in Loop: Header=BB17_2 Depth=1
	ds_read_b32 v71, v73 offset:4
	v_mov_b32_e32 v70, v69
                                        ; implicit-def: $vgpr72
.LBB17_56:                              ;   in Loop: Header=BB17_2 Depth=1
	s_andn2_saveexec_b64 s[14:15], s[14:15]
	s_cbranch_execz .LBB17_58
; %bb.57:                               ;   in Loop: Header=BB17_2 Depth=1
	ds_read_b32 v70, v72 offset:4
	s_waitcnt lgkmcnt(1)
	v_mov_b32_e32 v71, v67
.LBB17_58:                              ;   in Loop: Header=BB17_2 Depth=1
	s_or_b64 exec, exec, s[14:15]
	v_add_u32_e32 v73, 1, v68
	v_add_u32_e32 v72, 1, v66
	v_cndmask_b32_e64 v73, v73, v68, s[12:13]
	v_cndmask_b32_e64 v72, v66, v72, s[12:13]
	v_cmp_ge_i32_e64 s[16:17], v73, v25
	s_waitcnt lgkmcnt(0)
	v_cmp_lt_i32_e64 s[18:19], v70, v71
	v_cmp_lt_i32_e64 s[14:15], v72, v26
	s_or_b64 s[16:17], s[16:17], s[18:19]
	s_and_b64 s[14:15], s[14:15], s[16:17]
	s_xor_b64 s[16:17], s[14:15], -1
                                        ; implicit-def: $vgpr74
	s_and_saveexec_b64 s[18:19], s[16:17]
	s_xor_b64 s[16:17], exec, s[18:19]
	s_cbranch_execz .LBB17_60
; %bb.59:                               ;   in Loop: Header=BB17_2 Depth=1
	v_lshlrev_b32_e32 v74, 2, v73
	ds_read_b32 v74, v74 offset:4
.LBB17_60:                              ;   in Loop: Header=BB17_2 Depth=1
	s_or_saveexec_b64 s[16:17], s[16:17]
	v_mov_b32_e32 v75, v70
	s_xor_b64 exec, exec, s[16:17]
	s_cbranch_execz .LBB17_62
; %bb.61:                               ;   in Loop: Header=BB17_2 Depth=1
	s_waitcnt lgkmcnt(0)
	v_lshlrev_b32_e32 v74, 2, v72
	ds_read_b32 v75, v74 offset:4
	v_mov_b32_e32 v74, v71
.LBB17_62:                              ;   in Loop: Header=BB17_2 Depth=1
	s_or_b64 exec, exec, s[16:17]
	v_add_u32_e32 v77, 1, v73
	v_add_u32_e32 v76, 1, v72
	v_cndmask_b32_e64 v77, v77, v73, s[14:15]
	v_cndmask_b32_e64 v76, v72, v76, s[14:15]
	v_cmp_ge_i32_e64 s[18:19], v77, v25
	s_waitcnt lgkmcnt(0)
	v_cmp_lt_i32_e64 s[20:21], v75, v74
	v_cmp_lt_i32_e64 s[16:17], v76, v26
	s_or_b64 s[18:19], s[18:19], s[20:21]
	s_and_b64 s[16:17], s[16:17], s[18:19]
	s_xor_b64 s[18:19], s[16:17], -1
                                        ; implicit-def: $vgpr78
	s_and_saveexec_b64 s[20:21], s[18:19]
	s_xor_b64 s[18:19], exec, s[20:21]
	s_cbranch_execz .LBB17_64
; %bb.63:                               ;   in Loop: Header=BB17_2 Depth=1
	v_lshlrev_b32_e32 v78, 2, v77
	ds_read_b32 v78, v78 offset:4
.LBB17_64:                              ;   in Loop: Header=BB17_2 Depth=1
	s_or_saveexec_b64 s[18:19], s[18:19]
	v_mov_b32_e32 v79, v75
	s_xor_b64 exec, exec, s[18:19]
	s_cbranch_execz .LBB17_66
; %bb.65:                               ;   in Loop: Header=BB17_2 Depth=1
	s_waitcnt lgkmcnt(0)
	v_lshlrev_b32_e32 v78, 2, v76
	ds_read_b32 v79, v78 offset:4
	v_mov_b32_e32 v78, v74
.LBB17_66:                              ;   in Loop: Header=BB17_2 Depth=1
	s_or_b64 exec, exec, s[18:19]
	v_add_u32_e32 v80, 1, v77
	v_cndmask_b32_e64 v74, v74, v75, s[16:17]
	v_add_u32_e32 v75, 1, v76
	v_cndmask_b32_e64 v80, v80, v77, s[16:17]
	v_cndmask_b32_e64 v75, v76, v75, s[16:17]
	;; [unrolled: 1-line block ×5, first 2 shown]
	v_cmp_ge_i32_e64 s[14:15], v80, v25
	s_waitcnt lgkmcnt(0)
	v_cmp_lt_i32_e64 s[16:17], v79, v78
	v_cndmask_b32_e64 v67, v67, v69, s[12:13]
	v_cndmask_b32_e64 v66, v68, v66, s[12:13]
	v_cmp_lt_i32_e64 s[12:13], v75, v26
	s_or_b64 s[14:15], s[14:15], s[16:17]
	s_and_b64 s[12:13], s[12:13], s[14:15]
	v_cndmask_b32_e64 v69, v80, v75, s[12:13]
	s_barrier
	ds_write2_b32 v3, v62, v63 offset1:1
	ds_write2_b32 v3, v64, v65 offset0:2 offset1:3
	v_lshlrev_b32_e32 v62, 2, v66
	v_lshlrev_b32_e32 v63, 2, v71
	;; [unrolled: 1-line block ×4, first 2 shown]
	s_waitcnt lgkmcnt(0)
	s_barrier
	ds_read_b32 v62, v62
	ds_read_b32 v63, v63
	;; [unrolled: 1-line block ×4, first 2 shown]
	v_cndmask_b32_e64 v68, v78, v79, s[12:13]
	s_waitcnt lgkmcnt(0)
	s_barrier
	ds_write2_b32 v3, v67, v70 offset1:1
	ds_write2_b32 v3, v74, v68 offset0:2 offset1:3
	v_mov_b32_e32 v68, v46
	s_waitcnt lgkmcnt(0)
	s_barrier
	s_and_saveexec_b64 s[14:15], s[6:7]
	s_cbranch_execz .LBB17_70
; %bb.67:                               ;   in Loop: Header=BB17_2 Depth=1
	s_mov_b64 s[16:17], 0
	v_mov_b32_e32 v68, v46
	v_mov_b32_e32 v66, v41
.LBB17_68:                              ;   Parent Loop BB17_2 Depth=1
                                        ; =>  This Inner Loop Header: Depth=2
	v_sub_u32_e32 v67, v66, v68
	v_lshrrev_b32_e32 v69, 31, v67
	v_add_u32_e32 v67, v67, v69
	v_ashrrev_i32_e32 v67, 1, v67
	v_add_u32_e32 v67, v67, v68
	v_xad_u32 v70, v67, -1, v13
	v_lshl_add_u32 v69, v67, 2, v54
	v_lshl_add_u32 v70, v70, 2, v55
	ds_read_b32 v69, v69
	ds_read_b32 v70, v70
	v_add_u32_e32 v71, 1, v67
	s_waitcnt lgkmcnt(0)
	v_cmp_lt_i32_e64 s[12:13], v70, v69
	s_nop 1
	v_cndmask_b32_e64 v66, v66, v67, s[12:13]
	v_cndmask_b32_e64 v68, v71, v68, s[12:13]
	v_cmp_ge_i32_e64 s[12:13], v68, v66
	s_or_b64 s[16:17], s[12:13], s[16:17]
	s_andn2_b64 exec, exec, s[16:17]
	s_cbranch_execnz .LBB17_68
; %bb.69:                               ;   in Loop: Header=BB17_2 Depth=1
	s_or_b64 exec, exec, s[16:17]
.LBB17_70:                              ;   in Loop: Header=BB17_2 Depth=1
	s_or_b64 exec, exec, s[14:15]
	v_sub_u32_e32 v66, v56, v68
	v_lshl_add_u32 v73, v68, 2, v54
	v_lshlrev_b32_e32 v72, 2, v66
	ds_read_b32 v67, v73
	ds_read_b32 v69, v72
	v_add_u32_e32 v68, v68, v12
	v_cmp_le_i32_e64 s[14:15], v27, v68
	v_cmp_gt_i32_e64 s[12:13], v28, v66
                                        ; implicit-def: $vgpr70
                                        ; implicit-def: $vgpr71
	s_waitcnt lgkmcnt(0)
	v_cmp_lt_i32_e64 s[16:17], v69, v67
	s_or_b64 s[14:15], s[14:15], s[16:17]
	s_and_b64 s[12:13], s[12:13], s[14:15]
	s_xor_b64 s[14:15], s[12:13], -1
	s_and_saveexec_b64 s[16:17], s[14:15]
	s_xor_b64 s[14:15], exec, s[16:17]
	s_cbranch_execz .LBB17_72
; %bb.71:                               ;   in Loop: Header=BB17_2 Depth=1
	ds_read_b32 v71, v73 offset:4
	v_mov_b32_e32 v70, v69
                                        ; implicit-def: $vgpr72
.LBB17_72:                              ;   in Loop: Header=BB17_2 Depth=1
	s_andn2_saveexec_b64 s[14:15], s[14:15]
	s_cbranch_execz .LBB17_74
; %bb.73:                               ;   in Loop: Header=BB17_2 Depth=1
	ds_read_b32 v70, v72 offset:4
	s_waitcnt lgkmcnt(1)
	v_mov_b32_e32 v71, v67
.LBB17_74:                              ;   in Loop: Header=BB17_2 Depth=1
	s_or_b64 exec, exec, s[14:15]
	v_add_u32_e32 v73, 1, v68
	v_add_u32_e32 v72, 1, v66
	v_cndmask_b32_e64 v73, v73, v68, s[12:13]
	v_cndmask_b32_e64 v72, v66, v72, s[12:13]
	v_cmp_ge_i32_e64 s[16:17], v73, v27
	s_waitcnt lgkmcnt(0)
	v_cmp_lt_i32_e64 s[18:19], v70, v71
	v_cmp_lt_i32_e64 s[14:15], v72, v28
	s_or_b64 s[16:17], s[16:17], s[18:19]
	s_and_b64 s[14:15], s[14:15], s[16:17]
	s_xor_b64 s[16:17], s[14:15], -1
                                        ; implicit-def: $vgpr74
	s_and_saveexec_b64 s[18:19], s[16:17]
	s_xor_b64 s[16:17], exec, s[18:19]
	s_cbranch_execz .LBB17_76
; %bb.75:                               ;   in Loop: Header=BB17_2 Depth=1
	v_lshlrev_b32_e32 v74, 2, v73
	ds_read_b32 v74, v74 offset:4
.LBB17_76:                              ;   in Loop: Header=BB17_2 Depth=1
	s_or_saveexec_b64 s[16:17], s[16:17]
	v_mov_b32_e32 v75, v70
	s_xor_b64 exec, exec, s[16:17]
	s_cbranch_execz .LBB17_78
; %bb.77:                               ;   in Loop: Header=BB17_2 Depth=1
	s_waitcnt lgkmcnt(0)
	v_lshlrev_b32_e32 v74, 2, v72
	ds_read_b32 v75, v74 offset:4
	v_mov_b32_e32 v74, v71
.LBB17_78:                              ;   in Loop: Header=BB17_2 Depth=1
	s_or_b64 exec, exec, s[16:17]
	v_add_u32_e32 v77, 1, v73
	v_add_u32_e32 v76, 1, v72
	v_cndmask_b32_e64 v77, v77, v73, s[14:15]
	v_cndmask_b32_e64 v76, v72, v76, s[14:15]
	v_cmp_ge_i32_e64 s[18:19], v77, v27
	s_waitcnt lgkmcnt(0)
	v_cmp_lt_i32_e64 s[20:21], v75, v74
	v_cmp_lt_i32_e64 s[16:17], v76, v28
	s_or_b64 s[18:19], s[18:19], s[20:21]
	s_and_b64 s[16:17], s[16:17], s[18:19]
	s_xor_b64 s[18:19], s[16:17], -1
                                        ; implicit-def: $vgpr78
	s_and_saveexec_b64 s[20:21], s[18:19]
	s_xor_b64 s[18:19], exec, s[20:21]
	s_cbranch_execz .LBB17_80
; %bb.79:                               ;   in Loop: Header=BB17_2 Depth=1
	v_lshlrev_b32_e32 v78, 2, v77
	ds_read_b32 v78, v78 offset:4
.LBB17_80:                              ;   in Loop: Header=BB17_2 Depth=1
	s_or_saveexec_b64 s[18:19], s[18:19]
	v_mov_b32_e32 v79, v75
	s_xor_b64 exec, exec, s[18:19]
	s_cbranch_execz .LBB17_82
; %bb.81:                               ;   in Loop: Header=BB17_2 Depth=1
	s_waitcnt lgkmcnt(0)
	v_lshlrev_b32_e32 v78, 2, v76
	ds_read_b32 v79, v78 offset:4
	v_mov_b32_e32 v78, v74
.LBB17_82:                              ;   in Loop: Header=BB17_2 Depth=1
	s_or_b64 exec, exec, s[18:19]
	v_add_u32_e32 v80, 1, v77
	v_cndmask_b32_e64 v74, v74, v75, s[16:17]
	v_add_u32_e32 v75, 1, v76
	v_cndmask_b32_e64 v80, v80, v77, s[16:17]
	v_cndmask_b32_e64 v75, v76, v75, s[16:17]
	;; [unrolled: 1-line block ×5, first 2 shown]
	v_cmp_ge_i32_e64 s[14:15], v80, v27
	s_waitcnt lgkmcnt(0)
	v_cmp_lt_i32_e64 s[16:17], v79, v78
	v_cndmask_b32_e64 v67, v67, v69, s[12:13]
	v_cndmask_b32_e64 v66, v68, v66, s[12:13]
	v_cmp_lt_i32_e64 s[12:13], v75, v28
	s_or_b64 s[14:15], s[14:15], s[16:17]
	s_and_b64 s[12:13], s[12:13], s[14:15]
	v_cndmask_b32_e64 v69, v80, v75, s[12:13]
	s_barrier
	ds_write2_b32 v3, v62, v63 offset1:1
	ds_write2_b32 v3, v64, v65 offset0:2 offset1:3
	v_lshlrev_b32_e32 v62, 2, v66
	v_lshlrev_b32_e32 v63, 2, v71
	;; [unrolled: 1-line block ×4, first 2 shown]
	s_waitcnt lgkmcnt(0)
	s_barrier
	ds_read_b32 v62, v62
	ds_read_b32 v63, v63
	;; [unrolled: 1-line block ×4, first 2 shown]
	v_cndmask_b32_e64 v68, v78, v79, s[12:13]
	s_waitcnt lgkmcnt(0)
	s_barrier
	ds_write2_b32 v3, v67, v70 offset1:1
	ds_write2_b32 v3, v74, v68 offset0:2 offset1:3
	v_mov_b32_e32 v68, v47
	s_waitcnt lgkmcnt(0)
	s_barrier
	s_and_saveexec_b64 s[14:15], s[8:9]
	s_cbranch_execz .LBB17_86
; %bb.83:                               ;   in Loop: Header=BB17_2 Depth=1
	s_mov_b64 s[16:17], 0
	v_mov_b32_e32 v68, v47
	v_mov_b32_e32 v66, v48
.LBB17_84:                              ;   Parent Loop BB17_2 Depth=1
                                        ; =>  This Inner Loop Header: Depth=2
	v_sub_u32_e32 v67, v66, v68
	v_lshrrev_b32_e32 v69, 31, v67
	v_add_u32_e32 v67, v67, v69
	v_ashrrev_i32_e32 v67, 1, v67
	v_add_u32_e32 v67, v67, v68
	v_xad_u32 v70, v67, -1, v15
	v_lshl_add_u32 v69, v67, 2, v57
	v_lshl_add_u32 v70, v70, 2, v58
	ds_read_b32 v69, v69
	ds_read_b32 v70, v70
	v_add_u32_e32 v71, 1, v67
	s_waitcnt lgkmcnt(0)
	v_cmp_lt_i32_e64 s[12:13], v70, v69
	s_nop 1
	v_cndmask_b32_e64 v66, v66, v67, s[12:13]
	v_cndmask_b32_e64 v68, v71, v68, s[12:13]
	v_cmp_ge_i32_e64 s[12:13], v68, v66
	s_or_b64 s[16:17], s[12:13], s[16:17]
	s_andn2_b64 exec, exec, s[16:17]
	s_cbranch_execnz .LBB17_84
; %bb.85:                               ;   in Loop: Header=BB17_2 Depth=1
	s_or_b64 exec, exec, s[16:17]
.LBB17_86:                              ;   in Loop: Header=BB17_2 Depth=1
	s_or_b64 exec, exec, s[14:15]
	v_sub_u32_e32 v66, v59, v68
	v_lshl_add_u32 v73, v68, 2, v57
	v_lshlrev_b32_e32 v72, 2, v66
	ds_read_b32 v67, v73
	ds_read_b32 v69, v72
	v_add_u32_e32 v68, v68, v14
	v_cmp_le_i32_e64 s[14:15], v29, v68
	v_cmp_gt_i32_e64 s[12:13], v30, v66
                                        ; implicit-def: $vgpr70
                                        ; implicit-def: $vgpr71
	s_waitcnt lgkmcnt(0)
	v_cmp_lt_i32_e64 s[16:17], v69, v67
	s_or_b64 s[14:15], s[14:15], s[16:17]
	s_and_b64 s[12:13], s[12:13], s[14:15]
	s_xor_b64 s[14:15], s[12:13], -1
	s_and_saveexec_b64 s[16:17], s[14:15]
	s_xor_b64 s[14:15], exec, s[16:17]
	s_cbranch_execz .LBB17_88
; %bb.87:                               ;   in Loop: Header=BB17_2 Depth=1
	ds_read_b32 v71, v73 offset:4
	v_mov_b32_e32 v70, v69
                                        ; implicit-def: $vgpr72
.LBB17_88:                              ;   in Loop: Header=BB17_2 Depth=1
	s_andn2_saveexec_b64 s[14:15], s[14:15]
	s_cbranch_execz .LBB17_90
; %bb.89:                               ;   in Loop: Header=BB17_2 Depth=1
	ds_read_b32 v70, v72 offset:4
	s_waitcnt lgkmcnt(1)
	v_mov_b32_e32 v71, v67
.LBB17_90:                              ;   in Loop: Header=BB17_2 Depth=1
	s_or_b64 exec, exec, s[14:15]
	v_add_u32_e32 v73, 1, v68
	v_add_u32_e32 v72, 1, v66
	v_cndmask_b32_e64 v73, v73, v68, s[12:13]
	v_cndmask_b32_e64 v72, v66, v72, s[12:13]
	v_cmp_ge_i32_e64 s[16:17], v73, v29
	s_waitcnt lgkmcnt(0)
	v_cmp_lt_i32_e64 s[18:19], v70, v71
	v_cmp_lt_i32_e64 s[14:15], v72, v30
	s_or_b64 s[16:17], s[16:17], s[18:19]
	s_and_b64 s[14:15], s[14:15], s[16:17]
	s_xor_b64 s[16:17], s[14:15], -1
                                        ; implicit-def: $vgpr74
	s_and_saveexec_b64 s[18:19], s[16:17]
	s_xor_b64 s[16:17], exec, s[18:19]
	s_cbranch_execz .LBB17_92
; %bb.91:                               ;   in Loop: Header=BB17_2 Depth=1
	v_lshlrev_b32_e32 v74, 2, v73
	ds_read_b32 v74, v74 offset:4
.LBB17_92:                              ;   in Loop: Header=BB17_2 Depth=1
	s_or_saveexec_b64 s[16:17], s[16:17]
	v_mov_b32_e32 v75, v70
	s_xor_b64 exec, exec, s[16:17]
	s_cbranch_execz .LBB17_94
; %bb.93:                               ;   in Loop: Header=BB17_2 Depth=1
	s_waitcnt lgkmcnt(0)
	v_lshlrev_b32_e32 v74, 2, v72
	ds_read_b32 v75, v74 offset:4
	v_mov_b32_e32 v74, v71
.LBB17_94:                              ;   in Loop: Header=BB17_2 Depth=1
	s_or_b64 exec, exec, s[16:17]
	v_add_u32_e32 v77, 1, v73
	v_add_u32_e32 v76, 1, v72
	v_cndmask_b32_e64 v77, v77, v73, s[14:15]
	v_cndmask_b32_e64 v76, v72, v76, s[14:15]
	v_cmp_ge_i32_e64 s[18:19], v77, v29
	s_waitcnt lgkmcnt(0)
	v_cmp_lt_i32_e64 s[20:21], v75, v74
	v_cmp_lt_i32_e64 s[16:17], v76, v30
	s_or_b64 s[18:19], s[18:19], s[20:21]
	s_and_b64 s[16:17], s[16:17], s[18:19]
	s_xor_b64 s[18:19], s[16:17], -1
                                        ; implicit-def: $vgpr78
	s_and_saveexec_b64 s[20:21], s[18:19]
	s_xor_b64 s[18:19], exec, s[20:21]
	s_cbranch_execz .LBB17_96
; %bb.95:                               ;   in Loop: Header=BB17_2 Depth=1
	v_lshlrev_b32_e32 v78, 2, v77
	ds_read_b32 v78, v78 offset:4
.LBB17_96:                              ;   in Loop: Header=BB17_2 Depth=1
	s_or_saveexec_b64 s[18:19], s[18:19]
	v_mov_b32_e32 v79, v75
	s_xor_b64 exec, exec, s[18:19]
	s_cbranch_execz .LBB17_98
; %bb.97:                               ;   in Loop: Header=BB17_2 Depth=1
	s_waitcnt lgkmcnt(0)
	v_lshlrev_b32_e32 v78, 2, v76
	ds_read_b32 v79, v78 offset:4
	v_mov_b32_e32 v78, v74
.LBB17_98:                              ;   in Loop: Header=BB17_2 Depth=1
	s_or_b64 exec, exec, s[18:19]
	v_add_u32_e32 v80, 1, v77
	v_cndmask_b32_e64 v74, v74, v75, s[16:17]
	v_add_u32_e32 v75, 1, v76
	v_cndmask_b32_e64 v80, v80, v77, s[16:17]
	v_cndmask_b32_e64 v75, v76, v75, s[16:17]
	;; [unrolled: 1-line block ×5, first 2 shown]
	v_cmp_ge_i32_e64 s[14:15], v80, v29
	s_waitcnt lgkmcnt(0)
	v_cmp_lt_i32_e64 s[16:17], v79, v78
	v_cndmask_b32_e64 v67, v67, v69, s[12:13]
	v_cndmask_b32_e64 v66, v68, v66, s[12:13]
	v_cmp_lt_i32_e64 s[12:13], v75, v30
	s_or_b64 s[14:15], s[14:15], s[16:17]
	s_and_b64 s[12:13], s[12:13], s[14:15]
	v_cndmask_b32_e64 v69, v80, v75, s[12:13]
	s_barrier
	ds_write2_b32 v3, v62, v63 offset1:1
	ds_write2_b32 v3, v64, v65 offset0:2 offset1:3
	v_lshlrev_b32_e32 v62, 2, v66
	v_lshlrev_b32_e32 v63, 2, v71
	;; [unrolled: 1-line block ×4, first 2 shown]
	s_waitcnt lgkmcnt(0)
	s_barrier
	ds_read_b32 v62, v62
	ds_read_b32 v63, v63
	;; [unrolled: 1-line block ×4, first 2 shown]
	v_cndmask_b32_e64 v68, v78, v79, s[12:13]
	s_waitcnt lgkmcnt(0)
	s_barrier
	ds_write2_b32 v3, v67, v70 offset1:1
	ds_write2_b32 v3, v74, v68 offset0:2 offset1:3
	v_mov_b32_e32 v67, v49
	s_waitcnt lgkmcnt(0)
	s_barrier
	s_and_saveexec_b64 s[14:15], s[10:11]
	s_cbranch_execz .LBB17_102
; %bb.99:                               ;   in Loop: Header=BB17_2 Depth=1
	s_mov_b64 s[16:17], 0
	v_mov_b32_e32 v67, v49
	v_mov_b32_e32 v66, v50
.LBB17_100:                             ;   Parent Loop BB17_2 Depth=1
                                        ; =>  This Inner Loop Header: Depth=2
	v_sub_u32_e32 v68, v66, v67
	v_lshrrev_b32_e32 v69, 31, v68
	v_add_u32_e32 v68, v68, v69
	v_ashrrev_i32_e32 v68, 1, v68
	v_add_u32_e32 v68, v68, v67
	v_xad_u32 v70, v68, -1, v1
	v_lshlrev_b32_e32 v69, 2, v68
	v_lshl_add_u32 v70, v70, 2, v60
	ds_read_b32 v69, v69
	ds_read_b32 v70, v70
	v_add_u32_e32 v71, 1, v68
	s_waitcnt lgkmcnt(0)
	v_cmp_lt_i32_e64 s[12:13], v70, v69
	s_nop 1
	v_cndmask_b32_e64 v66, v66, v68, s[12:13]
	v_cndmask_b32_e64 v67, v71, v67, s[12:13]
	v_cmp_ge_i32_e64 s[12:13], v67, v66
	s_or_b64 s[16:17], s[12:13], s[16:17]
	s_andn2_b64 exec, exec, s[16:17]
	s_cbranch_execnz .LBB17_100
; %bb.101:                              ;   in Loop: Header=BB17_2 Depth=1
	s_or_b64 exec, exec, s[16:17]
.LBB17_102:                             ;   in Loop: Header=BB17_2 Depth=1
	s_or_b64 exec, exec, s[14:15]
	v_sub_u32_e32 v70, v61, v67
	v_lshlrev_b32_e32 v73, 2, v67
	v_lshlrev_b32_e32 v72, 2, v70
	ds_read_b32 v66, v73
	ds_read_b32 v71, v72
	v_cmp_le_i32_e64 s[14:15], v2, v67
	v_cmp_gt_i32_e64 s[12:13], s33, v70
                                        ; implicit-def: $vgpr68
                                        ; implicit-def: $vgpr69
	s_waitcnt lgkmcnt(0)
	v_cmp_lt_i32_e64 s[16:17], v71, v66
	s_or_b64 s[14:15], s[14:15], s[16:17]
	s_and_b64 s[12:13], s[12:13], s[14:15]
	s_xor_b64 s[14:15], s[12:13], -1
	s_and_saveexec_b64 s[16:17], s[14:15]
	s_xor_b64 s[14:15], exec, s[16:17]
	s_cbranch_execz .LBB17_104
; %bb.103:                              ;   in Loop: Header=BB17_2 Depth=1
	ds_read_b32 v69, v73 offset:4
	v_mov_b32_e32 v68, v71
                                        ; implicit-def: $vgpr72
.LBB17_104:                             ;   in Loop: Header=BB17_2 Depth=1
	s_andn2_saveexec_b64 s[14:15], s[14:15]
	s_cbranch_execz .LBB17_106
; %bb.105:                              ;   in Loop: Header=BB17_2 Depth=1
	ds_read_b32 v68, v72 offset:4
	s_waitcnt lgkmcnt(1)
	v_mov_b32_e32 v69, v66
.LBB17_106:                             ;   in Loop: Header=BB17_2 Depth=1
	s_or_b64 exec, exec, s[14:15]
	v_add_u32_e32 v73, 1, v67
	v_add_u32_e32 v72, 1, v70
	v_cndmask_b32_e64 v75, v73, v67, s[12:13]
	v_cndmask_b32_e64 v74, v70, v72, s[12:13]
	v_cmp_ge_i32_e64 s[16:17], v75, v2
	s_waitcnt lgkmcnt(0)
	v_cmp_lt_i32_e64 s[18:19], v68, v69
	v_cmp_gt_i32_e64 s[14:15], s33, v74
	s_or_b64 s[16:17], s[16:17], s[18:19]
	s_and_b64 s[14:15], s[14:15], s[16:17]
	s_xor_b64 s[16:17], s[14:15], -1
                                        ; implicit-def: $vgpr72
	s_and_saveexec_b64 s[18:19], s[16:17]
	s_xor_b64 s[16:17], exec, s[18:19]
	s_cbranch_execz .LBB17_108
; %bb.107:                              ;   in Loop: Header=BB17_2 Depth=1
	v_lshlrev_b32_e32 v72, 2, v75
	ds_read_b32 v72, v72 offset:4
.LBB17_108:                             ;   in Loop: Header=BB17_2 Depth=1
	s_or_saveexec_b64 s[16:17], s[16:17]
	v_mov_b32_e32 v73, v68
	s_xor_b64 exec, exec, s[16:17]
	s_cbranch_execz .LBB17_110
; %bb.109:                              ;   in Loop: Header=BB17_2 Depth=1
	s_waitcnt lgkmcnt(0)
	v_lshlrev_b32_e32 v72, 2, v74
	ds_read_b32 v73, v72 offset:4
	v_mov_b32_e32 v72, v69
.LBB17_110:                             ;   in Loop: Header=BB17_2 Depth=1
	s_or_b64 exec, exec, s[16:17]
	v_add_u32_e32 v77, 1, v75
	v_add_u32_e32 v76, 1, v74
	v_cndmask_b32_e64 v79, v77, v75, s[14:15]
	v_cndmask_b32_e64 v76, v74, v76, s[14:15]
	v_cmp_ge_i32_e64 s[18:19], v79, v2
	s_waitcnt lgkmcnt(0)
	v_cmp_lt_i32_e64 s[20:21], v73, v72
	v_cmp_gt_i32_e64 s[16:17], s33, v76
	s_or_b64 s[18:19], s[18:19], s[20:21]
	s_and_b64 s[16:17], s[16:17], s[18:19]
	s_xor_b64 s[18:19], s[16:17], -1
                                        ; implicit-def: $vgpr78
                                        ; implicit-def: $vgpr77
	s_and_saveexec_b64 s[20:21], s[18:19]
	s_xor_b64 s[18:19], exec, s[20:21]
	s_cbranch_execz .LBB17_112
; %bb.111:                              ;   in Loop: Header=BB17_2 Depth=1
	v_lshlrev_b32_e32 v77, 2, v79
	ds_read_b32 v78, v77 offset:4
	v_add_u32_e32 v77, 1, v79
.LBB17_112:                             ;   in Loop: Header=BB17_2 Depth=1
	s_or_saveexec_b64 s[18:19], s[18:19]
	v_mov_b32_e32 v80, v79
	v_mov_b32_e32 v81, v73
	s_xor_b64 exec, exec, s[18:19]
	s_cbranch_execz .LBB17_1
; %bb.113:                              ;   in Loop: Header=BB17_2 Depth=1
	v_lshlrev_b32_e32 v77, 2, v76
	ds_read_b32 v81, v77 offset:4
	s_waitcnt lgkmcnt(1)
	v_add_u32_e32 v78, 1, v76
	v_mov_b32_e32 v80, v76
	v_mov_b32_e32 v77, v79
	;; [unrolled: 1-line block ×4, first 2 shown]
	s_branch .LBB17_1
.LBB17_114:
	s_add_u32 s0, s38, s40
	s_waitcnt lgkmcnt(3)
	v_add_u32_e32 v1, v66, v62
	s_addc_u32 s1, s39, s41
	v_lshlrev_b32_e32 v0, 2, v0
	s_waitcnt lgkmcnt(2)
	v_add_u32_e32 v2, v69, v64
	s_waitcnt lgkmcnt(1)
	v_add_u32_e32 v3, v68, v63
	;; [unrolled: 2-line block ×3, first 2 shown]
	global_store_dword v0, v1, s[0:1]
	global_store_dword v0, v2, s[0:1] offset:512
	global_store_dword v0, v3, s[0:1] offset:1024
	global_store_dword v0, v4, s[0:1] offset:1536
	s_endpgm
	.section	.rodata,"a",@progbits
	.p2align	6, 0x0
	.amdhsa_kernel _Z17sort_pairs_kernelIiLj128ELj4EN10test_utils4lessELj10EEvPKT_PS2_T2_
		.amdhsa_group_segment_fixed_size 2052
		.amdhsa_private_segment_fixed_size 0
		.amdhsa_kernarg_size 20
		.amdhsa_user_sgpr_count 2
		.amdhsa_user_sgpr_dispatch_ptr 0
		.amdhsa_user_sgpr_queue_ptr 0
		.amdhsa_user_sgpr_kernarg_segment_ptr 1
		.amdhsa_user_sgpr_dispatch_id 0
		.amdhsa_user_sgpr_kernarg_preload_length 0
		.amdhsa_user_sgpr_kernarg_preload_offset 0
		.amdhsa_user_sgpr_private_segment_size 0
		.amdhsa_uses_dynamic_stack 0
		.amdhsa_enable_private_segment 0
		.amdhsa_system_sgpr_workgroup_id_x 1
		.amdhsa_system_sgpr_workgroup_id_y 0
		.amdhsa_system_sgpr_workgroup_id_z 0
		.amdhsa_system_sgpr_workgroup_info 0
		.amdhsa_system_vgpr_workitem_id 0
		.amdhsa_next_free_vgpr 82
		.amdhsa_next_free_sgpr 44
		.amdhsa_accum_offset 84
		.amdhsa_reserve_vcc 1
		.amdhsa_float_round_mode_32 0
		.amdhsa_float_round_mode_16_64 0
		.amdhsa_float_denorm_mode_32 3
		.amdhsa_float_denorm_mode_16_64 3
		.amdhsa_dx10_clamp 1
		.amdhsa_ieee_mode 1
		.amdhsa_fp16_overflow 0
		.amdhsa_tg_split 0
		.amdhsa_exception_fp_ieee_invalid_op 0
		.amdhsa_exception_fp_denorm_src 0
		.amdhsa_exception_fp_ieee_div_zero 0
		.amdhsa_exception_fp_ieee_overflow 0
		.amdhsa_exception_fp_ieee_underflow 0
		.amdhsa_exception_fp_ieee_inexact 0
		.amdhsa_exception_int_div_zero 0
	.end_amdhsa_kernel
	.section	.text._Z17sort_pairs_kernelIiLj128ELj4EN10test_utils4lessELj10EEvPKT_PS2_T2_,"axG",@progbits,_Z17sort_pairs_kernelIiLj128ELj4EN10test_utils4lessELj10EEvPKT_PS2_T2_,comdat
.Lfunc_end17:
	.size	_Z17sort_pairs_kernelIiLj128ELj4EN10test_utils4lessELj10EEvPKT_PS2_T2_, .Lfunc_end17-_Z17sort_pairs_kernelIiLj128ELj4EN10test_utils4lessELj10EEvPKT_PS2_T2_
                                        ; -- End function
	.section	.AMDGPU.csdata,"",@progbits
; Kernel info:
; codeLenInByte = 6256
; NumSgprs: 50
; NumVgprs: 82
; NumAgprs: 0
; TotalNumVgprs: 82
; ScratchSize: 0
; MemoryBound: 0
; FloatMode: 240
; IeeeMode: 1
; LDSByteSize: 2052 bytes/workgroup (compile time only)
; SGPRBlocks: 6
; VGPRBlocks: 10
; NumSGPRsForWavesPerEU: 50
; NumVGPRsForWavesPerEU: 82
; AccumOffset: 84
; Occupancy: 5
; WaveLimiterHint : 1
; COMPUTE_PGM_RSRC2:SCRATCH_EN: 0
; COMPUTE_PGM_RSRC2:USER_SGPR: 2
; COMPUTE_PGM_RSRC2:TRAP_HANDLER: 0
; COMPUTE_PGM_RSRC2:TGID_X_EN: 1
; COMPUTE_PGM_RSRC2:TGID_Y_EN: 0
; COMPUTE_PGM_RSRC2:TGID_Z_EN: 0
; COMPUTE_PGM_RSRC2:TIDIG_COMP_CNT: 0
; COMPUTE_PGM_RSRC3_GFX90A:ACCUM_OFFSET: 20
; COMPUTE_PGM_RSRC3_GFX90A:TG_SPLIT: 0
	.section	.text._Z16sort_keys_kernelIiLj128ELj8EN10test_utils4lessELj10EEvPKT_PS2_T2_,"axG",@progbits,_Z16sort_keys_kernelIiLj128ELj8EN10test_utils4lessELj10EEvPKT_PS2_T2_,comdat
	.protected	_Z16sort_keys_kernelIiLj128ELj8EN10test_utils4lessELj10EEvPKT_PS2_T2_ ; -- Begin function _Z16sort_keys_kernelIiLj128ELj8EN10test_utils4lessELj10EEvPKT_PS2_T2_
	.globl	_Z16sort_keys_kernelIiLj128ELj8EN10test_utils4lessELj10EEvPKT_PS2_T2_
	.p2align	8
	.type	_Z16sort_keys_kernelIiLj128ELj8EN10test_utils4lessELj10EEvPKT_PS2_T2_,@function
_Z16sort_keys_kernelIiLj128ELj8EN10test_utils4lessELj10EEvPKT_PS2_T2_: ; @_Z16sort_keys_kernelIiLj128ELj8EN10test_utils4lessELj10EEvPKT_PS2_T2_
; %bb.0:
	s_load_dwordx4 s[28:31], s[0:1], 0x0
	s_lshl_b32 s34, s2, 10
	s_mov_b32 s35, 0
	s_lshl_b64 s[36:37], s[34:35], 2
	v_lshlrev_b32_e32 v1, 2, v0
	s_waitcnt lgkmcnt(0)
	s_add_u32 s0, s28, s36
	s_addc_u32 s1, s29, s37
	global_load_dword v70, v1, s[0:1]
	global_load_dword v71, v1, s[0:1] offset:512
	global_load_dword v64, v1, s[0:1] offset:1024
	;; [unrolled: 1-line block ×7, first 2 shown]
	v_lshlrev_b32_e32 v1, 3, v0
	v_and_b32_e32 v30, 0x380, v1
	v_or_b32_e32 v32, 64, v30
	v_add_u32_e32 v33, 0x80, v30
	v_and_b32_e32 v31, 0x78, v1
	v_sub_u32_e32 v34, v33, v32
	v_sub_u32_e32 v36, v31, v34
	v_cmp_ge_i32_e64 s[4:5], v31, v34
	v_and_b32_e32 v3, 0x3f0, v1
	v_and_b32_e32 v12, 0x3e0, v1
	v_cndmask_b32_e64 v34, 0, v36, s[4:5]
	v_and_b32_e32 v36, 0x300, v1
	v_and_b32_e32 v21, 0x3c0, v1
	v_or_b32_e32 v38, 0x80, v36
	v_add_u32_e32 v39, 0x100, v36
	v_and_b32_e32 v43, 0x200, v1
	v_or_b32_e32 v5, 8, v3
	v_add_u32_e32 v6, 16, v3
	v_or_b32_e32 v14, 16, v12
	v_add_u32_e32 v15, 32, v12
	;; [unrolled: 2-line block ×3, first 2 shown]
	v_and_b32_e32 v37, 0xf8, v1
	v_sub_u32_e32 v40, v39, v38
	v_or_b32_e32 v45, 0x100, v43
	v_add_u32_e32 v46, 0x200, v43
	v_and_b32_e32 v4, 8, v1
	v_sub_u32_e32 v9, v6, v5
	v_and_b32_e32 v13, 24, v1
	v_sub_u32_e32 v18, v15, v14
	;; [unrolled: 2-line block ×3, first 2 shown]
	v_sub_u32_e32 v42, v37, v40
	v_cmp_ge_i32_e64 s[6:7], v37, v40
	v_and_b32_e32 v44, 0x1f8, v1
	v_sub_u32_e32 v47, v46, v45
	v_sub_u32_e32 v10, v5, v3
	;; [unrolled: 1-line block ×3, first 2 shown]
	v_cmp_ge_i32_e32 vcc, v4, v9
	v_sub_u32_e32 v19, v14, v12
	v_sub_u32_e32 v20, v13, v18
	v_cmp_ge_i32_e64 s[0:1], v13, v18
	v_sub_u32_e32 v28, v23, v21
	v_sub_u32_e32 v29, v22, v27
	v_cmp_ge_i32_e64 s[2:3], v22, v27
	v_sub_u32_e32 v35, v32, v30
	v_sub_u32_e32 v41, v38, v36
	v_cndmask_b32_e64 v40, 0, v42, s[6:7]
	v_mov_b32_e32 v42, 0x200
	v_sub_u32_e32 v48, v45, v43
	v_sub_u32_e32 v49, v44, v47
	v_cmp_ge_i32_e64 s[8:9], v44, v47
	v_cndmask_b32_e32 v9, 0, v11, vcc
	v_min_i32_e32 v10, v4, v10
	v_cndmask_b32_e64 v18, 0, v20, s[0:1]
	v_min_i32_e32 v19, v13, v19
	v_cndmask_b32_e64 v27, 0, v29, s[2:3]
	v_min_i32_e32 v28, v22, v28
	v_min_i32_e32 v35, v31, v35
	;; [unrolled: 1-line block ×3, first 2 shown]
	v_cndmask_b32_e64 v47, 0, v49, s[8:9]
	v_min_i32_e32 v48, v44, v48
	v_sub_u32_e64 v49, v1, v42 clamp
	v_min_i32_e32 v50, 0x200, v1
	v_lshlrev_b32_e32 v2, 5, v0
	v_lshlrev_b32_e32 v7, 2, v3
	;; [unrolled: 1-line block ×3, first 2 shown]
	v_cmp_lt_i32_e32 vcc, v9, v10
	v_add_u32_e32 v11, v5, v4
	v_lshlrev_b32_e32 v16, 2, v12
	v_lshlrev_b32_e32 v17, 2, v14
	v_cmp_lt_i32_e64 s[0:1], v18, v19
	v_add_u32_e32 v20, v14, v13
	v_lshlrev_b32_e32 v25, 2, v21
	v_lshlrev_b32_e32 v26, 2, v23
	v_cmp_lt_i32_e64 s[2:3], v27, v28
	v_add_u32_e32 v29, v23, v22
	v_cmp_lt_i32_e64 s[4:5], v34, v35
	v_cmp_lt_i32_e64 s[6:7], v40, v41
	;; [unrolled: 1-line block ×4, first 2 shown]
	s_movk_i32 s33, 0x400
	v_lshlrev_b32_e32 v51, 2, v30
	v_lshlrev_b32_e32 v52, 2, v32
	v_add_u32_e32 v53, v32, v31
	v_lshlrev_b32_e32 v54, 2, v36
	v_lshlrev_b32_e32 v55, 2, v38
	v_add_u32_e32 v56, v38, v37
	;; [unrolled: 3-line block ×3, first 2 shown]
	v_add_u32_e32 v60, 0x200, v1
	s_branch .LBB18_2
.LBB18_1:                               ;   in Loop: Header=BB18_2 Depth=1
	s_or_b64 exec, exec, s[26:27]
	v_cndmask_b32_e64 v71, v64, v63, s[14:15]
	v_cndmask_b32_e64 v64, v65, v66, s[16:17]
	v_cmp_ge_i32_e64 s[14:15], v79, v42
	s_waitcnt lgkmcnt(0)
	v_cmp_lt_i32_e64 s[16:17], v80, v78
	v_cndmask_b32_e64 v70, v61, v62, s[12:13]
	v_cmp_gt_i32_e64 s[12:13], s33, v77
	s_or_b64 s[14:15], s[14:15], s[16:17]
	s_add_i32 s35, s35, 1
	s_and_b64 s[12:13], s[12:13], s[14:15]
	v_cndmask_b32_e64 v65, v67, v68, s[18:19]
	v_cndmask_b32_e64 v62, v69, v72, s[20:21]
	;; [unrolled: 1-line block ×4, first 2 shown]
	s_cmp_eq_u32 s35, 10
	v_cndmask_b32_e64 v66, v78, v80, s[12:13]
	s_cbranch_scc1 .LBB18_226
.LBB18_2:                               ; =>This Loop Header: Depth=1
                                        ;     Child Loop BB18_4 Depth 2
                                        ;     Child Loop BB18_36 Depth 2
	;; [unrolled: 1-line block ×7, first 2 shown]
	s_waitcnt vmcnt(6)
	v_cmp_lt_i32_e64 s[12:13], v71, v70
	v_min_i32_e32 v69, v71, v70
	s_waitcnt vmcnt(4)
	v_max_i32_e32 v73, v65, v64
	v_cndmask_b32_e64 v67, v70, v71, s[12:13]
	v_cndmask_b32_e64 v68, v71, v70, s[12:13]
	v_cmp_lt_i32_e64 s[12:13], v65, v64
	v_max_i32_e32 v70, v71, v70
	s_waitcnt vmcnt(2)
	v_max_i32_e32 v75, v63, v62
	v_cndmask_b32_e64 v71, v65, v64, s[12:13]
	v_cndmask_b32_e64 v72, v64, v65, s[12:13]
	v_cmp_lt_i32_e64 s[12:13], v63, v62
	v_min_i32_e32 v64, v65, v64
	s_waitcnt vmcnt(0)
	v_max_i32_e32 v77, v66, v61
	v_cndmask_b32_e64 v65, v63, v62, s[12:13]
	v_cndmask_b32_e64 v74, v62, v63, s[12:13]
	v_cmp_lt_i32_e64 s[12:13], v66, v61
	v_min_i32_e32 v62, v63, v62
	v_max_i32_e32 v78, v62, v73
	v_cndmask_b32_e64 v63, v66, v61, s[12:13]
	v_cndmask_b32_e64 v76, v61, v66, s[12:13]
	v_cmp_lt_i32_e64 s[12:13], v64, v70
	v_min_i32_e32 v61, v66, v61
	s_nop 0
	v_cndmask_b32_e64 v66, v72, v70, s[12:13]
	v_cndmask_b32_e64 v68, v68, v64, s[12:13]
	v_cmp_lt_i32_e64 s[12:13], v62, v73
	v_max_i32_e32 v72, v64, v70
	v_min_i32_e32 v70, v64, v70
	v_cndmask_b32_e64 v74, v74, v73, s[12:13]
	v_cndmask_b32_e64 v71, v71, v62, s[12:13]
	v_cmp_lt_i32_e64 s[12:13], v61, v75
	v_min_i32_e32 v62, v62, v73
	s_barrier
	v_cndmask_b32_e64 v73, v76, v75, s[12:13]
	v_cndmask_b32_e64 v65, v65, v61, s[12:13]
	v_cmp_lt_i32_e64 s[12:13], v64, v69
	v_max_i32_e32 v76, v61, v75
	v_min_i32_e32 v61, v61, v75
	v_cndmask_b32_e64 v64, v67, v70, s[12:13]
	v_cndmask_b32_e64 v67, v68, v69, s[12:13]
	;; [unrolled: 1-line block ×4, first 2 shown]
	v_cmp_lt_i32_e64 s[12:13], v62, v72
	s_nop 1
	v_cndmask_b32_e64 v70, v71, v72, s[12:13]
	v_cndmask_b32_e64 v66, v66, v62, s[12:13]
	v_cmp_lt_i32_e64 s[12:13], v61, v78
	v_max_i32_e32 v71, v62, v72
	v_min_i32_e32 v62, v62, v72
	v_cndmask_b32_e64 v65, v65, v78, s[12:13]
	v_cndmask_b32_e64 v72, v74, v61, s[12:13]
	v_cmp_gt_i32_e64 s[12:13], v75, v77
	v_max_i32_e32 v74, v61, v78
	v_min_i32_e32 v61, v61, v78
	v_cndmask_b32_e64 v63, v63, v76, s[12:13]
	v_cndmask_b32_e64 v73, v73, v77, s[12:13]
	;; [unrolled: 1-line block ×4, first 2 shown]
	v_cmp_lt_i32_e64 s[12:13], v62, v69
	v_max_i32_e32 v77, v62, v69
	s_nop 0
	v_cndmask_b32_e64 v66, v66, v69, s[12:13]
	v_cndmask_b32_e64 v67, v67, v62, s[12:13]
	v_cmp_lt_i32_e64 s[12:13], v61, v71
	v_min_i32_e32 v62, v62, v69
	s_nop 0
	v_cndmask_b32_e64 v69, v72, v71, s[12:13]
	v_cndmask_b32_e64 v70, v70, v61, s[12:13]
	v_cmp_lt_i32_e64 s[12:13], v76, v74
	v_max_i32_e32 v72, v61, v71
	v_min_i32_e32 v61, v61, v71
	v_cndmask_b32_e64 v71, v73, v74, s[12:13]
	v_cndmask_b32_e64 v65, v65, v76, s[12:13]
	v_cmp_lt_i32_e64 s[12:13], v62, v68
	v_max_i32_e32 v73, v76, v74
	v_min_i32_e32 v74, v76, v74
	v_cndmask_b32_e64 v64, v64, v62, s[12:13]
	v_cndmask_b32_e64 v67, v67, v68, s[12:13]
	v_cmp_lt_i32_e64 s[12:13], v61, v77
	v_min_i32_e32 v76, v62, v68
	v_max_i32_e32 v62, v62, v68
	v_cndmask_b32_e64 v68, v70, v77, s[12:13]
	v_cndmask_b32_e64 v66, v66, v61, s[12:13]
	v_cmp_lt_i32_e64 s[12:13], v74, v72
	v_max_i32_e32 v70, v61, v77
	v_min_i32_e32 v61, v61, v77
	v_cndmask_b32_e64 v65, v65, v72, s[12:13]
	v_cndmask_b32_e64 v69, v69, v74, s[12:13]
	v_cmp_lt_i32_e64 s[12:13], v75, v73
	v_max_i32_e32 v77, v74, v72
	v_min_i32_e32 v72, v74, v72
	;; [unrolled: 5-line block ×6, first 2 shown]
	v_cndmask_b32_e64 v61, v64, v62, s[12:13]
	v_cndmask_b32_e64 v64, v67, v76, s[12:13]
	v_cndmask_b32_e64 v62, v62, v76, s[12:13]
	v_cmp_lt_i32_e64 s[12:13], v70, v75
	s_nop 1
	v_cndmask_b32_e64 v66, v66, v70, s[12:13]
	v_cndmask_b32_e64 v67, v68, v75, s[12:13]
	v_cmp_lt_i32_e64 s[12:13], v73, v78
	v_max_i32_e32 v68, v70, v75
	v_min_i32_e32 v70, v70, v75
	v_cndmask_b32_e64 v65, v65, v78, s[12:13]
	v_cndmask_b32_e64 v69, v69, v73, s[12:13]
	v_cmp_gt_i32_e64 s[12:13], v77, v74
	v_max_i32_e32 v75, v73, v78
	v_min_i32_e32 v73, v73, v78
	v_cndmask_b32_e64 v63, v63, v72, s[12:13]
	v_cndmask_b32_e64 v71, v71, v74, s[12:13]
	;; [unrolled: 1-line block ×3, first 2 shown]
	v_cmp_lt_i32_e64 s[12:13], v70, v62
	s_nop 1
	v_cndmask_b32_e64 v62, v66, v62, s[12:13]
	v_cndmask_b32_e64 v64, v64, v70, s[12:13]
	v_cmp_lt_i32_e64 s[12:13], v73, v68
	s_nop 1
	v_cndmask_b32_e64 v66, v69, v68, s[12:13]
	v_cndmask_b32_e64 v67, v67, v73, s[12:13]
	;; [unrolled: 4-line block ×3, first 2 shown]
	ds_write2_b32 v2, v61, v64 offset1:1
	ds_write2_b32 v2, v62, v67 offset0:2 offset1:3
	ds_write2_b32 v2, v66, v65 offset0:4 offset1:5
	;; [unrolled: 1-line block ×3, first 2 shown]
	v_mov_b32_e32 v63, v9
	s_waitcnt lgkmcnt(0)
	s_barrier
	s_and_saveexec_b64 s[14:15], vcc
	s_cbranch_execz .LBB18_6
; %bb.3:                                ;   in Loop: Header=BB18_2 Depth=1
	s_mov_b64 s[16:17], 0
	v_mov_b32_e32 v63, v9
	v_mov_b32_e32 v61, v10
.LBB18_4:                               ;   Parent Loop BB18_2 Depth=1
                                        ; =>  This Inner Loop Header: Depth=2
	v_sub_u32_e32 v62, v61, v63
	v_lshrrev_b32_e32 v64, 31, v62
	v_add_u32_e32 v62, v62, v64
	v_ashrrev_i32_e32 v62, 1, v62
	v_add_u32_e32 v62, v62, v63
	v_xad_u32 v65, v62, -1, v4
	v_lshl_add_u32 v64, v62, 2, v7
	v_lshl_add_u32 v65, v65, 2, v8
	ds_read_b32 v64, v64
	ds_read_b32 v65, v65
	v_add_u32_e32 v66, 1, v62
	s_waitcnt lgkmcnt(0)
	v_cmp_lt_i32_e64 s[12:13], v65, v64
	s_nop 1
	v_cndmask_b32_e64 v61, v61, v62, s[12:13]
	v_cndmask_b32_e64 v63, v66, v63, s[12:13]
	v_cmp_ge_i32_e64 s[12:13], v63, v61
	s_or_b64 s[16:17], s[12:13], s[16:17]
	s_andn2_b64 exec, exec, s[16:17]
	s_cbranch_execnz .LBB18_4
; %bb.5:                                ;   in Loop: Header=BB18_2 Depth=1
	s_or_b64 exec, exec, s[16:17]
.LBB18_6:                               ;   in Loop: Header=BB18_2 Depth=1
	s_or_b64 exec, exec, s[14:15]
	v_sub_u32_e32 v65, v11, v63
	v_lshl_add_u32 v68, v63, 2, v7
	v_lshlrev_b32_e32 v67, 2, v65
	ds_read_b32 v61, v68
	ds_read_b32 v62, v67
	v_add_u32_e32 v66, v63, v3
	v_cmp_le_i32_e64 s[14:15], v5, v66
	v_cmp_gt_i32_e64 s[12:13], v6, v65
                                        ; implicit-def: $vgpr63
                                        ; implicit-def: $vgpr64
	s_waitcnt lgkmcnt(0)
	v_cmp_lt_i32_e64 s[16:17], v62, v61
	s_or_b64 s[14:15], s[14:15], s[16:17]
	s_and_b64 s[12:13], s[12:13], s[14:15]
	s_xor_b64 s[14:15], s[12:13], -1
	s_and_saveexec_b64 s[16:17], s[14:15]
	s_xor_b64 s[14:15], exec, s[16:17]
	s_cbranch_execz .LBB18_8
; %bb.7:                                ;   in Loop: Header=BB18_2 Depth=1
	ds_read_b32 v64, v68 offset:4
	v_mov_b32_e32 v63, v62
                                        ; implicit-def: $vgpr67
.LBB18_8:                               ;   in Loop: Header=BB18_2 Depth=1
	s_andn2_saveexec_b64 s[14:15], s[14:15]
	s_cbranch_execz .LBB18_10
; %bb.9:                                ;   in Loop: Header=BB18_2 Depth=1
	ds_read_b32 v63, v67 offset:4
	s_waitcnt lgkmcnt(1)
	v_mov_b32_e32 v64, v61
.LBB18_10:                              ;   in Loop: Header=BB18_2 Depth=1
	s_or_b64 exec, exec, s[14:15]
	v_add_u32_e32 v68, 1, v66
	v_add_u32_e32 v67, 1, v65
	v_cndmask_b32_e64 v68, v68, v66, s[12:13]
	v_cndmask_b32_e64 v67, v65, v67, s[12:13]
	v_cmp_ge_i32_e64 s[16:17], v68, v5
	s_waitcnt lgkmcnt(0)
	v_cmp_lt_i32_e64 s[18:19], v63, v64
	v_cmp_lt_i32_e64 s[14:15], v67, v6
	s_or_b64 s[16:17], s[16:17], s[18:19]
	s_and_b64 s[14:15], s[14:15], s[16:17]
	s_xor_b64 s[16:17], s[14:15], -1
                                        ; implicit-def: $vgpr65
	s_and_saveexec_b64 s[18:19], s[16:17]
	s_xor_b64 s[16:17], exec, s[18:19]
	s_cbranch_execz .LBB18_12
; %bb.11:                               ;   in Loop: Header=BB18_2 Depth=1
	v_lshlrev_b32_e32 v65, 2, v68
	ds_read_b32 v65, v65 offset:4
.LBB18_12:                              ;   in Loop: Header=BB18_2 Depth=1
	s_or_saveexec_b64 s[16:17], s[16:17]
	v_mov_b32_e32 v66, v63
	s_xor_b64 exec, exec, s[16:17]
	s_cbranch_execz .LBB18_14
; %bb.13:                               ;   in Loop: Header=BB18_2 Depth=1
	s_waitcnt lgkmcnt(0)
	v_lshlrev_b32_e32 v65, 2, v67
	ds_read_b32 v66, v65 offset:4
	v_mov_b32_e32 v65, v64
.LBB18_14:                              ;   in Loop: Header=BB18_2 Depth=1
	s_or_b64 exec, exec, s[16:17]
	v_add_u32_e32 v70, 1, v68
	v_add_u32_e32 v69, 1, v67
	v_cndmask_b32_e64 v70, v70, v68, s[14:15]
	v_cndmask_b32_e64 v69, v67, v69, s[14:15]
	v_cmp_ge_i32_e64 s[18:19], v70, v5
	s_waitcnt lgkmcnt(0)
	v_cmp_lt_i32_e64 s[20:21], v66, v65
	v_cmp_lt_i32_e64 s[16:17], v69, v6
	s_or_b64 s[18:19], s[18:19], s[20:21]
	s_and_b64 s[16:17], s[16:17], s[18:19]
	s_xor_b64 s[18:19], s[16:17], -1
                                        ; implicit-def: $vgpr67
	s_and_saveexec_b64 s[20:21], s[18:19]
	s_xor_b64 s[18:19], exec, s[20:21]
	s_cbranch_execz .LBB18_16
; %bb.15:                               ;   in Loop: Header=BB18_2 Depth=1
	v_lshlrev_b32_e32 v67, 2, v70
	ds_read_b32 v67, v67 offset:4
.LBB18_16:                              ;   in Loop: Header=BB18_2 Depth=1
	s_or_saveexec_b64 s[18:19], s[18:19]
	v_mov_b32_e32 v68, v66
	s_xor_b64 exec, exec, s[18:19]
	s_cbranch_execz .LBB18_18
; %bb.17:                               ;   in Loop: Header=BB18_2 Depth=1
	s_waitcnt lgkmcnt(0)
	v_lshlrev_b32_e32 v67, 2, v69
	ds_read_b32 v68, v67 offset:4
	v_mov_b32_e32 v67, v65
.LBB18_18:                              ;   in Loop: Header=BB18_2 Depth=1
	s_or_b64 exec, exec, s[18:19]
	v_add_u32_e32 v72, 1, v70
	v_add_u32_e32 v71, 1, v69
	v_cndmask_b32_e64 v72, v72, v70, s[16:17]
	v_cndmask_b32_e64 v71, v69, v71, s[16:17]
	v_cmp_ge_i32_e64 s[20:21], v72, v5
	s_waitcnt lgkmcnt(0)
	v_cmp_lt_i32_e64 s[22:23], v68, v67
	v_cmp_lt_i32_e64 s[18:19], v71, v6
	s_or_b64 s[20:21], s[20:21], s[22:23]
	s_and_b64 s[18:19], s[18:19], s[20:21]
	s_xor_b64 s[20:21], s[18:19], -1
                                        ; implicit-def: $vgpr69
	s_and_saveexec_b64 s[22:23], s[20:21]
	s_xor_b64 s[20:21], exec, s[22:23]
	s_cbranch_execz .LBB18_20
; %bb.19:                               ;   in Loop: Header=BB18_2 Depth=1
	v_lshlrev_b32_e32 v69, 2, v72
	ds_read_b32 v69, v69 offset:4
.LBB18_20:                              ;   in Loop: Header=BB18_2 Depth=1
	s_or_saveexec_b64 s[20:21], s[20:21]
	v_mov_b32_e32 v70, v68
	s_xor_b64 exec, exec, s[20:21]
	s_cbranch_execz .LBB18_22
; %bb.21:                               ;   in Loop: Header=BB18_2 Depth=1
	s_waitcnt lgkmcnt(0)
	v_lshlrev_b32_e32 v69, 2, v71
	ds_read_b32 v70, v69 offset:4
	v_mov_b32_e32 v69, v67
.LBB18_22:                              ;   in Loop: Header=BB18_2 Depth=1
	s_or_b64 exec, exec, s[20:21]
	v_add_u32_e32 v74, 1, v72
	v_add_u32_e32 v73, 1, v71
	v_cndmask_b32_e64 v74, v74, v72, s[18:19]
	v_cndmask_b32_e64 v73, v71, v73, s[18:19]
	v_cmp_ge_i32_e64 s[22:23], v74, v5
	s_waitcnt lgkmcnt(0)
	v_cmp_lt_i32_e64 s[24:25], v70, v69
	v_cmp_lt_i32_e64 s[20:21], v73, v6
	s_or_b64 s[22:23], s[22:23], s[24:25]
	s_and_b64 s[20:21], s[20:21], s[22:23]
	s_xor_b64 s[22:23], s[20:21], -1
                                        ; implicit-def: $vgpr71
	s_and_saveexec_b64 s[24:25], s[22:23]
	s_xor_b64 s[22:23], exec, s[24:25]
	s_cbranch_execz .LBB18_24
; %bb.23:                               ;   in Loop: Header=BB18_2 Depth=1
	v_lshlrev_b32_e32 v71, 2, v74
	ds_read_b32 v71, v71 offset:4
.LBB18_24:                              ;   in Loop: Header=BB18_2 Depth=1
	s_or_saveexec_b64 s[22:23], s[22:23]
	v_mov_b32_e32 v72, v70
	s_xor_b64 exec, exec, s[22:23]
	s_cbranch_execz .LBB18_26
; %bb.25:                               ;   in Loop: Header=BB18_2 Depth=1
	s_waitcnt lgkmcnt(0)
	v_lshlrev_b32_e32 v71, 2, v73
	ds_read_b32 v72, v71 offset:4
	v_mov_b32_e32 v71, v69
.LBB18_26:                              ;   in Loop: Header=BB18_2 Depth=1
	s_or_b64 exec, exec, s[22:23]
	v_add_u32_e32 v76, 1, v74
	v_add_u32_e32 v75, 1, v73
	v_cndmask_b32_e64 v76, v76, v74, s[20:21]
	v_cndmask_b32_e64 v75, v73, v75, s[20:21]
	v_cmp_ge_i32_e64 s[24:25], v76, v5
	s_waitcnt lgkmcnt(0)
	v_cmp_lt_i32_e64 s[26:27], v72, v71
	v_cmp_lt_i32_e64 s[22:23], v75, v6
	s_or_b64 s[24:25], s[24:25], s[26:27]
	s_and_b64 s[22:23], s[22:23], s[24:25]
	s_xor_b64 s[24:25], s[22:23], -1
                                        ; implicit-def: $vgpr73
	s_and_saveexec_b64 s[26:27], s[24:25]
	s_xor_b64 s[24:25], exec, s[26:27]
	s_cbranch_execz .LBB18_28
; %bb.27:                               ;   in Loop: Header=BB18_2 Depth=1
	v_lshlrev_b32_e32 v73, 2, v76
	ds_read_b32 v73, v73 offset:4
.LBB18_28:                              ;   in Loop: Header=BB18_2 Depth=1
	s_or_saveexec_b64 s[24:25], s[24:25]
	v_mov_b32_e32 v74, v72
	s_xor_b64 exec, exec, s[24:25]
	s_cbranch_execz .LBB18_30
; %bb.29:                               ;   in Loop: Header=BB18_2 Depth=1
	s_waitcnt lgkmcnt(0)
	v_lshlrev_b32_e32 v73, 2, v75
	ds_read_b32 v74, v73 offset:4
	v_mov_b32_e32 v73, v71
.LBB18_30:                              ;   in Loop: Header=BB18_2 Depth=1
	s_or_b64 exec, exec, s[24:25]
	v_add_u32_e32 v78, 1, v76
	v_add_u32_e32 v77, 1, v75
	v_cndmask_b32_e64 v76, v78, v76, s[22:23]
	v_cndmask_b32_e64 v75, v75, v77, s[22:23]
	v_cmp_ge_i32_e64 s[26:27], v76, v5
	s_waitcnt lgkmcnt(0)
	v_cmp_lt_i32_e64 s[28:29], v74, v73
	v_cmp_lt_i32_e64 s[24:25], v75, v6
	s_or_b64 s[26:27], s[26:27], s[28:29]
	s_and_b64 s[24:25], s[24:25], s[26:27]
	s_xor_b64 s[26:27], s[24:25], -1
                                        ; implicit-def: $vgpr77
	s_and_saveexec_b64 s[28:29], s[26:27]
	s_xor_b64 s[26:27], exec, s[28:29]
	s_cbranch_execz .LBB18_32
; %bb.31:                               ;   in Loop: Header=BB18_2 Depth=1
	v_lshlrev_b32_e32 v77, 2, v76
	ds_read_b32 v77, v77 offset:4
.LBB18_32:                              ;   in Loop: Header=BB18_2 Depth=1
	s_or_saveexec_b64 s[26:27], s[26:27]
	v_mov_b32_e32 v78, v74
	s_xor_b64 exec, exec, s[26:27]
	s_cbranch_execz .LBB18_34
; %bb.33:                               ;   in Loop: Header=BB18_2 Depth=1
	s_waitcnt lgkmcnt(0)
	v_lshlrev_b32_e32 v77, 2, v75
	ds_read_b32 v78, v77 offset:4
	v_mov_b32_e32 v77, v73
.LBB18_34:                              ;   in Loop: Header=BB18_2 Depth=1
	s_or_b64 exec, exec, s[26:27]
	v_cndmask_b32_e64 v73, v73, v74, s[24:25]
	v_add_u32_e32 v74, 1, v75
	v_add_u32_e32 v79, 1, v76
	v_cndmask_b32_e64 v74, v75, v74, s[24:25]
	v_cndmask_b32_e64 v75, v79, v76, s[24:25]
	;; [unrolled: 1-line block ×4, first 2 shown]
	v_cmp_ge_i32_e64 s[14:15], v75, v5
	s_waitcnt lgkmcnt(0)
	v_cmp_lt_i32_e64 s[16:17], v78, v77
	v_cndmask_b32_e64 v61, v61, v62, s[12:13]
	v_cmp_lt_i32_e64 s[12:13], v74, v6
	s_or_b64 s[14:15], s[14:15], s[16:17]
	s_and_b64 s[12:13], s[12:13], s[14:15]
	v_cndmask_b32_e64 v71, v71, v72, s[22:23]
	v_cndmask_b32_e64 v69, v69, v70, s[20:21]
	;; [unrolled: 1-line block ×4, first 2 shown]
	s_barrier
	ds_write2_b32 v2, v61, v63 offset1:1
	ds_write2_b32 v2, v65, v67 offset0:2 offset1:3
	ds_write2_b32 v2, v69, v71 offset0:4 offset1:5
	;; [unrolled: 1-line block ×3, first 2 shown]
	v_mov_b32_e32 v63, v18
	s_waitcnt lgkmcnt(0)
	s_barrier
	s_and_saveexec_b64 s[14:15], s[0:1]
	s_cbranch_execz .LBB18_38
; %bb.35:                               ;   in Loop: Header=BB18_2 Depth=1
	s_mov_b64 s[16:17], 0
	v_mov_b32_e32 v63, v18
	v_mov_b32_e32 v61, v19
.LBB18_36:                              ;   Parent Loop BB18_2 Depth=1
                                        ; =>  This Inner Loop Header: Depth=2
	v_sub_u32_e32 v62, v61, v63
	v_lshrrev_b32_e32 v64, 31, v62
	v_add_u32_e32 v62, v62, v64
	v_ashrrev_i32_e32 v62, 1, v62
	v_add_u32_e32 v62, v62, v63
	v_xad_u32 v65, v62, -1, v13
	v_lshl_add_u32 v64, v62, 2, v16
	v_lshl_add_u32 v65, v65, 2, v17
	ds_read_b32 v64, v64
	ds_read_b32 v65, v65
	v_add_u32_e32 v66, 1, v62
	s_waitcnt lgkmcnt(0)
	v_cmp_lt_i32_e64 s[12:13], v65, v64
	s_nop 1
	v_cndmask_b32_e64 v61, v61, v62, s[12:13]
	v_cndmask_b32_e64 v63, v66, v63, s[12:13]
	v_cmp_ge_i32_e64 s[12:13], v63, v61
	s_or_b64 s[16:17], s[12:13], s[16:17]
	s_andn2_b64 exec, exec, s[16:17]
	s_cbranch_execnz .LBB18_36
; %bb.37:                               ;   in Loop: Header=BB18_2 Depth=1
	s_or_b64 exec, exec, s[16:17]
.LBB18_38:                              ;   in Loop: Header=BB18_2 Depth=1
	s_or_b64 exec, exec, s[14:15]
	v_sub_u32_e32 v65, v20, v63
	v_lshl_add_u32 v68, v63, 2, v16
	v_lshlrev_b32_e32 v67, 2, v65
	ds_read_b32 v61, v68
	ds_read_b32 v62, v67
	v_add_u32_e32 v66, v63, v12
	v_cmp_le_i32_e64 s[14:15], v14, v66
	v_cmp_gt_i32_e64 s[12:13], v15, v65
                                        ; implicit-def: $vgpr63
                                        ; implicit-def: $vgpr64
	s_waitcnt lgkmcnt(0)
	v_cmp_lt_i32_e64 s[16:17], v62, v61
	s_or_b64 s[14:15], s[14:15], s[16:17]
	s_and_b64 s[12:13], s[12:13], s[14:15]
	s_xor_b64 s[14:15], s[12:13], -1
	s_and_saveexec_b64 s[16:17], s[14:15]
	s_xor_b64 s[14:15], exec, s[16:17]
	s_cbranch_execz .LBB18_40
; %bb.39:                               ;   in Loop: Header=BB18_2 Depth=1
	ds_read_b32 v64, v68 offset:4
	v_mov_b32_e32 v63, v62
                                        ; implicit-def: $vgpr67
.LBB18_40:                              ;   in Loop: Header=BB18_2 Depth=1
	s_andn2_saveexec_b64 s[14:15], s[14:15]
	s_cbranch_execz .LBB18_42
; %bb.41:                               ;   in Loop: Header=BB18_2 Depth=1
	ds_read_b32 v63, v67 offset:4
	s_waitcnt lgkmcnt(1)
	v_mov_b32_e32 v64, v61
.LBB18_42:                              ;   in Loop: Header=BB18_2 Depth=1
	s_or_b64 exec, exec, s[14:15]
	v_add_u32_e32 v68, 1, v66
	v_add_u32_e32 v67, 1, v65
	v_cndmask_b32_e64 v68, v68, v66, s[12:13]
	v_cndmask_b32_e64 v67, v65, v67, s[12:13]
	v_cmp_ge_i32_e64 s[16:17], v68, v14
	s_waitcnt lgkmcnt(0)
	v_cmp_lt_i32_e64 s[18:19], v63, v64
	v_cmp_lt_i32_e64 s[14:15], v67, v15
	s_or_b64 s[16:17], s[16:17], s[18:19]
	s_and_b64 s[14:15], s[14:15], s[16:17]
	s_xor_b64 s[16:17], s[14:15], -1
                                        ; implicit-def: $vgpr65
	s_and_saveexec_b64 s[18:19], s[16:17]
	s_xor_b64 s[16:17], exec, s[18:19]
	s_cbranch_execz .LBB18_44
; %bb.43:                               ;   in Loop: Header=BB18_2 Depth=1
	v_lshlrev_b32_e32 v65, 2, v68
	ds_read_b32 v65, v65 offset:4
.LBB18_44:                              ;   in Loop: Header=BB18_2 Depth=1
	s_or_saveexec_b64 s[16:17], s[16:17]
	v_mov_b32_e32 v66, v63
	s_xor_b64 exec, exec, s[16:17]
	s_cbranch_execz .LBB18_46
; %bb.45:                               ;   in Loop: Header=BB18_2 Depth=1
	s_waitcnt lgkmcnt(0)
	v_lshlrev_b32_e32 v65, 2, v67
	ds_read_b32 v66, v65 offset:4
	v_mov_b32_e32 v65, v64
.LBB18_46:                              ;   in Loop: Header=BB18_2 Depth=1
	s_or_b64 exec, exec, s[16:17]
	v_add_u32_e32 v70, 1, v68
	v_add_u32_e32 v69, 1, v67
	v_cndmask_b32_e64 v70, v70, v68, s[14:15]
	v_cndmask_b32_e64 v69, v67, v69, s[14:15]
	v_cmp_ge_i32_e64 s[18:19], v70, v14
	s_waitcnt lgkmcnt(0)
	v_cmp_lt_i32_e64 s[20:21], v66, v65
	v_cmp_lt_i32_e64 s[16:17], v69, v15
	s_or_b64 s[18:19], s[18:19], s[20:21]
	s_and_b64 s[16:17], s[16:17], s[18:19]
	s_xor_b64 s[18:19], s[16:17], -1
                                        ; implicit-def: $vgpr67
	s_and_saveexec_b64 s[20:21], s[18:19]
	s_xor_b64 s[18:19], exec, s[20:21]
	s_cbranch_execz .LBB18_48
; %bb.47:                               ;   in Loop: Header=BB18_2 Depth=1
	v_lshlrev_b32_e32 v67, 2, v70
	ds_read_b32 v67, v67 offset:4
.LBB18_48:                              ;   in Loop: Header=BB18_2 Depth=1
	s_or_saveexec_b64 s[18:19], s[18:19]
	v_mov_b32_e32 v68, v66
	s_xor_b64 exec, exec, s[18:19]
	s_cbranch_execz .LBB18_50
; %bb.49:                               ;   in Loop: Header=BB18_2 Depth=1
	s_waitcnt lgkmcnt(0)
	v_lshlrev_b32_e32 v67, 2, v69
	ds_read_b32 v68, v67 offset:4
	v_mov_b32_e32 v67, v65
.LBB18_50:                              ;   in Loop: Header=BB18_2 Depth=1
	s_or_b64 exec, exec, s[18:19]
	v_add_u32_e32 v72, 1, v70
	v_add_u32_e32 v71, 1, v69
	v_cndmask_b32_e64 v72, v72, v70, s[16:17]
	v_cndmask_b32_e64 v71, v69, v71, s[16:17]
	v_cmp_ge_i32_e64 s[20:21], v72, v14
	s_waitcnt lgkmcnt(0)
	v_cmp_lt_i32_e64 s[22:23], v68, v67
	v_cmp_lt_i32_e64 s[18:19], v71, v15
	s_or_b64 s[20:21], s[20:21], s[22:23]
	s_and_b64 s[18:19], s[18:19], s[20:21]
	s_xor_b64 s[20:21], s[18:19], -1
                                        ; implicit-def: $vgpr69
	s_and_saveexec_b64 s[22:23], s[20:21]
	s_xor_b64 s[20:21], exec, s[22:23]
	s_cbranch_execz .LBB18_52
; %bb.51:                               ;   in Loop: Header=BB18_2 Depth=1
	v_lshlrev_b32_e32 v69, 2, v72
	ds_read_b32 v69, v69 offset:4
.LBB18_52:                              ;   in Loop: Header=BB18_2 Depth=1
	s_or_saveexec_b64 s[20:21], s[20:21]
	v_mov_b32_e32 v70, v68
	s_xor_b64 exec, exec, s[20:21]
	s_cbranch_execz .LBB18_54
; %bb.53:                               ;   in Loop: Header=BB18_2 Depth=1
	s_waitcnt lgkmcnt(0)
	v_lshlrev_b32_e32 v69, 2, v71
	ds_read_b32 v70, v69 offset:4
	v_mov_b32_e32 v69, v67
.LBB18_54:                              ;   in Loop: Header=BB18_2 Depth=1
	s_or_b64 exec, exec, s[20:21]
	v_add_u32_e32 v74, 1, v72
	v_add_u32_e32 v73, 1, v71
	v_cndmask_b32_e64 v74, v74, v72, s[18:19]
	v_cndmask_b32_e64 v73, v71, v73, s[18:19]
	v_cmp_ge_i32_e64 s[22:23], v74, v14
	s_waitcnt lgkmcnt(0)
	v_cmp_lt_i32_e64 s[24:25], v70, v69
	v_cmp_lt_i32_e64 s[20:21], v73, v15
	s_or_b64 s[22:23], s[22:23], s[24:25]
	s_and_b64 s[20:21], s[20:21], s[22:23]
	s_xor_b64 s[22:23], s[20:21], -1
                                        ; implicit-def: $vgpr71
	s_and_saveexec_b64 s[24:25], s[22:23]
	s_xor_b64 s[22:23], exec, s[24:25]
	s_cbranch_execz .LBB18_56
; %bb.55:                               ;   in Loop: Header=BB18_2 Depth=1
	v_lshlrev_b32_e32 v71, 2, v74
	ds_read_b32 v71, v71 offset:4
.LBB18_56:                              ;   in Loop: Header=BB18_2 Depth=1
	s_or_saveexec_b64 s[22:23], s[22:23]
	v_mov_b32_e32 v72, v70
	s_xor_b64 exec, exec, s[22:23]
	s_cbranch_execz .LBB18_58
; %bb.57:                               ;   in Loop: Header=BB18_2 Depth=1
	s_waitcnt lgkmcnt(0)
	v_lshlrev_b32_e32 v71, 2, v73
	ds_read_b32 v72, v71 offset:4
	v_mov_b32_e32 v71, v69
.LBB18_58:                              ;   in Loop: Header=BB18_2 Depth=1
	s_or_b64 exec, exec, s[22:23]
	v_add_u32_e32 v76, 1, v74
	v_add_u32_e32 v75, 1, v73
	v_cndmask_b32_e64 v76, v76, v74, s[20:21]
	v_cndmask_b32_e64 v75, v73, v75, s[20:21]
	v_cmp_ge_i32_e64 s[24:25], v76, v14
	s_waitcnt lgkmcnt(0)
	v_cmp_lt_i32_e64 s[26:27], v72, v71
	v_cmp_lt_i32_e64 s[22:23], v75, v15
	s_or_b64 s[24:25], s[24:25], s[26:27]
	s_and_b64 s[22:23], s[22:23], s[24:25]
	s_xor_b64 s[24:25], s[22:23], -1
                                        ; implicit-def: $vgpr73
	s_and_saveexec_b64 s[26:27], s[24:25]
	s_xor_b64 s[24:25], exec, s[26:27]
	s_cbranch_execz .LBB18_60
; %bb.59:                               ;   in Loop: Header=BB18_2 Depth=1
	v_lshlrev_b32_e32 v73, 2, v76
	ds_read_b32 v73, v73 offset:4
.LBB18_60:                              ;   in Loop: Header=BB18_2 Depth=1
	s_or_saveexec_b64 s[24:25], s[24:25]
	v_mov_b32_e32 v74, v72
	s_xor_b64 exec, exec, s[24:25]
	s_cbranch_execz .LBB18_62
; %bb.61:                               ;   in Loop: Header=BB18_2 Depth=1
	s_waitcnt lgkmcnt(0)
	v_lshlrev_b32_e32 v73, 2, v75
	ds_read_b32 v74, v73 offset:4
	v_mov_b32_e32 v73, v71
.LBB18_62:                              ;   in Loop: Header=BB18_2 Depth=1
	s_or_b64 exec, exec, s[24:25]
	v_add_u32_e32 v78, 1, v76
	v_add_u32_e32 v77, 1, v75
	v_cndmask_b32_e64 v76, v78, v76, s[22:23]
	v_cndmask_b32_e64 v75, v75, v77, s[22:23]
	v_cmp_ge_i32_e64 s[26:27], v76, v14
	s_waitcnt lgkmcnt(0)
	v_cmp_lt_i32_e64 s[28:29], v74, v73
	v_cmp_lt_i32_e64 s[24:25], v75, v15
	s_or_b64 s[26:27], s[26:27], s[28:29]
	s_and_b64 s[24:25], s[24:25], s[26:27]
	s_xor_b64 s[26:27], s[24:25], -1
                                        ; implicit-def: $vgpr77
	s_and_saveexec_b64 s[28:29], s[26:27]
	s_xor_b64 s[26:27], exec, s[28:29]
	s_cbranch_execz .LBB18_64
; %bb.63:                               ;   in Loop: Header=BB18_2 Depth=1
	v_lshlrev_b32_e32 v77, 2, v76
	ds_read_b32 v77, v77 offset:4
.LBB18_64:                              ;   in Loop: Header=BB18_2 Depth=1
	s_or_saveexec_b64 s[26:27], s[26:27]
	v_mov_b32_e32 v78, v74
	s_xor_b64 exec, exec, s[26:27]
	s_cbranch_execz .LBB18_66
; %bb.65:                               ;   in Loop: Header=BB18_2 Depth=1
	s_waitcnt lgkmcnt(0)
	v_lshlrev_b32_e32 v77, 2, v75
	ds_read_b32 v78, v77 offset:4
	v_mov_b32_e32 v77, v73
.LBB18_66:                              ;   in Loop: Header=BB18_2 Depth=1
	s_or_b64 exec, exec, s[26:27]
	v_cndmask_b32_e64 v73, v73, v74, s[24:25]
	v_add_u32_e32 v74, 1, v75
	v_add_u32_e32 v79, 1, v76
	v_cndmask_b32_e64 v74, v75, v74, s[24:25]
	v_cndmask_b32_e64 v75, v79, v76, s[24:25]
	;; [unrolled: 1-line block ×4, first 2 shown]
	v_cmp_ge_i32_e64 s[14:15], v75, v14
	s_waitcnt lgkmcnt(0)
	v_cmp_lt_i32_e64 s[16:17], v78, v77
	v_cndmask_b32_e64 v61, v61, v62, s[12:13]
	v_cmp_lt_i32_e64 s[12:13], v74, v15
	s_or_b64 s[14:15], s[14:15], s[16:17]
	s_and_b64 s[12:13], s[12:13], s[14:15]
	v_cndmask_b32_e64 v71, v71, v72, s[22:23]
	v_cndmask_b32_e64 v69, v69, v70, s[20:21]
	;; [unrolled: 1-line block ×4, first 2 shown]
	s_barrier
	ds_write2_b32 v2, v61, v63 offset1:1
	ds_write2_b32 v2, v65, v67 offset0:2 offset1:3
	ds_write2_b32 v2, v69, v71 offset0:4 offset1:5
	;; [unrolled: 1-line block ×3, first 2 shown]
	v_mov_b32_e32 v63, v27
	s_waitcnt lgkmcnt(0)
	s_barrier
	s_and_saveexec_b64 s[14:15], s[2:3]
	s_cbranch_execz .LBB18_70
; %bb.67:                               ;   in Loop: Header=BB18_2 Depth=1
	s_mov_b64 s[16:17], 0
	v_mov_b32_e32 v63, v27
	v_mov_b32_e32 v61, v28
.LBB18_68:                              ;   Parent Loop BB18_2 Depth=1
                                        ; =>  This Inner Loop Header: Depth=2
	v_sub_u32_e32 v62, v61, v63
	v_lshrrev_b32_e32 v64, 31, v62
	v_add_u32_e32 v62, v62, v64
	v_ashrrev_i32_e32 v62, 1, v62
	v_add_u32_e32 v62, v62, v63
	v_xad_u32 v65, v62, -1, v22
	v_lshl_add_u32 v64, v62, 2, v25
	v_lshl_add_u32 v65, v65, 2, v26
	ds_read_b32 v64, v64
	ds_read_b32 v65, v65
	v_add_u32_e32 v66, 1, v62
	s_waitcnt lgkmcnt(0)
	v_cmp_lt_i32_e64 s[12:13], v65, v64
	s_nop 1
	v_cndmask_b32_e64 v61, v61, v62, s[12:13]
	v_cndmask_b32_e64 v63, v66, v63, s[12:13]
	v_cmp_ge_i32_e64 s[12:13], v63, v61
	s_or_b64 s[16:17], s[12:13], s[16:17]
	s_andn2_b64 exec, exec, s[16:17]
	s_cbranch_execnz .LBB18_68
; %bb.69:                               ;   in Loop: Header=BB18_2 Depth=1
	s_or_b64 exec, exec, s[16:17]
.LBB18_70:                              ;   in Loop: Header=BB18_2 Depth=1
	s_or_b64 exec, exec, s[14:15]
	v_sub_u32_e32 v65, v29, v63
	v_lshl_add_u32 v68, v63, 2, v25
	v_lshlrev_b32_e32 v67, 2, v65
	ds_read_b32 v61, v68
	ds_read_b32 v62, v67
	v_add_u32_e32 v66, v63, v21
	v_cmp_le_i32_e64 s[14:15], v23, v66
	v_cmp_gt_i32_e64 s[12:13], v24, v65
                                        ; implicit-def: $vgpr63
                                        ; implicit-def: $vgpr64
	s_waitcnt lgkmcnt(0)
	v_cmp_lt_i32_e64 s[16:17], v62, v61
	s_or_b64 s[14:15], s[14:15], s[16:17]
	s_and_b64 s[12:13], s[12:13], s[14:15]
	s_xor_b64 s[14:15], s[12:13], -1
	s_and_saveexec_b64 s[16:17], s[14:15]
	s_xor_b64 s[14:15], exec, s[16:17]
	s_cbranch_execz .LBB18_72
; %bb.71:                               ;   in Loop: Header=BB18_2 Depth=1
	ds_read_b32 v64, v68 offset:4
	v_mov_b32_e32 v63, v62
                                        ; implicit-def: $vgpr67
.LBB18_72:                              ;   in Loop: Header=BB18_2 Depth=1
	s_andn2_saveexec_b64 s[14:15], s[14:15]
	s_cbranch_execz .LBB18_74
; %bb.73:                               ;   in Loop: Header=BB18_2 Depth=1
	ds_read_b32 v63, v67 offset:4
	s_waitcnt lgkmcnt(1)
	v_mov_b32_e32 v64, v61
.LBB18_74:                              ;   in Loop: Header=BB18_2 Depth=1
	s_or_b64 exec, exec, s[14:15]
	v_add_u32_e32 v68, 1, v66
	v_add_u32_e32 v67, 1, v65
	v_cndmask_b32_e64 v68, v68, v66, s[12:13]
	v_cndmask_b32_e64 v67, v65, v67, s[12:13]
	v_cmp_ge_i32_e64 s[16:17], v68, v23
	s_waitcnt lgkmcnt(0)
	v_cmp_lt_i32_e64 s[18:19], v63, v64
	v_cmp_lt_i32_e64 s[14:15], v67, v24
	s_or_b64 s[16:17], s[16:17], s[18:19]
	s_and_b64 s[14:15], s[14:15], s[16:17]
	s_xor_b64 s[16:17], s[14:15], -1
                                        ; implicit-def: $vgpr65
	s_and_saveexec_b64 s[18:19], s[16:17]
	s_xor_b64 s[16:17], exec, s[18:19]
	s_cbranch_execz .LBB18_76
; %bb.75:                               ;   in Loop: Header=BB18_2 Depth=1
	v_lshlrev_b32_e32 v65, 2, v68
	ds_read_b32 v65, v65 offset:4
.LBB18_76:                              ;   in Loop: Header=BB18_2 Depth=1
	s_or_saveexec_b64 s[16:17], s[16:17]
	v_mov_b32_e32 v66, v63
	s_xor_b64 exec, exec, s[16:17]
	s_cbranch_execz .LBB18_78
; %bb.77:                               ;   in Loop: Header=BB18_2 Depth=1
	s_waitcnt lgkmcnt(0)
	v_lshlrev_b32_e32 v65, 2, v67
	ds_read_b32 v66, v65 offset:4
	v_mov_b32_e32 v65, v64
.LBB18_78:                              ;   in Loop: Header=BB18_2 Depth=1
	s_or_b64 exec, exec, s[16:17]
	v_add_u32_e32 v70, 1, v68
	v_add_u32_e32 v69, 1, v67
	v_cndmask_b32_e64 v70, v70, v68, s[14:15]
	v_cndmask_b32_e64 v69, v67, v69, s[14:15]
	v_cmp_ge_i32_e64 s[18:19], v70, v23
	s_waitcnt lgkmcnt(0)
	v_cmp_lt_i32_e64 s[20:21], v66, v65
	v_cmp_lt_i32_e64 s[16:17], v69, v24
	s_or_b64 s[18:19], s[18:19], s[20:21]
	s_and_b64 s[16:17], s[16:17], s[18:19]
	s_xor_b64 s[18:19], s[16:17], -1
                                        ; implicit-def: $vgpr67
	s_and_saveexec_b64 s[20:21], s[18:19]
	s_xor_b64 s[18:19], exec, s[20:21]
	s_cbranch_execz .LBB18_80
; %bb.79:                               ;   in Loop: Header=BB18_2 Depth=1
	v_lshlrev_b32_e32 v67, 2, v70
	ds_read_b32 v67, v67 offset:4
.LBB18_80:                              ;   in Loop: Header=BB18_2 Depth=1
	s_or_saveexec_b64 s[18:19], s[18:19]
	v_mov_b32_e32 v68, v66
	s_xor_b64 exec, exec, s[18:19]
	s_cbranch_execz .LBB18_82
; %bb.81:                               ;   in Loop: Header=BB18_2 Depth=1
	s_waitcnt lgkmcnt(0)
	v_lshlrev_b32_e32 v67, 2, v69
	ds_read_b32 v68, v67 offset:4
	v_mov_b32_e32 v67, v65
.LBB18_82:                              ;   in Loop: Header=BB18_2 Depth=1
	s_or_b64 exec, exec, s[18:19]
	v_add_u32_e32 v72, 1, v70
	v_add_u32_e32 v71, 1, v69
	v_cndmask_b32_e64 v72, v72, v70, s[16:17]
	v_cndmask_b32_e64 v71, v69, v71, s[16:17]
	v_cmp_ge_i32_e64 s[20:21], v72, v23
	s_waitcnt lgkmcnt(0)
	v_cmp_lt_i32_e64 s[22:23], v68, v67
	v_cmp_lt_i32_e64 s[18:19], v71, v24
	s_or_b64 s[20:21], s[20:21], s[22:23]
	s_and_b64 s[18:19], s[18:19], s[20:21]
	s_xor_b64 s[20:21], s[18:19], -1
                                        ; implicit-def: $vgpr69
	s_and_saveexec_b64 s[22:23], s[20:21]
	s_xor_b64 s[20:21], exec, s[22:23]
	s_cbranch_execz .LBB18_84
; %bb.83:                               ;   in Loop: Header=BB18_2 Depth=1
	v_lshlrev_b32_e32 v69, 2, v72
	ds_read_b32 v69, v69 offset:4
.LBB18_84:                              ;   in Loop: Header=BB18_2 Depth=1
	s_or_saveexec_b64 s[20:21], s[20:21]
	v_mov_b32_e32 v70, v68
	s_xor_b64 exec, exec, s[20:21]
	s_cbranch_execz .LBB18_86
; %bb.85:                               ;   in Loop: Header=BB18_2 Depth=1
	s_waitcnt lgkmcnt(0)
	v_lshlrev_b32_e32 v69, 2, v71
	ds_read_b32 v70, v69 offset:4
	v_mov_b32_e32 v69, v67
.LBB18_86:                              ;   in Loop: Header=BB18_2 Depth=1
	s_or_b64 exec, exec, s[20:21]
	v_add_u32_e32 v74, 1, v72
	v_add_u32_e32 v73, 1, v71
	v_cndmask_b32_e64 v74, v74, v72, s[18:19]
	v_cndmask_b32_e64 v73, v71, v73, s[18:19]
	v_cmp_ge_i32_e64 s[22:23], v74, v23
	s_waitcnt lgkmcnt(0)
	v_cmp_lt_i32_e64 s[24:25], v70, v69
	v_cmp_lt_i32_e64 s[20:21], v73, v24
	s_or_b64 s[22:23], s[22:23], s[24:25]
	s_and_b64 s[20:21], s[20:21], s[22:23]
	s_xor_b64 s[22:23], s[20:21], -1
                                        ; implicit-def: $vgpr71
	s_and_saveexec_b64 s[24:25], s[22:23]
	s_xor_b64 s[22:23], exec, s[24:25]
	s_cbranch_execz .LBB18_88
; %bb.87:                               ;   in Loop: Header=BB18_2 Depth=1
	v_lshlrev_b32_e32 v71, 2, v74
	ds_read_b32 v71, v71 offset:4
.LBB18_88:                              ;   in Loop: Header=BB18_2 Depth=1
	s_or_saveexec_b64 s[22:23], s[22:23]
	v_mov_b32_e32 v72, v70
	s_xor_b64 exec, exec, s[22:23]
	s_cbranch_execz .LBB18_90
; %bb.89:                               ;   in Loop: Header=BB18_2 Depth=1
	s_waitcnt lgkmcnt(0)
	v_lshlrev_b32_e32 v71, 2, v73
	ds_read_b32 v72, v71 offset:4
	v_mov_b32_e32 v71, v69
.LBB18_90:                              ;   in Loop: Header=BB18_2 Depth=1
	s_or_b64 exec, exec, s[22:23]
	v_add_u32_e32 v76, 1, v74
	v_add_u32_e32 v75, 1, v73
	v_cndmask_b32_e64 v76, v76, v74, s[20:21]
	v_cndmask_b32_e64 v75, v73, v75, s[20:21]
	v_cmp_ge_i32_e64 s[24:25], v76, v23
	s_waitcnt lgkmcnt(0)
	v_cmp_lt_i32_e64 s[26:27], v72, v71
	v_cmp_lt_i32_e64 s[22:23], v75, v24
	s_or_b64 s[24:25], s[24:25], s[26:27]
	s_and_b64 s[22:23], s[22:23], s[24:25]
	s_xor_b64 s[24:25], s[22:23], -1
                                        ; implicit-def: $vgpr73
	s_and_saveexec_b64 s[26:27], s[24:25]
	s_xor_b64 s[24:25], exec, s[26:27]
	s_cbranch_execz .LBB18_92
; %bb.91:                               ;   in Loop: Header=BB18_2 Depth=1
	v_lshlrev_b32_e32 v73, 2, v76
	ds_read_b32 v73, v73 offset:4
.LBB18_92:                              ;   in Loop: Header=BB18_2 Depth=1
	s_or_saveexec_b64 s[24:25], s[24:25]
	v_mov_b32_e32 v74, v72
	s_xor_b64 exec, exec, s[24:25]
	s_cbranch_execz .LBB18_94
; %bb.93:                               ;   in Loop: Header=BB18_2 Depth=1
	s_waitcnt lgkmcnt(0)
	v_lshlrev_b32_e32 v73, 2, v75
	ds_read_b32 v74, v73 offset:4
	v_mov_b32_e32 v73, v71
.LBB18_94:                              ;   in Loop: Header=BB18_2 Depth=1
	s_or_b64 exec, exec, s[24:25]
	v_add_u32_e32 v78, 1, v76
	v_add_u32_e32 v77, 1, v75
	v_cndmask_b32_e64 v76, v78, v76, s[22:23]
	v_cndmask_b32_e64 v75, v75, v77, s[22:23]
	v_cmp_ge_i32_e64 s[26:27], v76, v23
	s_waitcnt lgkmcnt(0)
	v_cmp_lt_i32_e64 s[28:29], v74, v73
	v_cmp_lt_i32_e64 s[24:25], v75, v24
	s_or_b64 s[26:27], s[26:27], s[28:29]
	s_and_b64 s[24:25], s[24:25], s[26:27]
	s_xor_b64 s[26:27], s[24:25], -1
                                        ; implicit-def: $vgpr77
	s_and_saveexec_b64 s[28:29], s[26:27]
	s_xor_b64 s[26:27], exec, s[28:29]
	s_cbranch_execz .LBB18_96
; %bb.95:                               ;   in Loop: Header=BB18_2 Depth=1
	v_lshlrev_b32_e32 v77, 2, v76
	ds_read_b32 v77, v77 offset:4
.LBB18_96:                              ;   in Loop: Header=BB18_2 Depth=1
	s_or_saveexec_b64 s[26:27], s[26:27]
	v_mov_b32_e32 v78, v74
	s_xor_b64 exec, exec, s[26:27]
	s_cbranch_execz .LBB18_98
; %bb.97:                               ;   in Loop: Header=BB18_2 Depth=1
	s_waitcnt lgkmcnt(0)
	v_lshlrev_b32_e32 v77, 2, v75
	ds_read_b32 v78, v77 offset:4
	v_mov_b32_e32 v77, v73
.LBB18_98:                              ;   in Loop: Header=BB18_2 Depth=1
	s_or_b64 exec, exec, s[26:27]
	v_cndmask_b32_e64 v73, v73, v74, s[24:25]
	v_add_u32_e32 v74, 1, v75
	v_add_u32_e32 v79, 1, v76
	v_cndmask_b32_e64 v74, v75, v74, s[24:25]
	v_cndmask_b32_e64 v75, v79, v76, s[24:25]
	;; [unrolled: 1-line block ×4, first 2 shown]
	v_cmp_ge_i32_e64 s[14:15], v75, v23
	s_waitcnt lgkmcnt(0)
	v_cmp_lt_i32_e64 s[16:17], v78, v77
	v_cndmask_b32_e64 v61, v61, v62, s[12:13]
	v_cmp_lt_i32_e64 s[12:13], v74, v24
	s_or_b64 s[14:15], s[14:15], s[16:17]
	s_and_b64 s[12:13], s[12:13], s[14:15]
	v_cndmask_b32_e64 v71, v71, v72, s[22:23]
	v_cndmask_b32_e64 v69, v69, v70, s[20:21]
	v_cndmask_b32_e64 v67, v67, v68, s[18:19]
	v_cndmask_b32_e64 v62, v77, v78, s[12:13]
	s_barrier
	ds_write2_b32 v2, v61, v63 offset1:1
	ds_write2_b32 v2, v65, v67 offset0:2 offset1:3
	ds_write2_b32 v2, v69, v71 offset0:4 offset1:5
	ds_write2_b32 v2, v73, v62 offset0:6 offset1:7
	v_mov_b32_e32 v63, v34
	s_waitcnt lgkmcnt(0)
	s_barrier
	s_and_saveexec_b64 s[14:15], s[4:5]
	s_cbranch_execz .LBB18_102
; %bb.99:                               ;   in Loop: Header=BB18_2 Depth=1
	s_mov_b64 s[16:17], 0
	v_mov_b32_e32 v63, v34
	v_mov_b32_e32 v61, v35
.LBB18_100:                             ;   Parent Loop BB18_2 Depth=1
                                        ; =>  This Inner Loop Header: Depth=2
	v_sub_u32_e32 v62, v61, v63
	v_lshrrev_b32_e32 v64, 31, v62
	v_add_u32_e32 v62, v62, v64
	v_ashrrev_i32_e32 v62, 1, v62
	v_add_u32_e32 v62, v62, v63
	v_xad_u32 v65, v62, -1, v31
	v_lshl_add_u32 v64, v62, 2, v51
	v_lshl_add_u32 v65, v65, 2, v52
	ds_read_b32 v64, v64
	ds_read_b32 v65, v65
	v_add_u32_e32 v66, 1, v62
	s_waitcnt lgkmcnt(0)
	v_cmp_lt_i32_e64 s[12:13], v65, v64
	s_nop 1
	v_cndmask_b32_e64 v61, v61, v62, s[12:13]
	v_cndmask_b32_e64 v63, v66, v63, s[12:13]
	v_cmp_ge_i32_e64 s[12:13], v63, v61
	s_or_b64 s[16:17], s[12:13], s[16:17]
	s_andn2_b64 exec, exec, s[16:17]
	s_cbranch_execnz .LBB18_100
; %bb.101:                              ;   in Loop: Header=BB18_2 Depth=1
	s_or_b64 exec, exec, s[16:17]
.LBB18_102:                             ;   in Loop: Header=BB18_2 Depth=1
	s_or_b64 exec, exec, s[14:15]
	v_sub_u32_e32 v65, v53, v63
	v_lshl_add_u32 v68, v63, 2, v51
	v_lshlrev_b32_e32 v67, 2, v65
	ds_read_b32 v61, v68
	ds_read_b32 v62, v67
	v_add_u32_e32 v66, v63, v30
	v_cmp_le_i32_e64 s[14:15], v32, v66
	v_cmp_gt_i32_e64 s[12:13], v33, v65
                                        ; implicit-def: $vgpr63
                                        ; implicit-def: $vgpr64
	s_waitcnt lgkmcnt(0)
	v_cmp_lt_i32_e64 s[16:17], v62, v61
	s_or_b64 s[14:15], s[14:15], s[16:17]
	s_and_b64 s[12:13], s[12:13], s[14:15]
	s_xor_b64 s[14:15], s[12:13], -1
	s_and_saveexec_b64 s[16:17], s[14:15]
	s_xor_b64 s[14:15], exec, s[16:17]
	s_cbranch_execz .LBB18_104
; %bb.103:                              ;   in Loop: Header=BB18_2 Depth=1
	ds_read_b32 v64, v68 offset:4
	v_mov_b32_e32 v63, v62
                                        ; implicit-def: $vgpr67
.LBB18_104:                             ;   in Loop: Header=BB18_2 Depth=1
	s_andn2_saveexec_b64 s[14:15], s[14:15]
	s_cbranch_execz .LBB18_106
; %bb.105:                              ;   in Loop: Header=BB18_2 Depth=1
	ds_read_b32 v63, v67 offset:4
	s_waitcnt lgkmcnt(1)
	v_mov_b32_e32 v64, v61
.LBB18_106:                             ;   in Loop: Header=BB18_2 Depth=1
	s_or_b64 exec, exec, s[14:15]
	v_add_u32_e32 v68, 1, v66
	v_add_u32_e32 v67, 1, v65
	v_cndmask_b32_e64 v68, v68, v66, s[12:13]
	v_cndmask_b32_e64 v67, v65, v67, s[12:13]
	v_cmp_ge_i32_e64 s[16:17], v68, v32
	s_waitcnt lgkmcnt(0)
	v_cmp_lt_i32_e64 s[18:19], v63, v64
	v_cmp_lt_i32_e64 s[14:15], v67, v33
	s_or_b64 s[16:17], s[16:17], s[18:19]
	s_and_b64 s[14:15], s[14:15], s[16:17]
	s_xor_b64 s[16:17], s[14:15], -1
                                        ; implicit-def: $vgpr65
	s_and_saveexec_b64 s[18:19], s[16:17]
	s_xor_b64 s[16:17], exec, s[18:19]
	s_cbranch_execz .LBB18_108
; %bb.107:                              ;   in Loop: Header=BB18_2 Depth=1
	v_lshlrev_b32_e32 v65, 2, v68
	ds_read_b32 v65, v65 offset:4
.LBB18_108:                             ;   in Loop: Header=BB18_2 Depth=1
	s_or_saveexec_b64 s[16:17], s[16:17]
	v_mov_b32_e32 v66, v63
	s_xor_b64 exec, exec, s[16:17]
	s_cbranch_execz .LBB18_110
; %bb.109:                              ;   in Loop: Header=BB18_2 Depth=1
	s_waitcnt lgkmcnt(0)
	v_lshlrev_b32_e32 v65, 2, v67
	ds_read_b32 v66, v65 offset:4
	v_mov_b32_e32 v65, v64
.LBB18_110:                             ;   in Loop: Header=BB18_2 Depth=1
	s_or_b64 exec, exec, s[16:17]
	v_add_u32_e32 v70, 1, v68
	v_add_u32_e32 v69, 1, v67
	v_cndmask_b32_e64 v70, v70, v68, s[14:15]
	v_cndmask_b32_e64 v69, v67, v69, s[14:15]
	v_cmp_ge_i32_e64 s[18:19], v70, v32
	s_waitcnt lgkmcnt(0)
	v_cmp_lt_i32_e64 s[20:21], v66, v65
	v_cmp_lt_i32_e64 s[16:17], v69, v33
	s_or_b64 s[18:19], s[18:19], s[20:21]
	s_and_b64 s[16:17], s[16:17], s[18:19]
	s_xor_b64 s[18:19], s[16:17], -1
                                        ; implicit-def: $vgpr67
	s_and_saveexec_b64 s[20:21], s[18:19]
	s_xor_b64 s[18:19], exec, s[20:21]
	s_cbranch_execz .LBB18_112
; %bb.111:                              ;   in Loop: Header=BB18_2 Depth=1
	v_lshlrev_b32_e32 v67, 2, v70
	ds_read_b32 v67, v67 offset:4
.LBB18_112:                             ;   in Loop: Header=BB18_2 Depth=1
	s_or_saveexec_b64 s[18:19], s[18:19]
	v_mov_b32_e32 v68, v66
	s_xor_b64 exec, exec, s[18:19]
	s_cbranch_execz .LBB18_114
; %bb.113:                              ;   in Loop: Header=BB18_2 Depth=1
	s_waitcnt lgkmcnt(0)
	v_lshlrev_b32_e32 v67, 2, v69
	ds_read_b32 v68, v67 offset:4
	v_mov_b32_e32 v67, v65
.LBB18_114:                             ;   in Loop: Header=BB18_2 Depth=1
	s_or_b64 exec, exec, s[18:19]
	v_add_u32_e32 v72, 1, v70
	v_add_u32_e32 v71, 1, v69
	v_cndmask_b32_e64 v72, v72, v70, s[16:17]
	v_cndmask_b32_e64 v71, v69, v71, s[16:17]
	v_cmp_ge_i32_e64 s[20:21], v72, v32
	s_waitcnt lgkmcnt(0)
	v_cmp_lt_i32_e64 s[22:23], v68, v67
	v_cmp_lt_i32_e64 s[18:19], v71, v33
	s_or_b64 s[20:21], s[20:21], s[22:23]
	s_and_b64 s[18:19], s[18:19], s[20:21]
	s_xor_b64 s[20:21], s[18:19], -1
                                        ; implicit-def: $vgpr69
	s_and_saveexec_b64 s[22:23], s[20:21]
	s_xor_b64 s[20:21], exec, s[22:23]
	s_cbranch_execz .LBB18_116
; %bb.115:                              ;   in Loop: Header=BB18_2 Depth=1
	v_lshlrev_b32_e32 v69, 2, v72
	ds_read_b32 v69, v69 offset:4
.LBB18_116:                             ;   in Loop: Header=BB18_2 Depth=1
	s_or_saveexec_b64 s[20:21], s[20:21]
	v_mov_b32_e32 v70, v68
	s_xor_b64 exec, exec, s[20:21]
	s_cbranch_execz .LBB18_118
; %bb.117:                              ;   in Loop: Header=BB18_2 Depth=1
	s_waitcnt lgkmcnt(0)
	v_lshlrev_b32_e32 v69, 2, v71
	ds_read_b32 v70, v69 offset:4
	v_mov_b32_e32 v69, v67
.LBB18_118:                             ;   in Loop: Header=BB18_2 Depth=1
	s_or_b64 exec, exec, s[20:21]
	v_add_u32_e32 v74, 1, v72
	v_add_u32_e32 v73, 1, v71
	v_cndmask_b32_e64 v74, v74, v72, s[18:19]
	v_cndmask_b32_e64 v73, v71, v73, s[18:19]
	v_cmp_ge_i32_e64 s[22:23], v74, v32
	s_waitcnt lgkmcnt(0)
	v_cmp_lt_i32_e64 s[24:25], v70, v69
	v_cmp_lt_i32_e64 s[20:21], v73, v33
	s_or_b64 s[22:23], s[22:23], s[24:25]
	s_and_b64 s[20:21], s[20:21], s[22:23]
	s_xor_b64 s[22:23], s[20:21], -1
                                        ; implicit-def: $vgpr71
	s_and_saveexec_b64 s[24:25], s[22:23]
	s_xor_b64 s[22:23], exec, s[24:25]
	s_cbranch_execz .LBB18_120
; %bb.119:                              ;   in Loop: Header=BB18_2 Depth=1
	v_lshlrev_b32_e32 v71, 2, v74
	ds_read_b32 v71, v71 offset:4
.LBB18_120:                             ;   in Loop: Header=BB18_2 Depth=1
	s_or_saveexec_b64 s[22:23], s[22:23]
	v_mov_b32_e32 v72, v70
	s_xor_b64 exec, exec, s[22:23]
	s_cbranch_execz .LBB18_122
; %bb.121:                              ;   in Loop: Header=BB18_2 Depth=1
	s_waitcnt lgkmcnt(0)
	v_lshlrev_b32_e32 v71, 2, v73
	ds_read_b32 v72, v71 offset:4
	v_mov_b32_e32 v71, v69
.LBB18_122:                             ;   in Loop: Header=BB18_2 Depth=1
	s_or_b64 exec, exec, s[22:23]
	v_add_u32_e32 v76, 1, v74
	v_add_u32_e32 v75, 1, v73
	v_cndmask_b32_e64 v76, v76, v74, s[20:21]
	v_cndmask_b32_e64 v75, v73, v75, s[20:21]
	v_cmp_ge_i32_e64 s[24:25], v76, v32
	s_waitcnt lgkmcnt(0)
	v_cmp_lt_i32_e64 s[26:27], v72, v71
	v_cmp_lt_i32_e64 s[22:23], v75, v33
	s_or_b64 s[24:25], s[24:25], s[26:27]
	s_and_b64 s[22:23], s[22:23], s[24:25]
	s_xor_b64 s[24:25], s[22:23], -1
                                        ; implicit-def: $vgpr73
	s_and_saveexec_b64 s[26:27], s[24:25]
	s_xor_b64 s[24:25], exec, s[26:27]
	s_cbranch_execz .LBB18_124
; %bb.123:                              ;   in Loop: Header=BB18_2 Depth=1
	v_lshlrev_b32_e32 v73, 2, v76
	ds_read_b32 v73, v73 offset:4
.LBB18_124:                             ;   in Loop: Header=BB18_2 Depth=1
	s_or_saveexec_b64 s[24:25], s[24:25]
	v_mov_b32_e32 v74, v72
	s_xor_b64 exec, exec, s[24:25]
	s_cbranch_execz .LBB18_126
; %bb.125:                              ;   in Loop: Header=BB18_2 Depth=1
	s_waitcnt lgkmcnt(0)
	v_lshlrev_b32_e32 v73, 2, v75
	ds_read_b32 v74, v73 offset:4
	v_mov_b32_e32 v73, v71
.LBB18_126:                             ;   in Loop: Header=BB18_2 Depth=1
	s_or_b64 exec, exec, s[24:25]
	v_add_u32_e32 v78, 1, v76
	v_add_u32_e32 v77, 1, v75
	v_cndmask_b32_e64 v76, v78, v76, s[22:23]
	v_cndmask_b32_e64 v75, v75, v77, s[22:23]
	v_cmp_ge_i32_e64 s[26:27], v76, v32
	s_waitcnt lgkmcnt(0)
	v_cmp_lt_i32_e64 s[28:29], v74, v73
	v_cmp_lt_i32_e64 s[24:25], v75, v33
	s_or_b64 s[26:27], s[26:27], s[28:29]
	s_and_b64 s[24:25], s[24:25], s[26:27]
	s_xor_b64 s[26:27], s[24:25], -1
                                        ; implicit-def: $vgpr77
	s_and_saveexec_b64 s[28:29], s[26:27]
	s_xor_b64 s[26:27], exec, s[28:29]
	s_cbranch_execz .LBB18_128
; %bb.127:                              ;   in Loop: Header=BB18_2 Depth=1
	v_lshlrev_b32_e32 v77, 2, v76
	ds_read_b32 v77, v77 offset:4
.LBB18_128:                             ;   in Loop: Header=BB18_2 Depth=1
	s_or_saveexec_b64 s[26:27], s[26:27]
	v_mov_b32_e32 v78, v74
	s_xor_b64 exec, exec, s[26:27]
	s_cbranch_execz .LBB18_130
; %bb.129:                              ;   in Loop: Header=BB18_2 Depth=1
	s_waitcnt lgkmcnt(0)
	v_lshlrev_b32_e32 v77, 2, v75
	ds_read_b32 v78, v77 offset:4
	v_mov_b32_e32 v77, v73
.LBB18_130:                             ;   in Loop: Header=BB18_2 Depth=1
	s_or_b64 exec, exec, s[26:27]
	v_cndmask_b32_e64 v73, v73, v74, s[24:25]
	v_add_u32_e32 v74, 1, v75
	v_add_u32_e32 v79, 1, v76
	v_cndmask_b32_e64 v74, v75, v74, s[24:25]
	v_cndmask_b32_e64 v75, v79, v76, s[24:25]
	;; [unrolled: 1-line block ×4, first 2 shown]
	v_cmp_ge_i32_e64 s[14:15], v75, v32
	s_waitcnt lgkmcnt(0)
	v_cmp_lt_i32_e64 s[16:17], v78, v77
	v_cndmask_b32_e64 v61, v61, v62, s[12:13]
	v_cmp_lt_i32_e64 s[12:13], v74, v33
	s_or_b64 s[14:15], s[14:15], s[16:17]
	s_and_b64 s[12:13], s[12:13], s[14:15]
	v_cndmask_b32_e64 v71, v71, v72, s[22:23]
	v_cndmask_b32_e64 v69, v69, v70, s[20:21]
	;; [unrolled: 1-line block ×4, first 2 shown]
	s_barrier
	ds_write2_b32 v2, v61, v63 offset1:1
	ds_write2_b32 v2, v65, v67 offset0:2 offset1:3
	ds_write2_b32 v2, v69, v71 offset0:4 offset1:5
	;; [unrolled: 1-line block ×3, first 2 shown]
	v_mov_b32_e32 v63, v40
	s_waitcnt lgkmcnt(0)
	s_barrier
	s_and_saveexec_b64 s[14:15], s[6:7]
	s_cbranch_execz .LBB18_134
; %bb.131:                              ;   in Loop: Header=BB18_2 Depth=1
	s_mov_b64 s[16:17], 0
	v_mov_b32_e32 v63, v40
	v_mov_b32_e32 v61, v41
.LBB18_132:                             ;   Parent Loop BB18_2 Depth=1
                                        ; =>  This Inner Loop Header: Depth=2
	v_sub_u32_e32 v62, v61, v63
	v_lshrrev_b32_e32 v64, 31, v62
	v_add_u32_e32 v62, v62, v64
	v_ashrrev_i32_e32 v62, 1, v62
	v_add_u32_e32 v62, v62, v63
	v_xad_u32 v65, v62, -1, v37
	v_lshl_add_u32 v64, v62, 2, v54
	v_lshl_add_u32 v65, v65, 2, v55
	ds_read_b32 v64, v64
	ds_read_b32 v65, v65
	v_add_u32_e32 v66, 1, v62
	s_waitcnt lgkmcnt(0)
	v_cmp_lt_i32_e64 s[12:13], v65, v64
	s_nop 1
	v_cndmask_b32_e64 v61, v61, v62, s[12:13]
	v_cndmask_b32_e64 v63, v66, v63, s[12:13]
	v_cmp_ge_i32_e64 s[12:13], v63, v61
	s_or_b64 s[16:17], s[12:13], s[16:17]
	s_andn2_b64 exec, exec, s[16:17]
	s_cbranch_execnz .LBB18_132
; %bb.133:                              ;   in Loop: Header=BB18_2 Depth=1
	s_or_b64 exec, exec, s[16:17]
.LBB18_134:                             ;   in Loop: Header=BB18_2 Depth=1
	s_or_b64 exec, exec, s[14:15]
	v_sub_u32_e32 v65, v56, v63
	v_lshl_add_u32 v68, v63, 2, v54
	v_lshlrev_b32_e32 v67, 2, v65
	ds_read_b32 v61, v68
	ds_read_b32 v62, v67
	v_add_u32_e32 v66, v63, v36
	v_cmp_le_i32_e64 s[14:15], v38, v66
	v_cmp_gt_i32_e64 s[12:13], v39, v65
                                        ; implicit-def: $vgpr63
                                        ; implicit-def: $vgpr64
	s_waitcnt lgkmcnt(0)
	v_cmp_lt_i32_e64 s[16:17], v62, v61
	s_or_b64 s[14:15], s[14:15], s[16:17]
	s_and_b64 s[12:13], s[12:13], s[14:15]
	s_xor_b64 s[14:15], s[12:13], -1
	s_and_saveexec_b64 s[16:17], s[14:15]
	s_xor_b64 s[14:15], exec, s[16:17]
	s_cbranch_execz .LBB18_136
; %bb.135:                              ;   in Loop: Header=BB18_2 Depth=1
	ds_read_b32 v64, v68 offset:4
	v_mov_b32_e32 v63, v62
                                        ; implicit-def: $vgpr67
.LBB18_136:                             ;   in Loop: Header=BB18_2 Depth=1
	s_andn2_saveexec_b64 s[14:15], s[14:15]
	s_cbranch_execz .LBB18_138
; %bb.137:                              ;   in Loop: Header=BB18_2 Depth=1
	ds_read_b32 v63, v67 offset:4
	s_waitcnt lgkmcnt(1)
	v_mov_b32_e32 v64, v61
.LBB18_138:                             ;   in Loop: Header=BB18_2 Depth=1
	s_or_b64 exec, exec, s[14:15]
	v_add_u32_e32 v68, 1, v66
	v_add_u32_e32 v67, 1, v65
	v_cndmask_b32_e64 v68, v68, v66, s[12:13]
	v_cndmask_b32_e64 v67, v65, v67, s[12:13]
	v_cmp_ge_i32_e64 s[16:17], v68, v38
	s_waitcnt lgkmcnt(0)
	v_cmp_lt_i32_e64 s[18:19], v63, v64
	v_cmp_lt_i32_e64 s[14:15], v67, v39
	s_or_b64 s[16:17], s[16:17], s[18:19]
	s_and_b64 s[14:15], s[14:15], s[16:17]
	s_xor_b64 s[16:17], s[14:15], -1
                                        ; implicit-def: $vgpr65
	s_and_saveexec_b64 s[18:19], s[16:17]
	s_xor_b64 s[16:17], exec, s[18:19]
	s_cbranch_execz .LBB18_140
; %bb.139:                              ;   in Loop: Header=BB18_2 Depth=1
	v_lshlrev_b32_e32 v65, 2, v68
	ds_read_b32 v65, v65 offset:4
.LBB18_140:                             ;   in Loop: Header=BB18_2 Depth=1
	s_or_saveexec_b64 s[16:17], s[16:17]
	v_mov_b32_e32 v66, v63
	s_xor_b64 exec, exec, s[16:17]
	s_cbranch_execz .LBB18_142
; %bb.141:                              ;   in Loop: Header=BB18_2 Depth=1
	s_waitcnt lgkmcnt(0)
	v_lshlrev_b32_e32 v65, 2, v67
	ds_read_b32 v66, v65 offset:4
	v_mov_b32_e32 v65, v64
.LBB18_142:                             ;   in Loop: Header=BB18_2 Depth=1
	s_or_b64 exec, exec, s[16:17]
	v_add_u32_e32 v70, 1, v68
	v_add_u32_e32 v69, 1, v67
	v_cndmask_b32_e64 v70, v70, v68, s[14:15]
	v_cndmask_b32_e64 v69, v67, v69, s[14:15]
	v_cmp_ge_i32_e64 s[18:19], v70, v38
	s_waitcnt lgkmcnt(0)
	v_cmp_lt_i32_e64 s[20:21], v66, v65
	v_cmp_lt_i32_e64 s[16:17], v69, v39
	s_or_b64 s[18:19], s[18:19], s[20:21]
	s_and_b64 s[16:17], s[16:17], s[18:19]
	s_xor_b64 s[18:19], s[16:17], -1
                                        ; implicit-def: $vgpr67
	s_and_saveexec_b64 s[20:21], s[18:19]
	s_xor_b64 s[18:19], exec, s[20:21]
	s_cbranch_execz .LBB18_144
; %bb.143:                              ;   in Loop: Header=BB18_2 Depth=1
	v_lshlrev_b32_e32 v67, 2, v70
	ds_read_b32 v67, v67 offset:4
.LBB18_144:                             ;   in Loop: Header=BB18_2 Depth=1
	s_or_saveexec_b64 s[18:19], s[18:19]
	v_mov_b32_e32 v68, v66
	s_xor_b64 exec, exec, s[18:19]
	s_cbranch_execz .LBB18_146
; %bb.145:                              ;   in Loop: Header=BB18_2 Depth=1
	s_waitcnt lgkmcnt(0)
	v_lshlrev_b32_e32 v67, 2, v69
	ds_read_b32 v68, v67 offset:4
	v_mov_b32_e32 v67, v65
.LBB18_146:                             ;   in Loop: Header=BB18_2 Depth=1
	s_or_b64 exec, exec, s[18:19]
	v_add_u32_e32 v72, 1, v70
	v_add_u32_e32 v71, 1, v69
	v_cndmask_b32_e64 v72, v72, v70, s[16:17]
	v_cndmask_b32_e64 v71, v69, v71, s[16:17]
	v_cmp_ge_i32_e64 s[20:21], v72, v38
	s_waitcnt lgkmcnt(0)
	v_cmp_lt_i32_e64 s[22:23], v68, v67
	v_cmp_lt_i32_e64 s[18:19], v71, v39
	s_or_b64 s[20:21], s[20:21], s[22:23]
	s_and_b64 s[18:19], s[18:19], s[20:21]
	s_xor_b64 s[20:21], s[18:19], -1
                                        ; implicit-def: $vgpr69
	s_and_saveexec_b64 s[22:23], s[20:21]
	s_xor_b64 s[20:21], exec, s[22:23]
	s_cbranch_execz .LBB18_148
; %bb.147:                              ;   in Loop: Header=BB18_2 Depth=1
	v_lshlrev_b32_e32 v69, 2, v72
	ds_read_b32 v69, v69 offset:4
.LBB18_148:                             ;   in Loop: Header=BB18_2 Depth=1
	s_or_saveexec_b64 s[20:21], s[20:21]
	v_mov_b32_e32 v70, v68
	s_xor_b64 exec, exec, s[20:21]
	s_cbranch_execz .LBB18_150
; %bb.149:                              ;   in Loop: Header=BB18_2 Depth=1
	s_waitcnt lgkmcnt(0)
	v_lshlrev_b32_e32 v69, 2, v71
	ds_read_b32 v70, v69 offset:4
	v_mov_b32_e32 v69, v67
.LBB18_150:                             ;   in Loop: Header=BB18_2 Depth=1
	s_or_b64 exec, exec, s[20:21]
	v_add_u32_e32 v74, 1, v72
	v_add_u32_e32 v73, 1, v71
	v_cndmask_b32_e64 v74, v74, v72, s[18:19]
	v_cndmask_b32_e64 v73, v71, v73, s[18:19]
	v_cmp_ge_i32_e64 s[22:23], v74, v38
	s_waitcnt lgkmcnt(0)
	v_cmp_lt_i32_e64 s[24:25], v70, v69
	v_cmp_lt_i32_e64 s[20:21], v73, v39
	s_or_b64 s[22:23], s[22:23], s[24:25]
	s_and_b64 s[20:21], s[20:21], s[22:23]
	s_xor_b64 s[22:23], s[20:21], -1
                                        ; implicit-def: $vgpr71
	s_and_saveexec_b64 s[24:25], s[22:23]
	s_xor_b64 s[22:23], exec, s[24:25]
	s_cbranch_execz .LBB18_152
; %bb.151:                              ;   in Loop: Header=BB18_2 Depth=1
	v_lshlrev_b32_e32 v71, 2, v74
	ds_read_b32 v71, v71 offset:4
.LBB18_152:                             ;   in Loop: Header=BB18_2 Depth=1
	s_or_saveexec_b64 s[22:23], s[22:23]
	v_mov_b32_e32 v72, v70
	s_xor_b64 exec, exec, s[22:23]
	s_cbranch_execz .LBB18_154
; %bb.153:                              ;   in Loop: Header=BB18_2 Depth=1
	s_waitcnt lgkmcnt(0)
	v_lshlrev_b32_e32 v71, 2, v73
	ds_read_b32 v72, v71 offset:4
	v_mov_b32_e32 v71, v69
.LBB18_154:                             ;   in Loop: Header=BB18_2 Depth=1
	s_or_b64 exec, exec, s[22:23]
	v_add_u32_e32 v76, 1, v74
	v_add_u32_e32 v75, 1, v73
	v_cndmask_b32_e64 v76, v76, v74, s[20:21]
	v_cndmask_b32_e64 v75, v73, v75, s[20:21]
	v_cmp_ge_i32_e64 s[24:25], v76, v38
	s_waitcnt lgkmcnt(0)
	v_cmp_lt_i32_e64 s[26:27], v72, v71
	v_cmp_lt_i32_e64 s[22:23], v75, v39
	s_or_b64 s[24:25], s[24:25], s[26:27]
	s_and_b64 s[22:23], s[22:23], s[24:25]
	s_xor_b64 s[24:25], s[22:23], -1
                                        ; implicit-def: $vgpr73
	s_and_saveexec_b64 s[26:27], s[24:25]
	s_xor_b64 s[24:25], exec, s[26:27]
	s_cbranch_execz .LBB18_156
; %bb.155:                              ;   in Loop: Header=BB18_2 Depth=1
	v_lshlrev_b32_e32 v73, 2, v76
	ds_read_b32 v73, v73 offset:4
.LBB18_156:                             ;   in Loop: Header=BB18_2 Depth=1
	s_or_saveexec_b64 s[24:25], s[24:25]
	v_mov_b32_e32 v74, v72
	s_xor_b64 exec, exec, s[24:25]
	s_cbranch_execz .LBB18_158
; %bb.157:                              ;   in Loop: Header=BB18_2 Depth=1
	s_waitcnt lgkmcnt(0)
	v_lshlrev_b32_e32 v73, 2, v75
	ds_read_b32 v74, v73 offset:4
	v_mov_b32_e32 v73, v71
.LBB18_158:                             ;   in Loop: Header=BB18_2 Depth=1
	s_or_b64 exec, exec, s[24:25]
	v_add_u32_e32 v78, 1, v76
	v_add_u32_e32 v77, 1, v75
	v_cndmask_b32_e64 v76, v78, v76, s[22:23]
	v_cndmask_b32_e64 v75, v75, v77, s[22:23]
	v_cmp_ge_i32_e64 s[26:27], v76, v38
	s_waitcnt lgkmcnt(0)
	v_cmp_lt_i32_e64 s[28:29], v74, v73
	v_cmp_lt_i32_e64 s[24:25], v75, v39
	s_or_b64 s[26:27], s[26:27], s[28:29]
	s_and_b64 s[24:25], s[24:25], s[26:27]
	s_xor_b64 s[26:27], s[24:25], -1
                                        ; implicit-def: $vgpr77
	s_and_saveexec_b64 s[28:29], s[26:27]
	s_xor_b64 s[26:27], exec, s[28:29]
	s_cbranch_execz .LBB18_160
; %bb.159:                              ;   in Loop: Header=BB18_2 Depth=1
	v_lshlrev_b32_e32 v77, 2, v76
	ds_read_b32 v77, v77 offset:4
.LBB18_160:                             ;   in Loop: Header=BB18_2 Depth=1
	s_or_saveexec_b64 s[26:27], s[26:27]
	v_mov_b32_e32 v78, v74
	s_xor_b64 exec, exec, s[26:27]
	s_cbranch_execz .LBB18_162
; %bb.161:                              ;   in Loop: Header=BB18_2 Depth=1
	s_waitcnt lgkmcnt(0)
	v_lshlrev_b32_e32 v77, 2, v75
	ds_read_b32 v78, v77 offset:4
	v_mov_b32_e32 v77, v73
.LBB18_162:                             ;   in Loop: Header=BB18_2 Depth=1
	s_or_b64 exec, exec, s[26:27]
	v_cndmask_b32_e64 v73, v73, v74, s[24:25]
	v_add_u32_e32 v74, 1, v75
	v_add_u32_e32 v79, 1, v76
	v_cndmask_b32_e64 v74, v75, v74, s[24:25]
	v_cndmask_b32_e64 v75, v79, v76, s[24:25]
	;; [unrolled: 1-line block ×4, first 2 shown]
	v_cmp_ge_i32_e64 s[14:15], v75, v38
	s_waitcnt lgkmcnt(0)
	v_cmp_lt_i32_e64 s[16:17], v78, v77
	v_cndmask_b32_e64 v61, v61, v62, s[12:13]
	v_cmp_lt_i32_e64 s[12:13], v74, v39
	s_or_b64 s[14:15], s[14:15], s[16:17]
	s_and_b64 s[12:13], s[12:13], s[14:15]
	v_cndmask_b32_e64 v71, v71, v72, s[22:23]
	v_cndmask_b32_e64 v69, v69, v70, s[20:21]
	;; [unrolled: 1-line block ×4, first 2 shown]
	s_barrier
	ds_write2_b32 v2, v61, v63 offset1:1
	ds_write2_b32 v2, v65, v67 offset0:2 offset1:3
	ds_write2_b32 v2, v69, v71 offset0:4 offset1:5
	;; [unrolled: 1-line block ×3, first 2 shown]
	v_mov_b32_e32 v63, v47
	s_waitcnt lgkmcnt(0)
	s_barrier
	s_and_saveexec_b64 s[14:15], s[8:9]
	s_cbranch_execz .LBB18_166
; %bb.163:                              ;   in Loop: Header=BB18_2 Depth=1
	s_mov_b64 s[16:17], 0
	v_mov_b32_e32 v63, v47
	v_mov_b32_e32 v61, v48
.LBB18_164:                             ;   Parent Loop BB18_2 Depth=1
                                        ; =>  This Inner Loop Header: Depth=2
	v_sub_u32_e32 v62, v61, v63
	v_lshrrev_b32_e32 v64, 31, v62
	v_add_u32_e32 v62, v62, v64
	v_ashrrev_i32_e32 v62, 1, v62
	v_add_u32_e32 v62, v62, v63
	v_xad_u32 v65, v62, -1, v44
	v_lshl_add_u32 v64, v62, 2, v57
	v_lshl_add_u32 v65, v65, 2, v58
	ds_read_b32 v64, v64
	ds_read_b32 v65, v65
	v_add_u32_e32 v66, 1, v62
	s_waitcnt lgkmcnt(0)
	v_cmp_lt_i32_e64 s[12:13], v65, v64
	s_nop 1
	v_cndmask_b32_e64 v61, v61, v62, s[12:13]
	v_cndmask_b32_e64 v63, v66, v63, s[12:13]
	v_cmp_ge_i32_e64 s[12:13], v63, v61
	s_or_b64 s[16:17], s[12:13], s[16:17]
	s_andn2_b64 exec, exec, s[16:17]
	s_cbranch_execnz .LBB18_164
; %bb.165:                              ;   in Loop: Header=BB18_2 Depth=1
	s_or_b64 exec, exec, s[16:17]
.LBB18_166:                             ;   in Loop: Header=BB18_2 Depth=1
	s_or_b64 exec, exec, s[14:15]
	v_sub_u32_e32 v65, v59, v63
	v_lshl_add_u32 v68, v63, 2, v57
	v_lshlrev_b32_e32 v67, 2, v65
	ds_read_b32 v61, v68
	ds_read_b32 v62, v67
	v_add_u32_e32 v66, v63, v43
	v_cmp_le_i32_e64 s[14:15], v45, v66
	v_cmp_gt_i32_e64 s[12:13], v46, v65
                                        ; implicit-def: $vgpr63
                                        ; implicit-def: $vgpr64
	s_waitcnt lgkmcnt(0)
	v_cmp_lt_i32_e64 s[16:17], v62, v61
	s_or_b64 s[14:15], s[14:15], s[16:17]
	s_and_b64 s[12:13], s[12:13], s[14:15]
	s_xor_b64 s[14:15], s[12:13], -1
	s_and_saveexec_b64 s[16:17], s[14:15]
	s_xor_b64 s[14:15], exec, s[16:17]
	s_cbranch_execz .LBB18_168
; %bb.167:                              ;   in Loop: Header=BB18_2 Depth=1
	ds_read_b32 v64, v68 offset:4
	v_mov_b32_e32 v63, v62
                                        ; implicit-def: $vgpr67
.LBB18_168:                             ;   in Loop: Header=BB18_2 Depth=1
	s_andn2_saveexec_b64 s[14:15], s[14:15]
	s_cbranch_execz .LBB18_170
; %bb.169:                              ;   in Loop: Header=BB18_2 Depth=1
	ds_read_b32 v63, v67 offset:4
	s_waitcnt lgkmcnt(1)
	v_mov_b32_e32 v64, v61
.LBB18_170:                             ;   in Loop: Header=BB18_2 Depth=1
	s_or_b64 exec, exec, s[14:15]
	v_add_u32_e32 v68, 1, v66
	v_add_u32_e32 v67, 1, v65
	v_cndmask_b32_e64 v68, v68, v66, s[12:13]
	v_cndmask_b32_e64 v67, v65, v67, s[12:13]
	v_cmp_ge_i32_e64 s[16:17], v68, v45
	s_waitcnt lgkmcnt(0)
	v_cmp_lt_i32_e64 s[18:19], v63, v64
	v_cmp_lt_i32_e64 s[14:15], v67, v46
	s_or_b64 s[16:17], s[16:17], s[18:19]
	s_and_b64 s[14:15], s[14:15], s[16:17]
	s_xor_b64 s[16:17], s[14:15], -1
                                        ; implicit-def: $vgpr65
	s_and_saveexec_b64 s[18:19], s[16:17]
	s_xor_b64 s[16:17], exec, s[18:19]
	s_cbranch_execz .LBB18_172
; %bb.171:                              ;   in Loop: Header=BB18_2 Depth=1
	v_lshlrev_b32_e32 v65, 2, v68
	ds_read_b32 v65, v65 offset:4
.LBB18_172:                             ;   in Loop: Header=BB18_2 Depth=1
	s_or_saveexec_b64 s[16:17], s[16:17]
	v_mov_b32_e32 v66, v63
	s_xor_b64 exec, exec, s[16:17]
	s_cbranch_execz .LBB18_174
; %bb.173:                              ;   in Loop: Header=BB18_2 Depth=1
	s_waitcnt lgkmcnt(0)
	v_lshlrev_b32_e32 v65, 2, v67
	ds_read_b32 v66, v65 offset:4
	v_mov_b32_e32 v65, v64
.LBB18_174:                             ;   in Loop: Header=BB18_2 Depth=1
	s_or_b64 exec, exec, s[16:17]
	v_add_u32_e32 v70, 1, v68
	v_add_u32_e32 v69, 1, v67
	v_cndmask_b32_e64 v70, v70, v68, s[14:15]
	v_cndmask_b32_e64 v69, v67, v69, s[14:15]
	v_cmp_ge_i32_e64 s[18:19], v70, v45
	s_waitcnt lgkmcnt(0)
	v_cmp_lt_i32_e64 s[20:21], v66, v65
	v_cmp_lt_i32_e64 s[16:17], v69, v46
	s_or_b64 s[18:19], s[18:19], s[20:21]
	s_and_b64 s[16:17], s[16:17], s[18:19]
	s_xor_b64 s[18:19], s[16:17], -1
                                        ; implicit-def: $vgpr67
	s_and_saveexec_b64 s[20:21], s[18:19]
	s_xor_b64 s[18:19], exec, s[20:21]
	s_cbranch_execz .LBB18_176
; %bb.175:                              ;   in Loop: Header=BB18_2 Depth=1
	v_lshlrev_b32_e32 v67, 2, v70
	ds_read_b32 v67, v67 offset:4
.LBB18_176:                             ;   in Loop: Header=BB18_2 Depth=1
	s_or_saveexec_b64 s[18:19], s[18:19]
	v_mov_b32_e32 v68, v66
	s_xor_b64 exec, exec, s[18:19]
	s_cbranch_execz .LBB18_178
; %bb.177:                              ;   in Loop: Header=BB18_2 Depth=1
	s_waitcnt lgkmcnt(0)
	v_lshlrev_b32_e32 v67, 2, v69
	ds_read_b32 v68, v67 offset:4
	v_mov_b32_e32 v67, v65
.LBB18_178:                             ;   in Loop: Header=BB18_2 Depth=1
	s_or_b64 exec, exec, s[18:19]
	v_add_u32_e32 v72, 1, v70
	v_add_u32_e32 v71, 1, v69
	v_cndmask_b32_e64 v72, v72, v70, s[16:17]
	v_cndmask_b32_e64 v71, v69, v71, s[16:17]
	v_cmp_ge_i32_e64 s[20:21], v72, v45
	s_waitcnt lgkmcnt(0)
	v_cmp_lt_i32_e64 s[22:23], v68, v67
	v_cmp_lt_i32_e64 s[18:19], v71, v46
	s_or_b64 s[20:21], s[20:21], s[22:23]
	s_and_b64 s[18:19], s[18:19], s[20:21]
	s_xor_b64 s[20:21], s[18:19], -1
                                        ; implicit-def: $vgpr69
	s_and_saveexec_b64 s[22:23], s[20:21]
	s_xor_b64 s[20:21], exec, s[22:23]
	s_cbranch_execz .LBB18_180
; %bb.179:                              ;   in Loop: Header=BB18_2 Depth=1
	v_lshlrev_b32_e32 v69, 2, v72
	ds_read_b32 v69, v69 offset:4
.LBB18_180:                             ;   in Loop: Header=BB18_2 Depth=1
	s_or_saveexec_b64 s[20:21], s[20:21]
	v_mov_b32_e32 v70, v68
	s_xor_b64 exec, exec, s[20:21]
	s_cbranch_execz .LBB18_182
; %bb.181:                              ;   in Loop: Header=BB18_2 Depth=1
	s_waitcnt lgkmcnt(0)
	v_lshlrev_b32_e32 v69, 2, v71
	ds_read_b32 v70, v69 offset:4
	v_mov_b32_e32 v69, v67
.LBB18_182:                             ;   in Loop: Header=BB18_2 Depth=1
	s_or_b64 exec, exec, s[20:21]
	v_add_u32_e32 v74, 1, v72
	v_add_u32_e32 v73, 1, v71
	v_cndmask_b32_e64 v74, v74, v72, s[18:19]
	v_cndmask_b32_e64 v73, v71, v73, s[18:19]
	v_cmp_ge_i32_e64 s[22:23], v74, v45
	s_waitcnt lgkmcnt(0)
	v_cmp_lt_i32_e64 s[24:25], v70, v69
	v_cmp_lt_i32_e64 s[20:21], v73, v46
	s_or_b64 s[22:23], s[22:23], s[24:25]
	s_and_b64 s[20:21], s[20:21], s[22:23]
	s_xor_b64 s[22:23], s[20:21], -1
                                        ; implicit-def: $vgpr71
	s_and_saveexec_b64 s[24:25], s[22:23]
	s_xor_b64 s[22:23], exec, s[24:25]
	s_cbranch_execz .LBB18_184
; %bb.183:                              ;   in Loop: Header=BB18_2 Depth=1
	v_lshlrev_b32_e32 v71, 2, v74
	ds_read_b32 v71, v71 offset:4
.LBB18_184:                             ;   in Loop: Header=BB18_2 Depth=1
	s_or_saveexec_b64 s[22:23], s[22:23]
	v_mov_b32_e32 v72, v70
	s_xor_b64 exec, exec, s[22:23]
	s_cbranch_execz .LBB18_186
; %bb.185:                              ;   in Loop: Header=BB18_2 Depth=1
	s_waitcnt lgkmcnt(0)
	v_lshlrev_b32_e32 v71, 2, v73
	ds_read_b32 v72, v71 offset:4
	v_mov_b32_e32 v71, v69
.LBB18_186:                             ;   in Loop: Header=BB18_2 Depth=1
	s_or_b64 exec, exec, s[22:23]
	v_add_u32_e32 v76, 1, v74
	v_add_u32_e32 v75, 1, v73
	v_cndmask_b32_e64 v76, v76, v74, s[20:21]
	v_cndmask_b32_e64 v75, v73, v75, s[20:21]
	v_cmp_ge_i32_e64 s[24:25], v76, v45
	s_waitcnt lgkmcnt(0)
	v_cmp_lt_i32_e64 s[26:27], v72, v71
	v_cmp_lt_i32_e64 s[22:23], v75, v46
	s_or_b64 s[24:25], s[24:25], s[26:27]
	s_and_b64 s[22:23], s[22:23], s[24:25]
	s_xor_b64 s[24:25], s[22:23], -1
                                        ; implicit-def: $vgpr73
	s_and_saveexec_b64 s[26:27], s[24:25]
	s_xor_b64 s[24:25], exec, s[26:27]
	s_cbranch_execz .LBB18_188
; %bb.187:                              ;   in Loop: Header=BB18_2 Depth=1
	v_lshlrev_b32_e32 v73, 2, v76
	ds_read_b32 v73, v73 offset:4
.LBB18_188:                             ;   in Loop: Header=BB18_2 Depth=1
	s_or_saveexec_b64 s[24:25], s[24:25]
	v_mov_b32_e32 v74, v72
	s_xor_b64 exec, exec, s[24:25]
	s_cbranch_execz .LBB18_190
; %bb.189:                              ;   in Loop: Header=BB18_2 Depth=1
	s_waitcnt lgkmcnt(0)
	v_lshlrev_b32_e32 v73, 2, v75
	ds_read_b32 v74, v73 offset:4
	v_mov_b32_e32 v73, v71
.LBB18_190:                             ;   in Loop: Header=BB18_2 Depth=1
	s_or_b64 exec, exec, s[24:25]
	v_add_u32_e32 v78, 1, v76
	v_add_u32_e32 v77, 1, v75
	v_cndmask_b32_e64 v76, v78, v76, s[22:23]
	v_cndmask_b32_e64 v75, v75, v77, s[22:23]
	v_cmp_ge_i32_e64 s[26:27], v76, v45
	s_waitcnt lgkmcnt(0)
	v_cmp_lt_i32_e64 s[28:29], v74, v73
	v_cmp_lt_i32_e64 s[24:25], v75, v46
	s_or_b64 s[26:27], s[26:27], s[28:29]
	s_and_b64 s[24:25], s[24:25], s[26:27]
	s_xor_b64 s[26:27], s[24:25], -1
                                        ; implicit-def: $vgpr77
	s_and_saveexec_b64 s[28:29], s[26:27]
	s_xor_b64 s[26:27], exec, s[28:29]
	s_cbranch_execz .LBB18_192
; %bb.191:                              ;   in Loop: Header=BB18_2 Depth=1
	v_lshlrev_b32_e32 v77, 2, v76
	ds_read_b32 v77, v77 offset:4
.LBB18_192:                             ;   in Loop: Header=BB18_2 Depth=1
	s_or_saveexec_b64 s[26:27], s[26:27]
	v_mov_b32_e32 v78, v74
	s_xor_b64 exec, exec, s[26:27]
	s_cbranch_execz .LBB18_194
; %bb.193:                              ;   in Loop: Header=BB18_2 Depth=1
	s_waitcnt lgkmcnt(0)
	v_lshlrev_b32_e32 v77, 2, v75
	ds_read_b32 v78, v77 offset:4
	v_mov_b32_e32 v77, v73
.LBB18_194:                             ;   in Loop: Header=BB18_2 Depth=1
	s_or_b64 exec, exec, s[26:27]
	v_cndmask_b32_e64 v73, v73, v74, s[24:25]
	v_add_u32_e32 v74, 1, v75
	v_add_u32_e32 v79, 1, v76
	v_cndmask_b32_e64 v74, v75, v74, s[24:25]
	v_cndmask_b32_e64 v75, v79, v76, s[24:25]
	;; [unrolled: 1-line block ×4, first 2 shown]
	v_cmp_ge_i32_e64 s[14:15], v75, v45
	s_waitcnt lgkmcnt(0)
	v_cmp_lt_i32_e64 s[16:17], v78, v77
	v_cndmask_b32_e64 v61, v61, v62, s[12:13]
	v_cmp_lt_i32_e64 s[12:13], v74, v46
	s_or_b64 s[14:15], s[14:15], s[16:17]
	s_and_b64 s[12:13], s[12:13], s[14:15]
	v_cndmask_b32_e64 v71, v71, v72, s[22:23]
	v_cndmask_b32_e64 v69, v69, v70, s[20:21]
	;; [unrolled: 1-line block ×4, first 2 shown]
	s_barrier
	ds_write2_b32 v2, v61, v63 offset1:1
	ds_write2_b32 v2, v65, v67 offset0:2 offset1:3
	ds_write2_b32 v2, v69, v71 offset0:4 offset1:5
	ds_write2_b32 v2, v73, v62 offset0:6 offset1:7
	v_mov_b32_e32 v65, v49
	s_waitcnt lgkmcnt(0)
	s_barrier
	s_and_saveexec_b64 s[14:15], s[10:11]
	s_cbranch_execz .LBB18_198
; %bb.195:                              ;   in Loop: Header=BB18_2 Depth=1
	s_mov_b64 s[16:17], 0
	v_mov_b32_e32 v65, v49
	v_mov_b32_e32 v61, v50
.LBB18_196:                             ;   Parent Loop BB18_2 Depth=1
                                        ; =>  This Inner Loop Header: Depth=2
	v_sub_u32_e32 v62, v61, v65
	v_lshrrev_b32_e32 v63, 31, v62
	v_add_u32_e32 v62, v62, v63
	v_ashrrev_i32_e32 v62, 1, v62
	v_add_u32_e32 v62, v62, v65
	v_xad_u32 v64, v62, -1, v1
	v_mov_b32_e32 v66, 0x800
	v_lshlrev_b32_e32 v63, 2, v62
	v_lshl_add_u32 v64, v64, 2, v66
	ds_read_b32 v63, v63
	ds_read_b32 v64, v64
	v_add_u32_e32 v66, 1, v62
	s_waitcnt lgkmcnt(0)
	v_cmp_lt_i32_e64 s[12:13], v64, v63
	s_nop 1
	v_cndmask_b32_e64 v61, v61, v62, s[12:13]
	v_cndmask_b32_e64 v65, v66, v65, s[12:13]
	v_cmp_ge_i32_e64 s[12:13], v65, v61
	s_or_b64 s[16:17], s[12:13], s[16:17]
	s_andn2_b64 exec, exec, s[16:17]
	s_cbranch_execnz .LBB18_196
; %bb.197:                              ;   in Loop: Header=BB18_2 Depth=1
	s_or_b64 exec, exec, s[16:17]
.LBB18_198:                             ;   in Loop: Header=BB18_2 Depth=1
	s_or_b64 exec, exec, s[14:15]
	v_sub_u32_e32 v66, v60, v65
	v_lshlrev_b32_e32 v68, 2, v65
	v_lshlrev_b32_e32 v67, 2, v66
	ds_read_b32 v61, v68
	ds_read_b32 v62, v67
	v_cmp_le_i32_e64 s[14:15], v42, v65
	v_cmp_gt_i32_e64 s[12:13], s33, v66
                                        ; implicit-def: $vgpr63
                                        ; implicit-def: $vgpr64
	s_waitcnt lgkmcnt(0)
	v_cmp_lt_i32_e64 s[16:17], v62, v61
	s_or_b64 s[14:15], s[14:15], s[16:17]
	s_and_b64 s[12:13], s[12:13], s[14:15]
	s_xor_b64 s[14:15], s[12:13], -1
	s_and_saveexec_b64 s[16:17], s[14:15]
	s_xor_b64 s[14:15], exec, s[16:17]
	s_cbranch_execz .LBB18_200
; %bb.199:                              ;   in Loop: Header=BB18_2 Depth=1
	ds_read_b32 v64, v68 offset:4
	v_mov_b32_e32 v63, v62
                                        ; implicit-def: $vgpr67
.LBB18_200:                             ;   in Loop: Header=BB18_2 Depth=1
	s_andn2_saveexec_b64 s[14:15], s[14:15]
	s_cbranch_execz .LBB18_202
; %bb.201:                              ;   in Loop: Header=BB18_2 Depth=1
	ds_read_b32 v63, v67 offset:4
	s_waitcnt lgkmcnt(1)
	v_mov_b32_e32 v64, v61
.LBB18_202:                             ;   in Loop: Header=BB18_2 Depth=1
	s_or_b64 exec, exec, s[14:15]
	v_add_u32_e32 v68, 1, v65
	v_add_u32_e32 v67, 1, v66
	v_cndmask_b32_e64 v68, v68, v65, s[12:13]
	v_cndmask_b32_e64 v67, v66, v67, s[12:13]
	v_cmp_ge_i32_e64 s[16:17], v68, v42
	s_waitcnt lgkmcnt(0)
	v_cmp_lt_i32_e64 s[18:19], v63, v64
	v_cmp_gt_i32_e64 s[14:15], s33, v67
	s_or_b64 s[16:17], s[16:17], s[18:19]
	s_and_b64 s[14:15], s[14:15], s[16:17]
	s_xor_b64 s[16:17], s[14:15], -1
                                        ; implicit-def: $vgpr65
	s_and_saveexec_b64 s[18:19], s[16:17]
	s_xor_b64 s[16:17], exec, s[18:19]
	s_cbranch_execz .LBB18_204
; %bb.203:                              ;   in Loop: Header=BB18_2 Depth=1
	v_lshlrev_b32_e32 v65, 2, v68
	ds_read_b32 v65, v65 offset:4
.LBB18_204:                             ;   in Loop: Header=BB18_2 Depth=1
	s_or_saveexec_b64 s[16:17], s[16:17]
	v_mov_b32_e32 v66, v63
	s_xor_b64 exec, exec, s[16:17]
	s_cbranch_execz .LBB18_206
; %bb.205:                              ;   in Loop: Header=BB18_2 Depth=1
	s_waitcnt lgkmcnt(0)
	v_lshlrev_b32_e32 v65, 2, v67
	ds_read_b32 v66, v65 offset:4
	v_mov_b32_e32 v65, v64
.LBB18_206:                             ;   in Loop: Header=BB18_2 Depth=1
	s_or_b64 exec, exec, s[16:17]
	v_add_u32_e32 v70, 1, v68
	v_add_u32_e32 v69, 1, v67
	v_cndmask_b32_e64 v71, v70, v68, s[14:15]
	v_cndmask_b32_e64 v69, v67, v69, s[14:15]
	v_cmp_ge_i32_e64 s[18:19], v71, v42
	s_waitcnt lgkmcnt(0)
	v_cmp_lt_i32_e64 s[20:21], v66, v65
	v_cmp_gt_i32_e64 s[16:17], s33, v69
	s_or_b64 s[18:19], s[18:19], s[20:21]
	s_and_b64 s[16:17], s[16:17], s[18:19]
	s_xor_b64 s[18:19], s[16:17], -1
                                        ; implicit-def: $vgpr67
	s_and_saveexec_b64 s[20:21], s[18:19]
	s_xor_b64 s[18:19], exec, s[20:21]
	s_cbranch_execz .LBB18_208
; %bb.207:                              ;   in Loop: Header=BB18_2 Depth=1
	v_lshlrev_b32_e32 v67, 2, v71
	ds_read_b32 v67, v67 offset:4
.LBB18_208:                             ;   in Loop: Header=BB18_2 Depth=1
	s_or_saveexec_b64 s[18:19], s[18:19]
	v_mov_b32_e32 v68, v66
	s_xor_b64 exec, exec, s[18:19]
	s_cbranch_execz .LBB18_210
; %bb.209:                              ;   in Loop: Header=BB18_2 Depth=1
	s_waitcnt lgkmcnt(0)
	v_lshlrev_b32_e32 v67, 2, v69
	ds_read_b32 v68, v67 offset:4
	v_mov_b32_e32 v67, v65
.LBB18_210:                             ;   in Loop: Header=BB18_2 Depth=1
	s_or_b64 exec, exec, s[18:19]
	v_add_u32_e32 v72, 1, v71
	v_add_u32_e32 v70, 1, v69
	v_cndmask_b32_e64 v71, v72, v71, s[16:17]
	v_cndmask_b32_e64 v70, v69, v70, s[16:17]
	v_cmp_ge_i32_e64 s[20:21], v71, v42
	s_waitcnt lgkmcnt(0)
	v_cmp_lt_i32_e64 s[22:23], v68, v67
	v_cmp_gt_i32_e64 s[18:19], s33, v70
	s_or_b64 s[20:21], s[20:21], s[22:23]
	s_and_b64 s[18:19], s[18:19], s[20:21]
	s_xor_b64 s[20:21], s[18:19], -1
                                        ; implicit-def: $vgpr69
	s_and_saveexec_b64 s[22:23], s[20:21]
	s_xor_b64 s[20:21], exec, s[22:23]
	s_cbranch_execz .LBB18_212
; %bb.211:                              ;   in Loop: Header=BB18_2 Depth=1
	v_lshlrev_b32_e32 v69, 2, v71
	ds_read_b32 v69, v69 offset:4
.LBB18_212:                             ;   in Loop: Header=BB18_2 Depth=1
	s_or_saveexec_b64 s[20:21], s[20:21]
	v_mov_b32_e32 v72, v68
	s_xor_b64 exec, exec, s[20:21]
	s_cbranch_execz .LBB18_214
; %bb.213:                              ;   in Loop: Header=BB18_2 Depth=1
	s_waitcnt lgkmcnt(0)
	v_lshlrev_b32_e32 v69, 2, v70
	ds_read_b32 v72, v69 offset:4
	v_mov_b32_e32 v69, v67
.LBB18_214:                             ;   in Loop: Header=BB18_2 Depth=1
	s_or_b64 exec, exec, s[20:21]
	v_add_u32_e32 v74, 1, v71
	v_add_u32_e32 v73, 1, v70
	v_cndmask_b32_e64 v71, v74, v71, s[18:19]
	v_cndmask_b32_e64 v70, v70, v73, s[18:19]
	v_cmp_ge_i32_e64 s[22:23], v71, v42
	s_waitcnt lgkmcnt(0)
	v_cmp_lt_i32_e64 s[24:25], v72, v69
	v_cmp_gt_i32_e64 s[20:21], s33, v70
	s_or_b64 s[22:23], s[22:23], s[24:25]
	s_and_b64 s[20:21], s[20:21], s[22:23]
	s_xor_b64 s[22:23], s[20:21], -1
                                        ; implicit-def: $vgpr73
	s_and_saveexec_b64 s[24:25], s[22:23]
	s_xor_b64 s[22:23], exec, s[24:25]
	s_cbranch_execz .LBB18_216
; %bb.215:                              ;   in Loop: Header=BB18_2 Depth=1
	v_lshlrev_b32_e32 v73, 2, v71
	ds_read_b32 v73, v73 offset:4
.LBB18_216:                             ;   in Loop: Header=BB18_2 Depth=1
	s_or_saveexec_b64 s[22:23], s[22:23]
	v_mov_b32_e32 v74, v72
	s_xor_b64 exec, exec, s[22:23]
	s_cbranch_execz .LBB18_218
; %bb.217:                              ;   in Loop: Header=BB18_2 Depth=1
	s_waitcnt lgkmcnt(0)
	v_lshlrev_b32_e32 v73, 2, v70
	ds_read_b32 v74, v73 offset:4
	v_mov_b32_e32 v73, v69
.LBB18_218:                             ;   in Loop: Header=BB18_2 Depth=1
	s_or_b64 exec, exec, s[22:23]
	v_add_u32_e32 v76, 1, v71
	v_add_u32_e32 v75, 1, v70
	v_cndmask_b32_e64 v71, v76, v71, s[20:21]
	v_cndmask_b32_e64 v70, v70, v75, s[20:21]
	v_cmp_ge_i32_e64 s[24:25], v71, v42
	s_waitcnt lgkmcnt(0)
	v_cmp_lt_i32_e64 s[26:27], v74, v73
	v_cmp_gt_i32_e64 s[22:23], s33, v70
	s_or_b64 s[24:25], s[24:25], s[26:27]
	s_and_b64 s[22:23], s[22:23], s[24:25]
	s_xor_b64 s[24:25], s[22:23], -1
                                        ; implicit-def: $vgpr75
	s_and_saveexec_b64 s[26:27], s[24:25]
	s_xor_b64 s[24:25], exec, s[26:27]
	s_cbranch_execz .LBB18_220
; %bb.219:                              ;   in Loop: Header=BB18_2 Depth=1
	v_lshlrev_b32_e32 v75, 2, v71
	ds_read_b32 v75, v75 offset:4
.LBB18_220:                             ;   in Loop: Header=BB18_2 Depth=1
	s_or_saveexec_b64 s[24:25], s[24:25]
	v_mov_b32_e32 v76, v74
	s_xor_b64 exec, exec, s[24:25]
	s_cbranch_execz .LBB18_222
; %bb.221:                              ;   in Loop: Header=BB18_2 Depth=1
	s_waitcnt lgkmcnt(0)
	v_lshlrev_b32_e32 v75, 2, v70
	ds_read_b32 v76, v75 offset:4
	v_mov_b32_e32 v75, v73
.LBB18_222:                             ;   in Loop: Header=BB18_2 Depth=1
	s_or_b64 exec, exec, s[24:25]
	v_add_u32_e32 v77, 1, v70
	v_add_u32_e32 v78, 1, v71
	v_cndmask_b32_e64 v77, v70, v77, s[22:23]
	v_cndmask_b32_e64 v70, v78, v71, s[22:23]
	v_cmp_ge_i32_e64 s[26:27], v70, v42
	s_waitcnt lgkmcnt(0)
	v_cmp_lt_i32_e64 s[28:29], v76, v75
	v_cmp_gt_i32_e64 s[24:25], s33, v77
	s_or_b64 s[26:27], s[26:27], s[28:29]
	s_and_b64 s[24:25], s[24:25], s[26:27]
	s_xor_b64 s[26:27], s[24:25], -1
                                        ; implicit-def: $vgpr78
                                        ; implicit-def: $vgpr79
	s_and_saveexec_b64 s[28:29], s[26:27]
	s_xor_b64 s[26:27], exec, s[28:29]
	s_cbranch_execz .LBB18_224
; %bb.223:                              ;   in Loop: Header=BB18_2 Depth=1
	v_lshlrev_b32_e32 v71, 2, v70
	ds_read_b32 v78, v71 offset:4
	v_add_u32_e32 v79, 1, v70
                                        ; implicit-def: $vgpr70
.LBB18_224:                             ;   in Loop: Header=BB18_2 Depth=1
	s_or_saveexec_b64 s[26:27], s[26:27]
	v_mov_b32_e32 v80, v76
	s_xor_b64 exec, exec, s[26:27]
	s_cbranch_execz .LBB18_1
; %bb.225:                              ;   in Loop: Header=BB18_2 Depth=1
	v_lshlrev_b32_e32 v71, 2, v77
	ds_read_b32 v80, v71 offset:4
	v_add_u32_e32 v77, 1, v77
	v_mov_b32_e32 v79, v70
	s_waitcnt lgkmcnt(1)
	v_mov_b32_e32 v78, v75
	s_branch .LBB18_1
.LBB18_226:
	s_add_u32 s0, s30, s36
	s_addc_u32 s1, s31, s37
	v_lshlrev_b32_e32 v0, 2, v0
	global_store_dword v0, v70, s[0:1]
	global_store_dword v0, v71, s[0:1] offset:512
	global_store_dword v0, v64, s[0:1] offset:1024
	;; [unrolled: 1-line block ×7, first 2 shown]
	s_endpgm
	.section	.rodata,"a",@progbits
	.p2align	6, 0x0
	.amdhsa_kernel _Z16sort_keys_kernelIiLj128ELj8EN10test_utils4lessELj10EEvPKT_PS2_T2_
		.amdhsa_group_segment_fixed_size 4100
		.amdhsa_private_segment_fixed_size 0
		.amdhsa_kernarg_size 20
		.amdhsa_user_sgpr_count 2
		.amdhsa_user_sgpr_dispatch_ptr 0
		.amdhsa_user_sgpr_queue_ptr 0
		.amdhsa_user_sgpr_kernarg_segment_ptr 1
		.amdhsa_user_sgpr_dispatch_id 0
		.amdhsa_user_sgpr_kernarg_preload_length 0
		.amdhsa_user_sgpr_kernarg_preload_offset 0
		.amdhsa_user_sgpr_private_segment_size 0
		.amdhsa_uses_dynamic_stack 0
		.amdhsa_enable_private_segment 0
		.amdhsa_system_sgpr_workgroup_id_x 1
		.amdhsa_system_sgpr_workgroup_id_y 0
		.amdhsa_system_sgpr_workgroup_id_z 0
		.amdhsa_system_sgpr_workgroup_info 0
		.amdhsa_system_vgpr_workitem_id 0
		.amdhsa_next_free_vgpr 81
		.amdhsa_next_free_sgpr 38
		.amdhsa_accum_offset 84
		.amdhsa_reserve_vcc 1
		.amdhsa_float_round_mode_32 0
		.amdhsa_float_round_mode_16_64 0
		.amdhsa_float_denorm_mode_32 3
		.amdhsa_float_denorm_mode_16_64 3
		.amdhsa_dx10_clamp 1
		.amdhsa_ieee_mode 1
		.amdhsa_fp16_overflow 0
		.amdhsa_tg_split 0
		.amdhsa_exception_fp_ieee_invalid_op 0
		.amdhsa_exception_fp_denorm_src 0
		.amdhsa_exception_fp_ieee_div_zero 0
		.amdhsa_exception_fp_ieee_overflow 0
		.amdhsa_exception_fp_ieee_underflow 0
		.amdhsa_exception_fp_ieee_inexact 0
		.amdhsa_exception_int_div_zero 0
	.end_amdhsa_kernel
	.section	.text._Z16sort_keys_kernelIiLj128ELj8EN10test_utils4lessELj10EEvPKT_PS2_T2_,"axG",@progbits,_Z16sort_keys_kernelIiLj128ELj8EN10test_utils4lessELj10EEvPKT_PS2_T2_,comdat
.Lfunc_end18:
	.size	_Z16sort_keys_kernelIiLj128ELj8EN10test_utils4lessELj10EEvPKT_PS2_T2_, .Lfunc_end18-_Z16sort_keys_kernelIiLj128ELj8EN10test_utils4lessELj10EEvPKT_PS2_T2_
                                        ; -- End function
	.section	.AMDGPU.csdata,"",@progbits
; Kernel info:
; codeLenInByte = 10108
; NumSgprs: 44
; NumVgprs: 81
; NumAgprs: 0
; TotalNumVgprs: 81
; ScratchSize: 0
; MemoryBound: 0
; FloatMode: 240
; IeeeMode: 1
; LDSByteSize: 4100 bytes/workgroup (compile time only)
; SGPRBlocks: 5
; VGPRBlocks: 10
; NumSGPRsForWavesPerEU: 44
; NumVGPRsForWavesPerEU: 81
; AccumOffset: 84
; Occupancy: 5
; WaveLimiterHint : 1
; COMPUTE_PGM_RSRC2:SCRATCH_EN: 0
; COMPUTE_PGM_RSRC2:USER_SGPR: 2
; COMPUTE_PGM_RSRC2:TRAP_HANDLER: 0
; COMPUTE_PGM_RSRC2:TGID_X_EN: 1
; COMPUTE_PGM_RSRC2:TGID_Y_EN: 0
; COMPUTE_PGM_RSRC2:TGID_Z_EN: 0
; COMPUTE_PGM_RSRC2:TIDIG_COMP_CNT: 0
; COMPUTE_PGM_RSRC3_GFX90A:ACCUM_OFFSET: 20
; COMPUTE_PGM_RSRC3_GFX90A:TG_SPLIT: 0
	.section	.text._Z17sort_pairs_kernelIiLj128ELj8EN10test_utils4lessELj10EEvPKT_PS2_T2_,"axG",@progbits,_Z17sort_pairs_kernelIiLj128ELj8EN10test_utils4lessELj10EEvPKT_PS2_T2_,comdat
	.protected	_Z17sort_pairs_kernelIiLj128ELj8EN10test_utils4lessELj10EEvPKT_PS2_T2_ ; -- Begin function _Z17sort_pairs_kernelIiLj128ELj8EN10test_utils4lessELj10EEvPKT_PS2_T2_
	.globl	_Z17sort_pairs_kernelIiLj128ELj8EN10test_utils4lessELj10EEvPKT_PS2_T2_
	.p2align	8
	.type	_Z17sort_pairs_kernelIiLj128ELj8EN10test_utils4lessELj10EEvPKT_PS2_T2_,@function
_Z17sort_pairs_kernelIiLj128ELj8EN10test_utils4lessELj10EEvPKT_PS2_T2_: ; @_Z17sort_pairs_kernelIiLj128ELj8EN10test_utils4lessELj10EEvPKT_PS2_T2_
; %bb.0:
	s_load_dwordx4 s[88:91], s[0:1], 0x0
	s_lshl_b32 s94, s2, 10
	s_mov_b32 s95, 0
	s_lshl_b64 s[92:93], s[94:95], 2
	v_lshlrev_b32_e32 v1, 2, v0
	s_waitcnt lgkmcnt(0)
	s_add_u32 s0, s88, s92
	s_addc_u32 s1, s89, s93
	global_load_dword v74, v1, s[0:1]
	global_load_dword v76, v1, s[0:1] offset:512
	global_load_dword v73, v1, s[0:1] offset:1024
	;; [unrolled: 1-line block ×7, first 2 shown]
	v_lshlrev_b32_e32 v2, 3, v0
	v_and_b32_e32 v4, 0x3f0, v2
	v_and_b32_e32 v6, 0x3e0, v2
	v_or_b32_e32 v16, 8, v4
	v_add_u32_e32 v17, 16, v4
	v_and_b32_e32 v5, 8, v2
	v_and_b32_e32 v8, 0x3c0, v2
	v_or_b32_e32 v19, 16, v6
	v_add_u32_e32 v20, 32, v6
	v_sub_u32_e32 v34, v17, v16
	v_and_b32_e32 v7, 24, v2
	v_and_b32_e32 v10, 0x380, v2
	v_or_b32_e32 v21, 32, v8
	v_add_u32_e32 v22, 64, v8
	v_sub_u32_e32 v35, v20, v19
	v_sub_u32_e32 v39, v5, v34
	v_cmp_ge_i32_e32 vcc, v5, v34
	v_and_b32_e32 v9, 56, v2
	v_and_b32_e32 v12, 0x300, v2
	;; [unrolled: 1-line block ×3, first 2 shown]
	v_or_b32_e32 v23, 64, v10
	v_add_u32_e32 v24, 0x80, v10
	v_sub_u32_e32 v36, v22, v21
	v_sub_u32_e32 v40, v7, v35
	v_cndmask_b32_e32 v34, 0, v39, vcc
	v_cmp_ge_i32_e32 vcc, v7, v35
	v_and_b32_e32 v11, 0x78, v2
	v_or_b32_e32 v25, 0x80, v12
	v_add_u32_e32 v26, 0x100, v12
	v_or_b32_e32 v27, 0x100, v14
	v_add_u32_e32 v28, 0x200, v14
	v_sub_u32_e32 v37, v24, v23
	v_sub_u32_e32 v41, v9, v36
	v_cndmask_b32_e32 v35, 0, v40, vcc
	v_cmp_ge_i32_e32 vcc, v9, v36
	v_and_b32_e32 v13, 0xf8, v2
	v_and_b32_e32 v15, 0x1f8, v2
	v_sub_u32_e32 v38, v26, v25
	v_sub_u32_e32 v42, v11, v37
	v_cndmask_b32_e32 v36, 0, v41, vcc
	v_cmp_ge_i32_e32 vcc, v11, v37
	v_sub_u32_e32 v39, v28, v27
	v_mov_b32_e32 v1, 0x200
	v_sub_u32_e32 v29, v16, v4
	v_sub_u32_e32 v30, v19, v6
	;; [unrolled: 1-line block ×6, first 2 shown]
	v_cndmask_b32_e32 v37, 0, v42, vcc
	v_cmp_ge_i32_e32 vcc, v13, v38
	v_sub_u32_e32 v40, v27, v14
	v_sub_u32_e32 v41, v15, v39
	v_cmp_ge_i32_e64 s[8:9], v15, v39
	v_min_i32_e32 v29, v5, v29
	v_min_i32_e32 v30, v7, v30
	;; [unrolled: 1-line block ×5, first 2 shown]
	v_cndmask_b32_e32 v38, 0, v43, vcc
	v_cndmask_b32_e64 v39, 0, v41, s[8:9]
	v_min_i32_e32 v40, v15, v40
	v_sub_u32_e64 v41, v2, v1 clamp
	v_min_i32_e32 v42, 0x200, v2
	v_lshlrev_b32_e32 v3, 5, v0
	v_lshlrev_b32_e32 v18, 2, v4
	v_cmp_lt_i32_e32 vcc, v34, v29
	v_cmp_lt_i32_e64 s[0:1], v35, v30
	v_cmp_lt_i32_e64 s[2:3], v36, v31
	;; [unrolled: 1-line block ×5, first 2 shown]
	s_waitcnt vmcnt(7)
	v_add_u32_e32 v62, 1, v74
	s_waitcnt vmcnt(6)
	v_add_u32_e32 v66, 1, v76
	;; [unrolled: 2-line block ×8, first 2 shown]
	v_cmp_lt_i32_e64 s[10:11], v41, v42
	s_movk_i32 s33, 0x400
	v_lshlrev_b32_e32 v43, 2, v16
	v_add_u32_e32 v44, v16, v5
	v_lshlrev_b32_e32 v45, 2, v6
	v_lshlrev_b32_e32 v46, 2, v19
	v_add_u32_e32 v47, v19, v7
	v_lshlrev_b32_e32 v48, 2, v8
	;; [unrolled: 3-line block ×5, first 2 shown]
	v_lshlrev_b32_e32 v58, 2, v27
	v_add_u32_e32 v59, v27, v15
	v_mov_b32_e32 v60, 0x800
	v_add_u32_e32 v61, 0x200, v2
	s_branch .LBB19_2
.LBB19_1:                               ;   in Loop: Header=BB19_2 Depth=1
	s_or_b64 exec, exec, s[26:27]
	v_cndmask_b32_e64 v74, v72, v73, s[12:13]
	v_cndmask_b32_e64 v76, v76, v75, s[14:15]
	;; [unrolled: 1-line block ×5, first 2 shown]
	v_cmp_ge_i32_e64 s[14:15], v99, v1
	s_waitcnt lgkmcnt(0)
	v_cmp_lt_i32_e64 s[16:17], v101, v100
	v_cndmask_b32_e64 v71, v70, v71, s[12:13]
	v_cmp_gt_i32_e64 s[12:13], s33, v97
	s_or_b64 s[14:15], s[14:15], s[16:17]
	v_cndmask_b32_e64 v75, v83, v84, s[18:19]
	v_cndmask_b32_e64 v79, v96, v95, s[20:21]
	;; [unrolled: 1-line block ×4, first 2 shown]
	s_and_b64 s[12:13], s[12:13], s[14:15]
	v_cndmask_b32_e64 v78, v99, v97, s[12:13]
	s_barrier
	ds_write2_b32 v3, v62, v63 offset1:1
	ds_write2_b32 v3, v64, v65 offset0:2 offset1:3
	ds_write2_b32 v3, v66, v67 offset0:4 offset1:5
	;; [unrolled: 1-line block ×3, first 2 shown]
	v_lshlrev_b32_e32 v62, 2, v71
	v_lshlrev_b32_e32 v63, 2, v77
	;; [unrolled: 1-line block ×6, first 2 shown]
	s_waitcnt lgkmcnt(0)
	s_barrier
	v_lshlrev_b32_e32 v71, 2, v98
	v_lshlrev_b32_e32 v77, 2, v78
	ds_read_b32 v62, v62
	ds_read_b32 v66, v63
	;; [unrolled: 1-line block ×8, first 2 shown]
	s_add_i32 s95, s95, 1
	v_cndmask_b32_e64 v72, v88, v90, s[22:23]
	v_cndmask_b32_e64 v70, v100, v101, s[12:13]
	;; [unrolled: 1-line block ×3, first 2 shown]
	s_cmp_eq_u32 s95, 10
	v_cndmask_b32_e64 v77, v93, v94, s[24:25]
	s_cbranch_scc1 .LBB19_226
.LBB19_2:                               ; =>This Loop Header: Depth=1
                                        ;     Child Loop BB19_4 Depth 2
                                        ;     Child Loop BB19_36 Depth 2
	;; [unrolled: 1-line block ×7, first 2 shown]
	v_cmp_lt_i32_e64 s[12:13], v76, v74
	v_cmp_lt_i32_e64 s[14:15], v75, v73
	v_cmp_lt_i32_e64 s[16:17], v71, v72
	v_cmp_lt_i32_e64 s[18:19], v70, v77
	v_cndmask_b32_e64 v78, v74, v76, s[12:13]
	v_cndmask_b32_e64 v74, v76, v74, s[12:13]
	v_cndmask_b32_e64 v76, v75, v73, s[14:15]
	v_cndmask_b32_e64 v73, v73, v75, s[14:15]
	v_cndmask_b32_e64 v75, v71, v72, s[16:17]
	v_cndmask_b32_e64 v71, v72, v71, s[16:17]
	v_cndmask_b32_e64 v72, v70, v77, s[18:19]
	v_cndmask_b32_e64 v70, v77, v70, s[18:19]
	v_cmp_lt_i32_e64 s[20:21], v73, v74
	v_cmp_lt_i32_e64 s[22:23], v71, v76
	v_cmp_lt_i32_e64 s[24:25], v70, v75
	v_cndmask_b32_e64 v77, v73, v74, s[20:21]
	v_cndmask_b32_e64 v73, v74, v73, s[20:21]
	v_cndmask_b32_e64 v74, v71, v76, s[22:23]
	v_cndmask_b32_e64 v71, v76, v71, s[22:23]
	v_cndmask_b32_e64 v76, v70, v75, s[24:25]
	v_cndmask_b32_e64 v70, v75, v70, s[24:25]
	v_cmp_lt_i32_e64 s[26:27], v73, v78
	v_cmp_lt_i32_e64 s[28:29], v71, v77
	v_cmp_lt_i32_e64 s[30:31], v70, v74
	v_cmp_lt_i32_e64 s[34:35], v72, v76
	v_cndmask_b32_e64 v75, v78, v73, s[26:27]
	v_cndmask_b32_e64 v73, v73, v78, s[26:27]
	v_cndmask_b32_e64 v78, v71, v77, s[28:29]
	v_cndmask_b32_e64 v71, v77, v71, s[28:29]
	v_cndmask_b32_e64 v77, v70, v74, s[30:31]
	v_cndmask_b32_e64 v70, v74, v70, s[30:31]
	v_cndmask_b32_e64 v74, v72, v76, s[34:35]
	v_cndmask_b32_e64 v72, v76, v72, s[34:35]
	v_cmp_lt_i32_e64 s[36:37], v71, v73
	v_cmp_lt_i32_e64 s[38:39], v70, v78
	v_cmp_lt_i32_e64 s[40:41], v72, v77
	v_cndmask_b32_e64 v76, v71, v73, s[36:37]
	v_cndmask_b32_e64 v71, v73, v71, s[36:37]
	v_cndmask_b32_e64 v73, v70, v78, s[38:39]
	v_cndmask_b32_e64 v70, v78, v70, s[38:39]
	v_cndmask_b32_e64 v78, v72, v77, s[40:41]
	v_cndmask_b32_e64 v72, v77, v72, s[40:41]
	;; [unrolled: 21-line block ×3, first 2 shown]
	v_cmp_lt_i32_e64 s[56:57], v70, v77
	v_cmp_lt_i32_e64 s[58:59], v72, v78
	;; [unrolled: 1-line block ×3, first 2 shown]
	v_cndmask_b32_e64 v76, v77, v70, s[56:57]
	v_cndmask_b32_e64 v70, v70, v77, s[56:57]
	;; [unrolled: 1-line block ×6, first 2 shown]
	v_cmp_lt_i32_e64 s[62:63], v73, v75
	v_cmp_lt_i32_e64 s[64:65], v72, v70
	;; [unrolled: 1-line block ×3, first 2 shown]
	v_cndmask_b32_e64 v74, v73, v75, s[62:63]
	v_cndmask_b32_e64 v73, v75, v73, s[62:63]
	;; [unrolled: 1-line block ×5, first 2 shown]
	v_cmp_lt_i32_e64 s[68:69], v73, v78
	v_cndmask_b32_e64 v71, v77, v71, s[66:67]
	s_nop 0
	v_cndmask_b32_e64 v77, v73, v78, s[68:69]
	v_cndmask_b32_e64 v73, v78, v73, s[68:69]
	s_barrier
	ds_write2_b32 v3, v76, v70 offset1:1
	ds_write2_b32 v3, v75, v71 offset0:2 offset1:3
	ds_write2_b32 v3, v72, v73 offset0:4 offset1:5
	;; [unrolled: 1-line block ×3, first 2 shown]
	v_mov_b32_e32 v72, v34
	s_waitcnt lgkmcnt(0)
	s_barrier
	s_and_saveexec_b64 s[72:73], vcc
	s_cbranch_execz .LBB19_6
; %bb.3:                                ;   in Loop: Header=BB19_2 Depth=1
	s_mov_b64 s[74:75], 0
	v_mov_b32_e32 v72, v34
	v_mov_b32_e32 v70, v29
.LBB19_4:                               ;   Parent Loop BB19_2 Depth=1
                                        ; =>  This Inner Loop Header: Depth=2
	v_sub_u32_e32 v71, v70, v72
	v_lshrrev_b32_e32 v73, 31, v71
	v_add_u32_e32 v71, v71, v73
	v_ashrrev_i32_e32 v71, 1, v71
	v_add_u32_e32 v71, v71, v72
	v_xad_u32 v74, v71, -1, v5
	v_lshl_add_u32 v73, v71, 2, v18
	v_lshl_add_u32 v74, v74, 2, v43
	ds_read_b32 v73, v73
	ds_read_b32 v74, v74
	v_add_u32_e32 v75, 1, v71
	s_waitcnt lgkmcnt(0)
	v_cmp_lt_i32_e64 s[70:71], v74, v73
	s_nop 1
	v_cndmask_b32_e64 v70, v70, v71, s[70:71]
	v_cndmask_b32_e64 v72, v75, v72, s[70:71]
	v_cmp_ge_i32_e64 s[70:71], v72, v70
	s_or_b64 s[74:75], s[70:71], s[74:75]
	s_andn2_b64 exec, exec, s[74:75]
	s_cbranch_execnz .LBB19_4
; %bb.5:                                ;   in Loop: Header=BB19_2 Depth=1
	s_or_b64 exec, exec, s[74:75]
.LBB19_6:                               ;   in Loop: Header=BB19_2 Depth=1
	s_or_b64 exec, exec, s[72:73]
	v_sub_u32_e32 v70, v44, v72
	v_lshl_add_u32 v77, v72, 2, v18
	v_lshlrev_b32_e32 v76, 2, v70
	ds_read_b32 v71, v77
	ds_read_b32 v73, v76
	v_add_u32_e32 v72, v72, v4
	v_cmp_le_i32_e64 s[72:73], v16, v72
	v_cmp_gt_i32_e64 s[70:71], v17, v70
                                        ; implicit-def: $vgpr74
                                        ; implicit-def: $vgpr75
	s_waitcnt lgkmcnt(0)
	v_cmp_lt_i32_e64 s[74:75], v73, v71
	s_or_b64 s[72:73], s[72:73], s[74:75]
	s_and_b64 s[70:71], s[70:71], s[72:73]
	s_xor_b64 s[72:73], s[70:71], -1
	s_and_saveexec_b64 s[74:75], s[72:73]
	s_xor_b64 s[72:73], exec, s[74:75]
	s_cbranch_execz .LBB19_8
; %bb.7:                                ;   in Loop: Header=BB19_2 Depth=1
	ds_read_b32 v75, v77 offset:4
	v_mov_b32_e32 v74, v73
                                        ; implicit-def: $vgpr76
.LBB19_8:                               ;   in Loop: Header=BB19_2 Depth=1
	s_andn2_saveexec_b64 s[72:73], s[72:73]
	s_cbranch_execz .LBB19_10
; %bb.9:                                ;   in Loop: Header=BB19_2 Depth=1
	ds_read_b32 v74, v76 offset:4
	s_waitcnt lgkmcnt(1)
	v_mov_b32_e32 v75, v71
.LBB19_10:                              ;   in Loop: Header=BB19_2 Depth=1
	s_or_b64 exec, exec, s[72:73]
	v_add_u32_e32 v77, 1, v72
	v_add_u32_e32 v76, 1, v70
	v_cndmask_b32_e64 v77, v77, v72, s[70:71]
	v_cndmask_b32_e64 v76, v70, v76, s[70:71]
	v_cmp_ge_i32_e64 s[74:75], v77, v16
	s_waitcnt lgkmcnt(0)
	v_cmp_lt_i32_e64 s[76:77], v74, v75
	v_cmp_lt_i32_e64 s[72:73], v76, v17
	s_or_b64 s[74:75], s[74:75], s[76:77]
	s_and_b64 s[72:73], s[72:73], s[74:75]
	s_xor_b64 s[74:75], s[72:73], -1
                                        ; implicit-def: $vgpr78
	s_and_saveexec_b64 s[76:77], s[74:75]
	s_xor_b64 s[74:75], exec, s[76:77]
	s_cbranch_execz .LBB19_12
; %bb.11:                               ;   in Loop: Header=BB19_2 Depth=1
	v_lshlrev_b32_e32 v78, 2, v77
	ds_read_b32 v78, v78 offset:4
.LBB19_12:                              ;   in Loop: Header=BB19_2 Depth=1
	s_or_saveexec_b64 s[74:75], s[74:75]
	v_mov_b32_e32 v79, v74
	s_xor_b64 exec, exec, s[74:75]
	s_cbranch_execz .LBB19_14
; %bb.13:                               ;   in Loop: Header=BB19_2 Depth=1
	s_waitcnt lgkmcnt(0)
	v_lshlrev_b32_e32 v78, 2, v76
	ds_read_b32 v79, v78 offset:4
	v_mov_b32_e32 v78, v75
.LBB19_14:                              ;   in Loop: Header=BB19_2 Depth=1
	s_or_b64 exec, exec, s[74:75]
	v_add_u32_e32 v81, 1, v77
	v_add_u32_e32 v80, 1, v76
	v_cndmask_b32_e64 v81, v81, v77, s[72:73]
	v_cndmask_b32_e64 v80, v76, v80, s[72:73]
	v_cmp_ge_i32_e64 s[76:77], v81, v16
	s_waitcnt lgkmcnt(0)
	v_cmp_lt_i32_e64 s[78:79], v79, v78
	v_cmp_lt_i32_e64 s[74:75], v80, v17
	s_or_b64 s[76:77], s[76:77], s[78:79]
	s_and_b64 s[74:75], s[74:75], s[76:77]
	s_xor_b64 s[76:77], s[74:75], -1
                                        ; implicit-def: $vgpr82
	s_and_saveexec_b64 s[78:79], s[76:77]
	s_xor_b64 s[76:77], exec, s[78:79]
	s_cbranch_execz .LBB19_16
; %bb.15:                               ;   in Loop: Header=BB19_2 Depth=1
	v_lshlrev_b32_e32 v82, 2, v81
	ds_read_b32 v82, v82 offset:4
.LBB19_16:                              ;   in Loop: Header=BB19_2 Depth=1
	s_or_saveexec_b64 s[76:77], s[76:77]
	v_mov_b32_e32 v83, v79
	s_xor_b64 exec, exec, s[76:77]
	s_cbranch_execz .LBB19_18
; %bb.17:                               ;   in Loop: Header=BB19_2 Depth=1
	s_waitcnt lgkmcnt(0)
	v_lshlrev_b32_e32 v82, 2, v80
	ds_read_b32 v83, v82 offset:4
	v_mov_b32_e32 v82, v78
.LBB19_18:                              ;   in Loop: Header=BB19_2 Depth=1
	s_or_b64 exec, exec, s[76:77]
	v_add_u32_e32 v85, 1, v81
	v_add_u32_e32 v84, 1, v80
	v_cndmask_b32_e64 v85, v85, v81, s[74:75]
	v_cndmask_b32_e64 v84, v80, v84, s[74:75]
	v_cmp_ge_i32_e64 s[78:79], v85, v16
	s_waitcnt lgkmcnt(0)
	v_cmp_lt_i32_e64 s[80:81], v83, v82
	v_cmp_lt_i32_e64 s[76:77], v84, v17
	s_or_b64 s[78:79], s[78:79], s[80:81]
	s_and_b64 s[76:77], s[76:77], s[78:79]
	s_xor_b64 s[78:79], s[76:77], -1
                                        ; implicit-def: $vgpr86
	s_and_saveexec_b64 s[80:81], s[78:79]
	s_xor_b64 s[78:79], exec, s[80:81]
	s_cbranch_execz .LBB19_20
; %bb.19:                               ;   in Loop: Header=BB19_2 Depth=1
	v_lshlrev_b32_e32 v86, 2, v85
	ds_read_b32 v86, v86 offset:4
.LBB19_20:                              ;   in Loop: Header=BB19_2 Depth=1
	s_or_saveexec_b64 s[78:79], s[78:79]
	v_mov_b32_e32 v87, v83
	s_xor_b64 exec, exec, s[78:79]
	s_cbranch_execz .LBB19_22
; %bb.21:                               ;   in Loop: Header=BB19_2 Depth=1
	s_waitcnt lgkmcnt(0)
	v_lshlrev_b32_e32 v86, 2, v84
	ds_read_b32 v87, v86 offset:4
	v_mov_b32_e32 v86, v82
.LBB19_22:                              ;   in Loop: Header=BB19_2 Depth=1
	s_or_b64 exec, exec, s[78:79]
	v_add_u32_e32 v89, 1, v85
	v_add_u32_e32 v88, 1, v84
	v_cndmask_b32_e64 v89, v89, v85, s[76:77]
	v_cndmask_b32_e64 v88, v84, v88, s[76:77]
	v_cmp_ge_i32_e64 s[80:81], v89, v16
	s_waitcnt lgkmcnt(0)
	v_cmp_lt_i32_e64 s[82:83], v87, v86
	v_cmp_lt_i32_e64 s[78:79], v88, v17
	s_or_b64 s[80:81], s[80:81], s[82:83]
	s_and_b64 s[78:79], s[78:79], s[80:81]
	s_xor_b64 s[80:81], s[78:79], -1
                                        ; implicit-def: $vgpr90
	s_and_saveexec_b64 s[82:83], s[80:81]
	s_xor_b64 s[80:81], exec, s[82:83]
	s_cbranch_execz .LBB19_24
; %bb.23:                               ;   in Loop: Header=BB19_2 Depth=1
	v_lshlrev_b32_e32 v90, 2, v89
	ds_read_b32 v90, v90 offset:4
.LBB19_24:                              ;   in Loop: Header=BB19_2 Depth=1
	s_or_saveexec_b64 s[80:81], s[80:81]
	v_mov_b32_e32 v92, v87
	s_xor_b64 exec, exec, s[80:81]
	s_cbranch_execz .LBB19_26
; %bb.25:                               ;   in Loop: Header=BB19_2 Depth=1
	s_waitcnt lgkmcnt(0)
	v_lshlrev_b32_e32 v90, 2, v88
	ds_read_b32 v92, v90 offset:4
	v_mov_b32_e32 v90, v86
.LBB19_26:                              ;   in Loop: Header=BB19_2 Depth=1
	s_or_b64 exec, exec, s[80:81]
	v_add_u32_e32 v94, 1, v89
	v_add_u32_e32 v91, 1, v88
	v_cndmask_b32_e64 v94, v94, v89, s[78:79]
	v_cndmask_b32_e64 v93, v88, v91, s[78:79]
	v_cmp_ge_i32_e64 s[82:83], v94, v16
	s_waitcnt lgkmcnt(0)
	v_cmp_lt_i32_e64 s[84:85], v92, v90
	v_cmp_lt_i32_e64 s[80:81], v93, v17
	s_or_b64 s[82:83], s[82:83], s[84:85]
	s_and_b64 s[80:81], s[80:81], s[82:83]
	s_xor_b64 s[82:83], s[80:81], -1
                                        ; implicit-def: $vgpr96
	s_and_saveexec_b64 s[84:85], s[82:83]
	s_xor_b64 s[82:83], exec, s[84:85]
	s_cbranch_execz .LBB19_28
; %bb.27:                               ;   in Loop: Header=BB19_2 Depth=1
	v_lshlrev_b32_e32 v91, 2, v94
	ds_read_b32 v96, v91 offset:4
.LBB19_28:                              ;   in Loop: Header=BB19_2 Depth=1
	s_or_saveexec_b64 s[82:83], s[82:83]
	v_mov_b32_e32 v97, v92
	s_xor_b64 exec, exec, s[82:83]
	s_cbranch_execz .LBB19_30
; %bb.29:                               ;   in Loop: Header=BB19_2 Depth=1
	v_lshlrev_b32_e32 v91, 2, v93
	ds_read_b32 v97, v91 offset:4
	s_waitcnt lgkmcnt(1)
	v_mov_b32_e32 v96, v90
.LBB19_30:                              ;   in Loop: Header=BB19_2 Depth=1
	s_or_b64 exec, exec, s[82:83]
	v_add_u32_e32 v95, 1, v94
	v_add_u32_e32 v91, 1, v93
	v_cndmask_b32_e64 v99, v95, v94, s[80:81]
	v_cndmask_b32_e64 v98, v93, v91, s[80:81]
	v_cmp_ge_i32_e64 s[84:85], v99, v16
	s_waitcnt lgkmcnt(0)
	v_cmp_lt_i32_e64 s[86:87], v97, v96
	v_cmp_lt_i32_e64 s[82:83], v98, v17
	s_or_b64 s[84:85], s[84:85], s[86:87]
	s_and_b64 s[82:83], s[82:83], s[84:85]
	s_xor_b64 s[84:85], s[82:83], -1
                                        ; implicit-def: $vgpr91
	s_and_saveexec_b64 s[86:87], s[84:85]
	s_xor_b64 s[84:85], exec, s[86:87]
	s_cbranch_execz .LBB19_32
; %bb.31:                               ;   in Loop: Header=BB19_2 Depth=1
	v_lshlrev_b32_e32 v91, 2, v99
	ds_read_b32 v91, v91 offset:4
.LBB19_32:                              ;   in Loop: Header=BB19_2 Depth=1
	s_or_saveexec_b64 s[84:85], s[84:85]
	v_mov_b32_e32 v95, v97
	s_xor_b64 exec, exec, s[84:85]
	s_cbranch_execz .LBB19_34
; %bb.33:                               ;   in Loop: Header=BB19_2 Depth=1
	s_waitcnt lgkmcnt(0)
	v_lshlrev_b32_e32 v91, 2, v98
	ds_read_b32 v95, v91 offset:4
	v_mov_b32_e32 v91, v96
.LBB19_34:                              ;   in Loop: Header=BB19_2 Depth=1
	s_or_b64 exec, exec, s[84:85]
	v_cndmask_b32_e64 v70, v72, v70, s[70:71]
	v_cndmask_b32_e64 v72, v62, v66, s[12:13]
	;; [unrolled: 1-line block ×15, first 2 shown]
	v_add_u32_e32 v100, 1, v99
	v_cndmask_b32_e64 v67, v72, v62, s[26:27]
	v_cndmask_b32_e64 v62, v62, v72, s[26:27]
	;; [unrolled: 1-line block ×9, first 2 shown]
	v_add_u32_e32 v97, 1, v98
	v_cndmask_b32_e64 v100, v100, v99, s[82:83]
	v_cndmask_b32_e64 v68, v64, v62, s[36:37]
	;; [unrolled: 1-line block ×16, first 2 shown]
	v_cmp_ge_i32_e64 s[14:15], v100, v16
	s_waitcnt lgkmcnt(0)
	v_cmp_lt_i32_e64 s[16:17], v95, v91
	v_cndmask_b32_e64 v72, v63, v62, s[50:51]
	v_cndmask_b32_e64 v62, v62, v63, s[50:51]
	;; [unrolled: 1-line block ×6, first 2 shown]
	v_cmp_lt_i32_e64 s[12:13], v97, v17
	s_or_b64 s[14:15], s[14:15], s[16:17]
	v_cndmask_b32_e64 v68, v69, v62, s[56:57]
	v_cndmask_b32_e64 v62, v62, v69, s[56:57]
	;; [unrolled: 1-line block ×8, first 2 shown]
	s_and_b64 s[12:13], s[12:13], s[14:15]
	v_cndmask_b32_e64 v98, v99, v98, s[82:83]
	v_cndmask_b32_e64 v90, v90, v92, s[80:81]
	;; [unrolled: 1-line block ×19, first 2 shown]
	s_barrier
	ds_write2_b32 v3, v68, v62 offset1:1
	ds_write2_b32 v3, v67, v63 offset0:2 offset1:3
	ds_write2_b32 v3, v64, v66 offset0:4 offset1:5
	;; [unrolled: 1-line block ×3, first 2 shown]
	v_lshlrev_b32_e32 v62, 2, v70
	v_lshlrev_b32_e32 v63, 2, v75
	;; [unrolled: 1-line block ×8, first 2 shown]
	s_waitcnt lgkmcnt(0)
	s_barrier
	ds_read_b32 v62, v62
	ds_read_b32 v63, v63
	ds_read_b32 v64, v64
	ds_read_b32 v65, v65
	ds_read_b32 v66, v66
	ds_read_b32 v67, v67
	ds_read_b32 v68, v68
	ds_read_b32 v69, v69
	v_cndmask_b32_e64 v72, v91, v95, s[12:13]
	s_waitcnt lgkmcnt(0)
	s_barrier
	ds_write2_b32 v3, v71, v74 offset1:1
	ds_write2_b32 v3, v78, v82 offset0:2 offset1:3
	ds_write2_b32 v3, v86, v90 offset0:4 offset1:5
	;; [unrolled: 1-line block ×3, first 2 shown]
	v_mov_b32_e32 v72, v35
	s_waitcnt lgkmcnt(0)
	s_barrier
	s_and_saveexec_b64 s[14:15], s[0:1]
	s_cbranch_execz .LBB19_38
; %bb.35:                               ;   in Loop: Header=BB19_2 Depth=1
	s_mov_b64 s[16:17], 0
	v_mov_b32_e32 v72, v35
	v_mov_b32_e32 v70, v30
.LBB19_36:                              ;   Parent Loop BB19_2 Depth=1
                                        ; =>  This Inner Loop Header: Depth=2
	v_sub_u32_e32 v71, v70, v72
	v_lshrrev_b32_e32 v73, 31, v71
	v_add_u32_e32 v71, v71, v73
	v_ashrrev_i32_e32 v71, 1, v71
	v_add_u32_e32 v71, v71, v72
	v_xad_u32 v74, v71, -1, v7
	v_lshl_add_u32 v73, v71, 2, v45
	v_lshl_add_u32 v74, v74, 2, v46
	ds_read_b32 v73, v73
	ds_read_b32 v74, v74
	v_add_u32_e32 v75, 1, v71
	s_waitcnt lgkmcnt(0)
	v_cmp_lt_i32_e64 s[12:13], v74, v73
	s_nop 1
	v_cndmask_b32_e64 v70, v70, v71, s[12:13]
	v_cndmask_b32_e64 v72, v75, v72, s[12:13]
	v_cmp_ge_i32_e64 s[12:13], v72, v70
	s_or_b64 s[16:17], s[12:13], s[16:17]
	s_andn2_b64 exec, exec, s[16:17]
	s_cbranch_execnz .LBB19_36
; %bb.37:                               ;   in Loop: Header=BB19_2 Depth=1
	s_or_b64 exec, exec, s[16:17]
.LBB19_38:                              ;   in Loop: Header=BB19_2 Depth=1
	s_or_b64 exec, exec, s[14:15]
	v_sub_u32_e32 v70, v47, v72
	v_lshl_add_u32 v77, v72, 2, v45
	v_lshlrev_b32_e32 v76, 2, v70
	ds_read_b32 v71, v77
	ds_read_b32 v73, v76
	v_add_u32_e32 v72, v72, v6
	v_cmp_le_i32_e64 s[14:15], v19, v72
	v_cmp_gt_i32_e64 s[12:13], v20, v70
                                        ; implicit-def: $vgpr74
                                        ; implicit-def: $vgpr75
	s_waitcnt lgkmcnt(0)
	v_cmp_lt_i32_e64 s[16:17], v73, v71
	s_or_b64 s[14:15], s[14:15], s[16:17]
	s_and_b64 s[12:13], s[12:13], s[14:15]
	s_xor_b64 s[14:15], s[12:13], -1
	s_and_saveexec_b64 s[16:17], s[14:15]
	s_xor_b64 s[14:15], exec, s[16:17]
	s_cbranch_execz .LBB19_40
; %bb.39:                               ;   in Loop: Header=BB19_2 Depth=1
	ds_read_b32 v75, v77 offset:4
	v_mov_b32_e32 v74, v73
                                        ; implicit-def: $vgpr76
.LBB19_40:                              ;   in Loop: Header=BB19_2 Depth=1
	s_andn2_saveexec_b64 s[14:15], s[14:15]
	s_cbranch_execz .LBB19_42
; %bb.41:                               ;   in Loop: Header=BB19_2 Depth=1
	ds_read_b32 v74, v76 offset:4
	s_waitcnt lgkmcnt(1)
	v_mov_b32_e32 v75, v71
.LBB19_42:                              ;   in Loop: Header=BB19_2 Depth=1
	s_or_b64 exec, exec, s[14:15]
	v_add_u32_e32 v77, 1, v72
	v_add_u32_e32 v76, 1, v70
	v_cndmask_b32_e64 v77, v77, v72, s[12:13]
	v_cndmask_b32_e64 v76, v70, v76, s[12:13]
	v_cmp_ge_i32_e64 s[16:17], v77, v19
	s_waitcnt lgkmcnt(0)
	v_cmp_lt_i32_e64 s[18:19], v74, v75
	v_cmp_lt_i32_e64 s[14:15], v76, v20
	s_or_b64 s[16:17], s[16:17], s[18:19]
	s_and_b64 s[14:15], s[14:15], s[16:17]
	s_xor_b64 s[16:17], s[14:15], -1
                                        ; implicit-def: $vgpr78
	s_and_saveexec_b64 s[18:19], s[16:17]
	s_xor_b64 s[16:17], exec, s[18:19]
	s_cbranch_execz .LBB19_44
; %bb.43:                               ;   in Loop: Header=BB19_2 Depth=1
	v_lshlrev_b32_e32 v78, 2, v77
	ds_read_b32 v78, v78 offset:4
.LBB19_44:                              ;   in Loop: Header=BB19_2 Depth=1
	s_or_saveexec_b64 s[16:17], s[16:17]
	v_mov_b32_e32 v79, v74
	s_xor_b64 exec, exec, s[16:17]
	s_cbranch_execz .LBB19_46
; %bb.45:                               ;   in Loop: Header=BB19_2 Depth=1
	s_waitcnt lgkmcnt(0)
	v_lshlrev_b32_e32 v78, 2, v76
	ds_read_b32 v79, v78 offset:4
	v_mov_b32_e32 v78, v75
.LBB19_46:                              ;   in Loop: Header=BB19_2 Depth=1
	s_or_b64 exec, exec, s[16:17]
	v_add_u32_e32 v81, 1, v77
	v_add_u32_e32 v80, 1, v76
	v_cndmask_b32_e64 v81, v81, v77, s[14:15]
	v_cndmask_b32_e64 v80, v76, v80, s[14:15]
	v_cmp_ge_i32_e64 s[18:19], v81, v19
	s_waitcnt lgkmcnt(0)
	v_cmp_lt_i32_e64 s[20:21], v79, v78
	v_cmp_lt_i32_e64 s[16:17], v80, v20
	s_or_b64 s[18:19], s[18:19], s[20:21]
	s_and_b64 s[16:17], s[16:17], s[18:19]
	s_xor_b64 s[18:19], s[16:17], -1
                                        ; implicit-def: $vgpr82
	s_and_saveexec_b64 s[20:21], s[18:19]
	s_xor_b64 s[18:19], exec, s[20:21]
	s_cbranch_execz .LBB19_48
; %bb.47:                               ;   in Loop: Header=BB19_2 Depth=1
	v_lshlrev_b32_e32 v82, 2, v81
	ds_read_b32 v82, v82 offset:4
.LBB19_48:                              ;   in Loop: Header=BB19_2 Depth=1
	s_or_saveexec_b64 s[18:19], s[18:19]
	v_mov_b32_e32 v83, v79
	s_xor_b64 exec, exec, s[18:19]
	s_cbranch_execz .LBB19_50
; %bb.49:                               ;   in Loop: Header=BB19_2 Depth=1
	s_waitcnt lgkmcnt(0)
	v_lshlrev_b32_e32 v82, 2, v80
	ds_read_b32 v83, v82 offset:4
	v_mov_b32_e32 v82, v78
.LBB19_50:                              ;   in Loop: Header=BB19_2 Depth=1
	s_or_b64 exec, exec, s[18:19]
	v_add_u32_e32 v85, 1, v81
	v_add_u32_e32 v84, 1, v80
	v_cndmask_b32_e64 v85, v85, v81, s[16:17]
	v_cndmask_b32_e64 v84, v80, v84, s[16:17]
	v_cmp_ge_i32_e64 s[20:21], v85, v19
	s_waitcnt lgkmcnt(0)
	v_cmp_lt_i32_e64 s[22:23], v83, v82
	v_cmp_lt_i32_e64 s[18:19], v84, v20
	s_or_b64 s[20:21], s[20:21], s[22:23]
	s_and_b64 s[18:19], s[18:19], s[20:21]
	s_xor_b64 s[20:21], s[18:19], -1
                                        ; implicit-def: $vgpr86
	s_and_saveexec_b64 s[22:23], s[20:21]
	s_xor_b64 s[20:21], exec, s[22:23]
	s_cbranch_execz .LBB19_52
; %bb.51:                               ;   in Loop: Header=BB19_2 Depth=1
	v_lshlrev_b32_e32 v86, 2, v85
	ds_read_b32 v86, v86 offset:4
.LBB19_52:                              ;   in Loop: Header=BB19_2 Depth=1
	s_or_saveexec_b64 s[20:21], s[20:21]
	v_mov_b32_e32 v87, v83
	s_xor_b64 exec, exec, s[20:21]
	s_cbranch_execz .LBB19_54
; %bb.53:                               ;   in Loop: Header=BB19_2 Depth=1
	s_waitcnt lgkmcnt(0)
	v_lshlrev_b32_e32 v86, 2, v84
	ds_read_b32 v87, v86 offset:4
	v_mov_b32_e32 v86, v82
.LBB19_54:                              ;   in Loop: Header=BB19_2 Depth=1
	s_or_b64 exec, exec, s[20:21]
	v_add_u32_e32 v89, 1, v85
	v_add_u32_e32 v88, 1, v84
	v_cndmask_b32_e64 v89, v89, v85, s[18:19]
	v_cndmask_b32_e64 v88, v84, v88, s[18:19]
	v_cmp_ge_i32_e64 s[22:23], v89, v19
	s_waitcnt lgkmcnt(0)
	v_cmp_lt_i32_e64 s[24:25], v87, v86
	v_cmp_lt_i32_e64 s[20:21], v88, v20
	s_or_b64 s[22:23], s[22:23], s[24:25]
	s_and_b64 s[20:21], s[20:21], s[22:23]
	s_xor_b64 s[22:23], s[20:21], -1
                                        ; implicit-def: $vgpr90
	s_and_saveexec_b64 s[24:25], s[22:23]
	s_xor_b64 s[22:23], exec, s[24:25]
	s_cbranch_execz .LBB19_56
; %bb.55:                               ;   in Loop: Header=BB19_2 Depth=1
	v_lshlrev_b32_e32 v90, 2, v89
	ds_read_b32 v90, v90 offset:4
.LBB19_56:                              ;   in Loop: Header=BB19_2 Depth=1
	s_or_saveexec_b64 s[22:23], s[22:23]
	v_mov_b32_e32 v91, v87
	s_xor_b64 exec, exec, s[22:23]
	s_cbranch_execz .LBB19_58
; %bb.57:                               ;   in Loop: Header=BB19_2 Depth=1
	s_waitcnt lgkmcnt(0)
	v_lshlrev_b32_e32 v90, 2, v88
	ds_read_b32 v91, v90 offset:4
	v_mov_b32_e32 v90, v86
.LBB19_58:                              ;   in Loop: Header=BB19_2 Depth=1
	s_or_b64 exec, exec, s[22:23]
	v_add_u32_e32 v93, 1, v89
	v_add_u32_e32 v92, 1, v88
	v_cndmask_b32_e64 v93, v93, v89, s[20:21]
	v_cndmask_b32_e64 v92, v88, v92, s[20:21]
	v_cmp_ge_i32_e64 s[24:25], v93, v19
	s_waitcnt lgkmcnt(0)
	v_cmp_lt_i32_e64 s[26:27], v91, v90
	v_cmp_lt_i32_e64 s[22:23], v92, v20
	s_or_b64 s[24:25], s[24:25], s[26:27]
	s_and_b64 s[22:23], s[22:23], s[24:25]
	s_xor_b64 s[24:25], s[22:23], -1
                                        ; implicit-def: $vgpr94
	s_and_saveexec_b64 s[26:27], s[24:25]
	s_xor_b64 s[24:25], exec, s[26:27]
	s_cbranch_execz .LBB19_60
; %bb.59:                               ;   in Loop: Header=BB19_2 Depth=1
	v_lshlrev_b32_e32 v94, 2, v93
	ds_read_b32 v94, v94 offset:4
.LBB19_60:                              ;   in Loop: Header=BB19_2 Depth=1
	s_or_saveexec_b64 s[24:25], s[24:25]
	v_mov_b32_e32 v95, v91
	s_xor_b64 exec, exec, s[24:25]
	s_cbranch_execz .LBB19_62
; %bb.61:                               ;   in Loop: Header=BB19_2 Depth=1
	s_waitcnt lgkmcnt(0)
	v_lshlrev_b32_e32 v94, 2, v92
	ds_read_b32 v95, v94 offset:4
	v_mov_b32_e32 v94, v90
.LBB19_62:                              ;   in Loop: Header=BB19_2 Depth=1
	s_or_b64 exec, exec, s[24:25]
	v_add_u32_e32 v98, 1, v93
	v_add_u32_e32 v96, 1, v92
	v_cndmask_b32_e64 v98, v98, v93, s[22:23]
	v_cndmask_b32_e64 v97, v92, v96, s[22:23]
	v_cmp_ge_i32_e64 s[26:27], v98, v19
	s_waitcnt lgkmcnt(0)
	v_cmp_lt_i32_e64 s[28:29], v95, v94
	v_cmp_lt_i32_e64 s[24:25], v97, v20
	s_or_b64 s[26:27], s[26:27], s[28:29]
	s_and_b64 s[24:25], s[24:25], s[26:27]
	s_xor_b64 s[26:27], s[24:25], -1
                                        ; implicit-def: $vgpr96
	s_and_saveexec_b64 s[28:29], s[26:27]
	s_xor_b64 s[26:27], exec, s[28:29]
	s_cbranch_execz .LBB19_64
; %bb.63:                               ;   in Loop: Header=BB19_2 Depth=1
	v_lshlrev_b32_e32 v96, 2, v98
	ds_read_b32 v96, v96 offset:4
.LBB19_64:                              ;   in Loop: Header=BB19_2 Depth=1
	s_or_saveexec_b64 s[26:27], s[26:27]
	v_mov_b32_e32 v99, v95
	s_xor_b64 exec, exec, s[26:27]
	s_cbranch_execz .LBB19_66
; %bb.65:                               ;   in Loop: Header=BB19_2 Depth=1
	s_waitcnt lgkmcnt(0)
	v_lshlrev_b32_e32 v96, 2, v97
	ds_read_b32 v99, v96 offset:4
	v_mov_b32_e32 v96, v94
.LBB19_66:                              ;   in Loop: Header=BB19_2 Depth=1
	s_or_b64 exec, exec, s[26:27]
	v_add_u32_e32 v100, 1, v98
	v_cndmask_b32_e64 v94, v94, v95, s[24:25]
	v_add_u32_e32 v95, 1, v97
	v_cndmask_b32_e64 v100, v100, v98, s[24:25]
	v_cndmask_b32_e64 v95, v97, v95, s[24:25]
	;; [unrolled: 1-line block ×6, first 2 shown]
	v_cmp_ge_i32_e64 s[14:15], v100, v19
	s_waitcnt lgkmcnt(0)
	v_cmp_lt_i32_e64 s[16:17], v99, v96
	v_cndmask_b32_e64 v71, v71, v73, s[12:13]
	v_cndmask_b32_e64 v70, v72, v70, s[12:13]
	v_cmp_lt_i32_e64 s[12:13], v95, v20
	s_or_b64 s[14:15], s[14:15], s[16:17]
	s_and_b64 s[12:13], s[12:13], s[14:15]
	v_cndmask_b32_e64 v97, v98, v97, s[24:25]
	v_cndmask_b32_e64 v90, v90, v91, s[22:23]
	;; [unrolled: 1-line block ×8, first 2 shown]
	s_barrier
	ds_write2_b32 v3, v62, v63 offset1:1
	ds_write2_b32 v3, v64, v65 offset0:2 offset1:3
	ds_write2_b32 v3, v66, v67 offset0:4 offset1:5
	;; [unrolled: 1-line block ×3, first 2 shown]
	v_lshlrev_b32_e32 v62, 2, v70
	v_lshlrev_b32_e32 v63, 2, v75
	;; [unrolled: 1-line block ×8, first 2 shown]
	s_waitcnt lgkmcnt(0)
	s_barrier
	ds_read_b32 v62, v62
	ds_read_b32 v63, v63
	;; [unrolled: 1-line block ×8, first 2 shown]
	v_cndmask_b32_e64 v72, v96, v99, s[12:13]
	s_waitcnt lgkmcnt(0)
	s_barrier
	ds_write2_b32 v3, v71, v74 offset1:1
	ds_write2_b32 v3, v78, v82 offset0:2 offset1:3
	ds_write2_b32 v3, v86, v90 offset0:4 offset1:5
	;; [unrolled: 1-line block ×3, first 2 shown]
	v_mov_b32_e32 v72, v36
	s_waitcnt lgkmcnt(0)
	s_barrier
	s_and_saveexec_b64 s[14:15], s[2:3]
	s_cbranch_execz .LBB19_70
; %bb.67:                               ;   in Loop: Header=BB19_2 Depth=1
	s_mov_b64 s[16:17], 0
	v_mov_b32_e32 v72, v36
	v_mov_b32_e32 v70, v31
.LBB19_68:                              ;   Parent Loop BB19_2 Depth=1
                                        ; =>  This Inner Loop Header: Depth=2
	v_sub_u32_e32 v71, v70, v72
	v_lshrrev_b32_e32 v73, 31, v71
	v_add_u32_e32 v71, v71, v73
	v_ashrrev_i32_e32 v71, 1, v71
	v_add_u32_e32 v71, v71, v72
	v_xad_u32 v74, v71, -1, v9
	v_lshl_add_u32 v73, v71, 2, v48
	v_lshl_add_u32 v74, v74, 2, v49
	ds_read_b32 v73, v73
	ds_read_b32 v74, v74
	v_add_u32_e32 v75, 1, v71
	s_waitcnt lgkmcnt(0)
	v_cmp_lt_i32_e64 s[12:13], v74, v73
	s_nop 1
	v_cndmask_b32_e64 v70, v70, v71, s[12:13]
	v_cndmask_b32_e64 v72, v75, v72, s[12:13]
	v_cmp_ge_i32_e64 s[12:13], v72, v70
	s_or_b64 s[16:17], s[12:13], s[16:17]
	s_andn2_b64 exec, exec, s[16:17]
	s_cbranch_execnz .LBB19_68
; %bb.69:                               ;   in Loop: Header=BB19_2 Depth=1
	s_or_b64 exec, exec, s[16:17]
.LBB19_70:                              ;   in Loop: Header=BB19_2 Depth=1
	s_or_b64 exec, exec, s[14:15]
	v_sub_u32_e32 v70, v50, v72
	v_lshl_add_u32 v77, v72, 2, v48
	v_lshlrev_b32_e32 v76, 2, v70
	ds_read_b32 v71, v77
	ds_read_b32 v73, v76
	v_add_u32_e32 v72, v72, v8
	v_cmp_le_i32_e64 s[14:15], v21, v72
	v_cmp_gt_i32_e64 s[12:13], v22, v70
                                        ; implicit-def: $vgpr74
                                        ; implicit-def: $vgpr75
	s_waitcnt lgkmcnt(0)
	v_cmp_lt_i32_e64 s[16:17], v73, v71
	s_or_b64 s[14:15], s[14:15], s[16:17]
	s_and_b64 s[12:13], s[12:13], s[14:15]
	s_xor_b64 s[14:15], s[12:13], -1
	s_and_saveexec_b64 s[16:17], s[14:15]
	s_xor_b64 s[14:15], exec, s[16:17]
	s_cbranch_execz .LBB19_72
; %bb.71:                               ;   in Loop: Header=BB19_2 Depth=1
	ds_read_b32 v75, v77 offset:4
	v_mov_b32_e32 v74, v73
                                        ; implicit-def: $vgpr76
.LBB19_72:                              ;   in Loop: Header=BB19_2 Depth=1
	s_andn2_saveexec_b64 s[14:15], s[14:15]
	s_cbranch_execz .LBB19_74
; %bb.73:                               ;   in Loop: Header=BB19_2 Depth=1
	ds_read_b32 v74, v76 offset:4
	s_waitcnt lgkmcnt(1)
	v_mov_b32_e32 v75, v71
.LBB19_74:                              ;   in Loop: Header=BB19_2 Depth=1
	s_or_b64 exec, exec, s[14:15]
	v_add_u32_e32 v77, 1, v72
	v_add_u32_e32 v76, 1, v70
	v_cndmask_b32_e64 v77, v77, v72, s[12:13]
	v_cndmask_b32_e64 v76, v70, v76, s[12:13]
	v_cmp_ge_i32_e64 s[16:17], v77, v21
	s_waitcnt lgkmcnt(0)
	v_cmp_lt_i32_e64 s[18:19], v74, v75
	v_cmp_lt_i32_e64 s[14:15], v76, v22
	s_or_b64 s[16:17], s[16:17], s[18:19]
	s_and_b64 s[14:15], s[14:15], s[16:17]
	s_xor_b64 s[16:17], s[14:15], -1
                                        ; implicit-def: $vgpr78
	s_and_saveexec_b64 s[18:19], s[16:17]
	s_xor_b64 s[16:17], exec, s[18:19]
	s_cbranch_execz .LBB19_76
; %bb.75:                               ;   in Loop: Header=BB19_2 Depth=1
	v_lshlrev_b32_e32 v78, 2, v77
	ds_read_b32 v78, v78 offset:4
.LBB19_76:                              ;   in Loop: Header=BB19_2 Depth=1
	s_or_saveexec_b64 s[16:17], s[16:17]
	v_mov_b32_e32 v79, v74
	s_xor_b64 exec, exec, s[16:17]
	s_cbranch_execz .LBB19_78
; %bb.77:                               ;   in Loop: Header=BB19_2 Depth=1
	s_waitcnt lgkmcnt(0)
	v_lshlrev_b32_e32 v78, 2, v76
	ds_read_b32 v79, v78 offset:4
	v_mov_b32_e32 v78, v75
.LBB19_78:                              ;   in Loop: Header=BB19_2 Depth=1
	s_or_b64 exec, exec, s[16:17]
	v_add_u32_e32 v81, 1, v77
	v_add_u32_e32 v80, 1, v76
	v_cndmask_b32_e64 v81, v81, v77, s[14:15]
	v_cndmask_b32_e64 v80, v76, v80, s[14:15]
	v_cmp_ge_i32_e64 s[18:19], v81, v21
	s_waitcnt lgkmcnt(0)
	v_cmp_lt_i32_e64 s[20:21], v79, v78
	v_cmp_lt_i32_e64 s[16:17], v80, v22
	s_or_b64 s[18:19], s[18:19], s[20:21]
	s_and_b64 s[16:17], s[16:17], s[18:19]
	s_xor_b64 s[18:19], s[16:17], -1
                                        ; implicit-def: $vgpr82
	s_and_saveexec_b64 s[20:21], s[18:19]
	s_xor_b64 s[18:19], exec, s[20:21]
	s_cbranch_execz .LBB19_80
; %bb.79:                               ;   in Loop: Header=BB19_2 Depth=1
	v_lshlrev_b32_e32 v82, 2, v81
	ds_read_b32 v82, v82 offset:4
.LBB19_80:                              ;   in Loop: Header=BB19_2 Depth=1
	s_or_saveexec_b64 s[18:19], s[18:19]
	v_mov_b32_e32 v83, v79
	s_xor_b64 exec, exec, s[18:19]
	s_cbranch_execz .LBB19_82
; %bb.81:                               ;   in Loop: Header=BB19_2 Depth=1
	s_waitcnt lgkmcnt(0)
	v_lshlrev_b32_e32 v82, 2, v80
	ds_read_b32 v83, v82 offset:4
	v_mov_b32_e32 v82, v78
.LBB19_82:                              ;   in Loop: Header=BB19_2 Depth=1
	s_or_b64 exec, exec, s[18:19]
	v_add_u32_e32 v85, 1, v81
	v_add_u32_e32 v84, 1, v80
	v_cndmask_b32_e64 v85, v85, v81, s[16:17]
	v_cndmask_b32_e64 v84, v80, v84, s[16:17]
	v_cmp_ge_i32_e64 s[20:21], v85, v21
	s_waitcnt lgkmcnt(0)
	v_cmp_lt_i32_e64 s[22:23], v83, v82
	v_cmp_lt_i32_e64 s[18:19], v84, v22
	s_or_b64 s[20:21], s[20:21], s[22:23]
	s_and_b64 s[18:19], s[18:19], s[20:21]
	s_xor_b64 s[20:21], s[18:19], -1
                                        ; implicit-def: $vgpr86
	s_and_saveexec_b64 s[22:23], s[20:21]
	s_xor_b64 s[20:21], exec, s[22:23]
	s_cbranch_execz .LBB19_84
; %bb.83:                               ;   in Loop: Header=BB19_2 Depth=1
	v_lshlrev_b32_e32 v86, 2, v85
	ds_read_b32 v86, v86 offset:4
.LBB19_84:                              ;   in Loop: Header=BB19_2 Depth=1
	s_or_saveexec_b64 s[20:21], s[20:21]
	v_mov_b32_e32 v87, v83
	s_xor_b64 exec, exec, s[20:21]
	s_cbranch_execz .LBB19_86
; %bb.85:                               ;   in Loop: Header=BB19_2 Depth=1
	s_waitcnt lgkmcnt(0)
	v_lshlrev_b32_e32 v86, 2, v84
	ds_read_b32 v87, v86 offset:4
	v_mov_b32_e32 v86, v82
.LBB19_86:                              ;   in Loop: Header=BB19_2 Depth=1
	s_or_b64 exec, exec, s[20:21]
	v_add_u32_e32 v89, 1, v85
	v_add_u32_e32 v88, 1, v84
	v_cndmask_b32_e64 v89, v89, v85, s[18:19]
	v_cndmask_b32_e64 v88, v84, v88, s[18:19]
	v_cmp_ge_i32_e64 s[22:23], v89, v21
	s_waitcnt lgkmcnt(0)
	v_cmp_lt_i32_e64 s[24:25], v87, v86
	v_cmp_lt_i32_e64 s[20:21], v88, v22
	s_or_b64 s[22:23], s[22:23], s[24:25]
	s_and_b64 s[20:21], s[20:21], s[22:23]
	s_xor_b64 s[22:23], s[20:21], -1
                                        ; implicit-def: $vgpr90
	s_and_saveexec_b64 s[24:25], s[22:23]
	s_xor_b64 s[22:23], exec, s[24:25]
	s_cbranch_execz .LBB19_88
; %bb.87:                               ;   in Loop: Header=BB19_2 Depth=1
	v_lshlrev_b32_e32 v90, 2, v89
	ds_read_b32 v90, v90 offset:4
.LBB19_88:                              ;   in Loop: Header=BB19_2 Depth=1
	s_or_saveexec_b64 s[22:23], s[22:23]
	v_mov_b32_e32 v91, v87
	s_xor_b64 exec, exec, s[22:23]
	s_cbranch_execz .LBB19_90
; %bb.89:                               ;   in Loop: Header=BB19_2 Depth=1
	s_waitcnt lgkmcnt(0)
	v_lshlrev_b32_e32 v90, 2, v88
	ds_read_b32 v91, v90 offset:4
	v_mov_b32_e32 v90, v86
.LBB19_90:                              ;   in Loop: Header=BB19_2 Depth=1
	s_or_b64 exec, exec, s[22:23]
	v_add_u32_e32 v93, 1, v89
	v_add_u32_e32 v92, 1, v88
	v_cndmask_b32_e64 v93, v93, v89, s[20:21]
	v_cndmask_b32_e64 v92, v88, v92, s[20:21]
	v_cmp_ge_i32_e64 s[24:25], v93, v21
	s_waitcnt lgkmcnt(0)
	v_cmp_lt_i32_e64 s[26:27], v91, v90
	v_cmp_lt_i32_e64 s[22:23], v92, v22
	s_or_b64 s[24:25], s[24:25], s[26:27]
	s_and_b64 s[22:23], s[22:23], s[24:25]
	s_xor_b64 s[24:25], s[22:23], -1
                                        ; implicit-def: $vgpr94
	s_and_saveexec_b64 s[26:27], s[24:25]
	s_xor_b64 s[24:25], exec, s[26:27]
	s_cbranch_execz .LBB19_92
; %bb.91:                               ;   in Loop: Header=BB19_2 Depth=1
	v_lshlrev_b32_e32 v94, 2, v93
	ds_read_b32 v94, v94 offset:4
.LBB19_92:                              ;   in Loop: Header=BB19_2 Depth=1
	s_or_saveexec_b64 s[24:25], s[24:25]
	v_mov_b32_e32 v95, v91
	s_xor_b64 exec, exec, s[24:25]
	s_cbranch_execz .LBB19_94
; %bb.93:                               ;   in Loop: Header=BB19_2 Depth=1
	s_waitcnt lgkmcnt(0)
	v_lshlrev_b32_e32 v94, 2, v92
	ds_read_b32 v95, v94 offset:4
	v_mov_b32_e32 v94, v90
.LBB19_94:                              ;   in Loop: Header=BB19_2 Depth=1
	s_or_b64 exec, exec, s[24:25]
	v_add_u32_e32 v98, 1, v93
	v_add_u32_e32 v96, 1, v92
	v_cndmask_b32_e64 v98, v98, v93, s[22:23]
	v_cndmask_b32_e64 v97, v92, v96, s[22:23]
	v_cmp_ge_i32_e64 s[26:27], v98, v21
	s_waitcnt lgkmcnt(0)
	v_cmp_lt_i32_e64 s[28:29], v95, v94
	v_cmp_lt_i32_e64 s[24:25], v97, v22
	s_or_b64 s[26:27], s[26:27], s[28:29]
	s_and_b64 s[24:25], s[24:25], s[26:27]
	s_xor_b64 s[26:27], s[24:25], -1
                                        ; implicit-def: $vgpr96
	s_and_saveexec_b64 s[28:29], s[26:27]
	s_xor_b64 s[26:27], exec, s[28:29]
	s_cbranch_execz .LBB19_96
; %bb.95:                               ;   in Loop: Header=BB19_2 Depth=1
	v_lshlrev_b32_e32 v96, 2, v98
	ds_read_b32 v96, v96 offset:4
.LBB19_96:                              ;   in Loop: Header=BB19_2 Depth=1
	s_or_saveexec_b64 s[26:27], s[26:27]
	v_mov_b32_e32 v99, v95
	s_xor_b64 exec, exec, s[26:27]
	s_cbranch_execz .LBB19_98
; %bb.97:                               ;   in Loop: Header=BB19_2 Depth=1
	s_waitcnt lgkmcnt(0)
	v_lshlrev_b32_e32 v96, 2, v97
	ds_read_b32 v99, v96 offset:4
	v_mov_b32_e32 v96, v94
.LBB19_98:                              ;   in Loop: Header=BB19_2 Depth=1
	s_or_b64 exec, exec, s[26:27]
	v_add_u32_e32 v100, 1, v98
	v_cndmask_b32_e64 v94, v94, v95, s[24:25]
	v_add_u32_e32 v95, 1, v97
	v_cndmask_b32_e64 v100, v100, v98, s[24:25]
	v_cndmask_b32_e64 v95, v97, v95, s[24:25]
	;; [unrolled: 1-line block ×6, first 2 shown]
	v_cmp_ge_i32_e64 s[14:15], v100, v21
	s_waitcnt lgkmcnt(0)
	v_cmp_lt_i32_e64 s[16:17], v99, v96
	v_cndmask_b32_e64 v71, v71, v73, s[12:13]
	v_cndmask_b32_e64 v70, v72, v70, s[12:13]
	v_cmp_lt_i32_e64 s[12:13], v95, v22
	s_or_b64 s[14:15], s[14:15], s[16:17]
	s_and_b64 s[12:13], s[12:13], s[14:15]
	v_cndmask_b32_e64 v97, v98, v97, s[24:25]
	v_cndmask_b32_e64 v90, v90, v91, s[22:23]
	;; [unrolled: 1-line block ×8, first 2 shown]
	s_barrier
	ds_write2_b32 v3, v62, v63 offset1:1
	ds_write2_b32 v3, v64, v65 offset0:2 offset1:3
	ds_write2_b32 v3, v66, v67 offset0:4 offset1:5
	;; [unrolled: 1-line block ×3, first 2 shown]
	v_lshlrev_b32_e32 v62, 2, v70
	v_lshlrev_b32_e32 v63, 2, v75
	;; [unrolled: 1-line block ×8, first 2 shown]
	s_waitcnt lgkmcnt(0)
	s_barrier
	ds_read_b32 v62, v62
	ds_read_b32 v63, v63
	;; [unrolled: 1-line block ×8, first 2 shown]
	v_cndmask_b32_e64 v72, v96, v99, s[12:13]
	s_waitcnt lgkmcnt(0)
	s_barrier
	ds_write2_b32 v3, v71, v74 offset1:1
	ds_write2_b32 v3, v78, v82 offset0:2 offset1:3
	ds_write2_b32 v3, v86, v90 offset0:4 offset1:5
	;; [unrolled: 1-line block ×3, first 2 shown]
	v_mov_b32_e32 v72, v37
	s_waitcnt lgkmcnt(0)
	s_barrier
	s_and_saveexec_b64 s[14:15], s[4:5]
	s_cbranch_execz .LBB19_102
; %bb.99:                               ;   in Loop: Header=BB19_2 Depth=1
	s_mov_b64 s[16:17], 0
	v_mov_b32_e32 v72, v37
	v_mov_b32_e32 v70, v32
.LBB19_100:                             ;   Parent Loop BB19_2 Depth=1
                                        ; =>  This Inner Loop Header: Depth=2
	v_sub_u32_e32 v71, v70, v72
	v_lshrrev_b32_e32 v73, 31, v71
	v_add_u32_e32 v71, v71, v73
	v_ashrrev_i32_e32 v71, 1, v71
	v_add_u32_e32 v71, v71, v72
	v_xad_u32 v74, v71, -1, v11
	v_lshl_add_u32 v73, v71, 2, v51
	v_lshl_add_u32 v74, v74, 2, v52
	ds_read_b32 v73, v73
	ds_read_b32 v74, v74
	v_add_u32_e32 v75, 1, v71
	s_waitcnt lgkmcnt(0)
	v_cmp_lt_i32_e64 s[12:13], v74, v73
	s_nop 1
	v_cndmask_b32_e64 v70, v70, v71, s[12:13]
	v_cndmask_b32_e64 v72, v75, v72, s[12:13]
	v_cmp_ge_i32_e64 s[12:13], v72, v70
	s_or_b64 s[16:17], s[12:13], s[16:17]
	s_andn2_b64 exec, exec, s[16:17]
	s_cbranch_execnz .LBB19_100
; %bb.101:                              ;   in Loop: Header=BB19_2 Depth=1
	s_or_b64 exec, exec, s[16:17]
.LBB19_102:                             ;   in Loop: Header=BB19_2 Depth=1
	s_or_b64 exec, exec, s[14:15]
	v_sub_u32_e32 v70, v53, v72
	v_lshl_add_u32 v77, v72, 2, v51
	v_lshlrev_b32_e32 v76, 2, v70
	ds_read_b32 v71, v77
	ds_read_b32 v73, v76
	v_add_u32_e32 v72, v72, v10
	v_cmp_le_i32_e64 s[14:15], v23, v72
	v_cmp_gt_i32_e64 s[12:13], v24, v70
                                        ; implicit-def: $vgpr74
                                        ; implicit-def: $vgpr75
	s_waitcnt lgkmcnt(0)
	v_cmp_lt_i32_e64 s[16:17], v73, v71
	s_or_b64 s[14:15], s[14:15], s[16:17]
	s_and_b64 s[12:13], s[12:13], s[14:15]
	s_xor_b64 s[14:15], s[12:13], -1
	s_and_saveexec_b64 s[16:17], s[14:15]
	s_xor_b64 s[14:15], exec, s[16:17]
	s_cbranch_execz .LBB19_104
; %bb.103:                              ;   in Loop: Header=BB19_2 Depth=1
	ds_read_b32 v75, v77 offset:4
	v_mov_b32_e32 v74, v73
                                        ; implicit-def: $vgpr76
.LBB19_104:                             ;   in Loop: Header=BB19_2 Depth=1
	s_andn2_saveexec_b64 s[14:15], s[14:15]
	s_cbranch_execz .LBB19_106
; %bb.105:                              ;   in Loop: Header=BB19_2 Depth=1
	ds_read_b32 v74, v76 offset:4
	s_waitcnt lgkmcnt(1)
	v_mov_b32_e32 v75, v71
.LBB19_106:                             ;   in Loop: Header=BB19_2 Depth=1
	s_or_b64 exec, exec, s[14:15]
	v_add_u32_e32 v77, 1, v72
	v_add_u32_e32 v76, 1, v70
	v_cndmask_b32_e64 v77, v77, v72, s[12:13]
	v_cndmask_b32_e64 v76, v70, v76, s[12:13]
	v_cmp_ge_i32_e64 s[16:17], v77, v23
	s_waitcnt lgkmcnt(0)
	v_cmp_lt_i32_e64 s[18:19], v74, v75
	v_cmp_lt_i32_e64 s[14:15], v76, v24
	s_or_b64 s[16:17], s[16:17], s[18:19]
	s_and_b64 s[14:15], s[14:15], s[16:17]
	s_xor_b64 s[16:17], s[14:15], -1
                                        ; implicit-def: $vgpr78
	s_and_saveexec_b64 s[18:19], s[16:17]
	s_xor_b64 s[16:17], exec, s[18:19]
	s_cbranch_execz .LBB19_108
; %bb.107:                              ;   in Loop: Header=BB19_2 Depth=1
	v_lshlrev_b32_e32 v78, 2, v77
	ds_read_b32 v78, v78 offset:4
.LBB19_108:                             ;   in Loop: Header=BB19_2 Depth=1
	s_or_saveexec_b64 s[16:17], s[16:17]
	v_mov_b32_e32 v79, v74
	s_xor_b64 exec, exec, s[16:17]
	s_cbranch_execz .LBB19_110
; %bb.109:                              ;   in Loop: Header=BB19_2 Depth=1
	s_waitcnt lgkmcnt(0)
	v_lshlrev_b32_e32 v78, 2, v76
	ds_read_b32 v79, v78 offset:4
	v_mov_b32_e32 v78, v75
.LBB19_110:                             ;   in Loop: Header=BB19_2 Depth=1
	s_or_b64 exec, exec, s[16:17]
	v_add_u32_e32 v81, 1, v77
	v_add_u32_e32 v80, 1, v76
	v_cndmask_b32_e64 v81, v81, v77, s[14:15]
	v_cndmask_b32_e64 v80, v76, v80, s[14:15]
	v_cmp_ge_i32_e64 s[18:19], v81, v23
	s_waitcnt lgkmcnt(0)
	v_cmp_lt_i32_e64 s[20:21], v79, v78
	v_cmp_lt_i32_e64 s[16:17], v80, v24
	s_or_b64 s[18:19], s[18:19], s[20:21]
	s_and_b64 s[16:17], s[16:17], s[18:19]
	s_xor_b64 s[18:19], s[16:17], -1
                                        ; implicit-def: $vgpr82
	s_and_saveexec_b64 s[20:21], s[18:19]
	s_xor_b64 s[18:19], exec, s[20:21]
	s_cbranch_execz .LBB19_112
; %bb.111:                              ;   in Loop: Header=BB19_2 Depth=1
	v_lshlrev_b32_e32 v82, 2, v81
	ds_read_b32 v82, v82 offset:4
.LBB19_112:                             ;   in Loop: Header=BB19_2 Depth=1
	s_or_saveexec_b64 s[18:19], s[18:19]
	v_mov_b32_e32 v83, v79
	s_xor_b64 exec, exec, s[18:19]
	s_cbranch_execz .LBB19_114
; %bb.113:                              ;   in Loop: Header=BB19_2 Depth=1
	s_waitcnt lgkmcnt(0)
	v_lshlrev_b32_e32 v82, 2, v80
	ds_read_b32 v83, v82 offset:4
	v_mov_b32_e32 v82, v78
.LBB19_114:                             ;   in Loop: Header=BB19_2 Depth=1
	s_or_b64 exec, exec, s[18:19]
	v_add_u32_e32 v85, 1, v81
	v_add_u32_e32 v84, 1, v80
	v_cndmask_b32_e64 v85, v85, v81, s[16:17]
	v_cndmask_b32_e64 v84, v80, v84, s[16:17]
	v_cmp_ge_i32_e64 s[20:21], v85, v23
	s_waitcnt lgkmcnt(0)
	v_cmp_lt_i32_e64 s[22:23], v83, v82
	v_cmp_lt_i32_e64 s[18:19], v84, v24
	s_or_b64 s[20:21], s[20:21], s[22:23]
	s_and_b64 s[18:19], s[18:19], s[20:21]
	s_xor_b64 s[20:21], s[18:19], -1
                                        ; implicit-def: $vgpr86
	s_and_saveexec_b64 s[22:23], s[20:21]
	s_xor_b64 s[20:21], exec, s[22:23]
	s_cbranch_execz .LBB19_116
; %bb.115:                              ;   in Loop: Header=BB19_2 Depth=1
	v_lshlrev_b32_e32 v86, 2, v85
	ds_read_b32 v86, v86 offset:4
.LBB19_116:                             ;   in Loop: Header=BB19_2 Depth=1
	s_or_saveexec_b64 s[20:21], s[20:21]
	v_mov_b32_e32 v87, v83
	s_xor_b64 exec, exec, s[20:21]
	s_cbranch_execz .LBB19_118
; %bb.117:                              ;   in Loop: Header=BB19_2 Depth=1
	s_waitcnt lgkmcnt(0)
	v_lshlrev_b32_e32 v86, 2, v84
	ds_read_b32 v87, v86 offset:4
	v_mov_b32_e32 v86, v82
.LBB19_118:                             ;   in Loop: Header=BB19_2 Depth=1
	s_or_b64 exec, exec, s[20:21]
	v_add_u32_e32 v89, 1, v85
	v_add_u32_e32 v88, 1, v84
	v_cndmask_b32_e64 v89, v89, v85, s[18:19]
	v_cndmask_b32_e64 v88, v84, v88, s[18:19]
	v_cmp_ge_i32_e64 s[22:23], v89, v23
	s_waitcnt lgkmcnt(0)
	v_cmp_lt_i32_e64 s[24:25], v87, v86
	v_cmp_lt_i32_e64 s[20:21], v88, v24
	s_or_b64 s[22:23], s[22:23], s[24:25]
	s_and_b64 s[20:21], s[20:21], s[22:23]
	s_xor_b64 s[22:23], s[20:21], -1
                                        ; implicit-def: $vgpr90
	s_and_saveexec_b64 s[24:25], s[22:23]
	s_xor_b64 s[22:23], exec, s[24:25]
	s_cbranch_execz .LBB19_120
; %bb.119:                              ;   in Loop: Header=BB19_2 Depth=1
	v_lshlrev_b32_e32 v90, 2, v89
	ds_read_b32 v90, v90 offset:4
.LBB19_120:                             ;   in Loop: Header=BB19_2 Depth=1
	s_or_saveexec_b64 s[22:23], s[22:23]
	v_mov_b32_e32 v91, v87
	s_xor_b64 exec, exec, s[22:23]
	s_cbranch_execz .LBB19_122
; %bb.121:                              ;   in Loop: Header=BB19_2 Depth=1
	s_waitcnt lgkmcnt(0)
	v_lshlrev_b32_e32 v90, 2, v88
	ds_read_b32 v91, v90 offset:4
	v_mov_b32_e32 v90, v86
.LBB19_122:                             ;   in Loop: Header=BB19_2 Depth=1
	s_or_b64 exec, exec, s[22:23]
	v_add_u32_e32 v93, 1, v89
	v_add_u32_e32 v92, 1, v88
	v_cndmask_b32_e64 v93, v93, v89, s[20:21]
	v_cndmask_b32_e64 v92, v88, v92, s[20:21]
	v_cmp_ge_i32_e64 s[24:25], v93, v23
	s_waitcnt lgkmcnt(0)
	v_cmp_lt_i32_e64 s[26:27], v91, v90
	v_cmp_lt_i32_e64 s[22:23], v92, v24
	s_or_b64 s[24:25], s[24:25], s[26:27]
	s_and_b64 s[22:23], s[22:23], s[24:25]
	s_xor_b64 s[24:25], s[22:23], -1
                                        ; implicit-def: $vgpr94
	s_and_saveexec_b64 s[26:27], s[24:25]
	s_xor_b64 s[24:25], exec, s[26:27]
	s_cbranch_execz .LBB19_124
; %bb.123:                              ;   in Loop: Header=BB19_2 Depth=1
	v_lshlrev_b32_e32 v94, 2, v93
	ds_read_b32 v94, v94 offset:4
.LBB19_124:                             ;   in Loop: Header=BB19_2 Depth=1
	s_or_saveexec_b64 s[24:25], s[24:25]
	v_mov_b32_e32 v95, v91
	s_xor_b64 exec, exec, s[24:25]
	s_cbranch_execz .LBB19_126
; %bb.125:                              ;   in Loop: Header=BB19_2 Depth=1
	s_waitcnt lgkmcnt(0)
	v_lshlrev_b32_e32 v94, 2, v92
	ds_read_b32 v95, v94 offset:4
	v_mov_b32_e32 v94, v90
.LBB19_126:                             ;   in Loop: Header=BB19_2 Depth=1
	s_or_b64 exec, exec, s[24:25]
	v_add_u32_e32 v98, 1, v93
	v_add_u32_e32 v96, 1, v92
	v_cndmask_b32_e64 v98, v98, v93, s[22:23]
	v_cndmask_b32_e64 v97, v92, v96, s[22:23]
	v_cmp_ge_i32_e64 s[26:27], v98, v23
	s_waitcnt lgkmcnt(0)
	v_cmp_lt_i32_e64 s[28:29], v95, v94
	v_cmp_lt_i32_e64 s[24:25], v97, v24
	s_or_b64 s[26:27], s[26:27], s[28:29]
	s_and_b64 s[24:25], s[24:25], s[26:27]
	s_xor_b64 s[26:27], s[24:25], -1
                                        ; implicit-def: $vgpr96
	s_and_saveexec_b64 s[28:29], s[26:27]
	s_xor_b64 s[26:27], exec, s[28:29]
	s_cbranch_execz .LBB19_128
; %bb.127:                              ;   in Loop: Header=BB19_2 Depth=1
	v_lshlrev_b32_e32 v96, 2, v98
	ds_read_b32 v96, v96 offset:4
.LBB19_128:                             ;   in Loop: Header=BB19_2 Depth=1
	s_or_saveexec_b64 s[26:27], s[26:27]
	v_mov_b32_e32 v99, v95
	s_xor_b64 exec, exec, s[26:27]
	s_cbranch_execz .LBB19_130
; %bb.129:                              ;   in Loop: Header=BB19_2 Depth=1
	s_waitcnt lgkmcnt(0)
	v_lshlrev_b32_e32 v96, 2, v97
	ds_read_b32 v99, v96 offset:4
	v_mov_b32_e32 v96, v94
.LBB19_130:                             ;   in Loop: Header=BB19_2 Depth=1
	s_or_b64 exec, exec, s[26:27]
	v_add_u32_e32 v100, 1, v98
	v_cndmask_b32_e64 v94, v94, v95, s[24:25]
	v_add_u32_e32 v95, 1, v97
	v_cndmask_b32_e64 v100, v100, v98, s[24:25]
	v_cndmask_b32_e64 v95, v97, v95, s[24:25]
	;; [unrolled: 1-line block ×6, first 2 shown]
	v_cmp_ge_i32_e64 s[14:15], v100, v23
	s_waitcnt lgkmcnt(0)
	v_cmp_lt_i32_e64 s[16:17], v99, v96
	v_cndmask_b32_e64 v71, v71, v73, s[12:13]
	v_cndmask_b32_e64 v70, v72, v70, s[12:13]
	v_cmp_lt_i32_e64 s[12:13], v95, v24
	s_or_b64 s[14:15], s[14:15], s[16:17]
	s_and_b64 s[12:13], s[12:13], s[14:15]
	v_cndmask_b32_e64 v97, v98, v97, s[24:25]
	v_cndmask_b32_e64 v90, v90, v91, s[22:23]
	;; [unrolled: 1-line block ×8, first 2 shown]
	s_barrier
	ds_write2_b32 v3, v62, v63 offset1:1
	ds_write2_b32 v3, v64, v65 offset0:2 offset1:3
	ds_write2_b32 v3, v66, v67 offset0:4 offset1:5
	;; [unrolled: 1-line block ×3, first 2 shown]
	v_lshlrev_b32_e32 v62, 2, v70
	v_lshlrev_b32_e32 v63, 2, v75
	;; [unrolled: 1-line block ×8, first 2 shown]
	s_waitcnt lgkmcnt(0)
	s_barrier
	ds_read_b32 v62, v62
	ds_read_b32 v63, v63
	;; [unrolled: 1-line block ×8, first 2 shown]
	v_cndmask_b32_e64 v72, v96, v99, s[12:13]
	s_waitcnt lgkmcnt(0)
	s_barrier
	ds_write2_b32 v3, v71, v74 offset1:1
	ds_write2_b32 v3, v78, v82 offset0:2 offset1:3
	ds_write2_b32 v3, v86, v90 offset0:4 offset1:5
	;; [unrolled: 1-line block ×3, first 2 shown]
	v_mov_b32_e32 v72, v38
	s_waitcnt lgkmcnt(0)
	s_barrier
	s_and_saveexec_b64 s[14:15], s[6:7]
	s_cbranch_execz .LBB19_134
; %bb.131:                              ;   in Loop: Header=BB19_2 Depth=1
	s_mov_b64 s[16:17], 0
	v_mov_b32_e32 v72, v38
	v_mov_b32_e32 v70, v33
.LBB19_132:                             ;   Parent Loop BB19_2 Depth=1
                                        ; =>  This Inner Loop Header: Depth=2
	v_sub_u32_e32 v71, v70, v72
	v_lshrrev_b32_e32 v73, 31, v71
	v_add_u32_e32 v71, v71, v73
	v_ashrrev_i32_e32 v71, 1, v71
	v_add_u32_e32 v71, v71, v72
	v_xad_u32 v74, v71, -1, v13
	v_lshl_add_u32 v73, v71, 2, v54
	v_lshl_add_u32 v74, v74, 2, v55
	ds_read_b32 v73, v73
	ds_read_b32 v74, v74
	v_add_u32_e32 v75, 1, v71
	s_waitcnt lgkmcnt(0)
	v_cmp_lt_i32_e64 s[12:13], v74, v73
	s_nop 1
	v_cndmask_b32_e64 v70, v70, v71, s[12:13]
	v_cndmask_b32_e64 v72, v75, v72, s[12:13]
	v_cmp_ge_i32_e64 s[12:13], v72, v70
	s_or_b64 s[16:17], s[12:13], s[16:17]
	s_andn2_b64 exec, exec, s[16:17]
	s_cbranch_execnz .LBB19_132
; %bb.133:                              ;   in Loop: Header=BB19_2 Depth=1
	s_or_b64 exec, exec, s[16:17]
.LBB19_134:                             ;   in Loop: Header=BB19_2 Depth=1
	s_or_b64 exec, exec, s[14:15]
	v_sub_u32_e32 v70, v56, v72
	v_lshl_add_u32 v77, v72, 2, v54
	v_lshlrev_b32_e32 v76, 2, v70
	ds_read_b32 v71, v77
	ds_read_b32 v73, v76
	v_add_u32_e32 v72, v72, v12
	v_cmp_le_i32_e64 s[14:15], v25, v72
	v_cmp_gt_i32_e64 s[12:13], v26, v70
                                        ; implicit-def: $vgpr74
                                        ; implicit-def: $vgpr75
	s_waitcnt lgkmcnt(0)
	v_cmp_lt_i32_e64 s[16:17], v73, v71
	s_or_b64 s[14:15], s[14:15], s[16:17]
	s_and_b64 s[12:13], s[12:13], s[14:15]
	s_xor_b64 s[14:15], s[12:13], -1
	s_and_saveexec_b64 s[16:17], s[14:15]
	s_xor_b64 s[14:15], exec, s[16:17]
	s_cbranch_execz .LBB19_136
; %bb.135:                              ;   in Loop: Header=BB19_2 Depth=1
	ds_read_b32 v75, v77 offset:4
	v_mov_b32_e32 v74, v73
                                        ; implicit-def: $vgpr76
.LBB19_136:                             ;   in Loop: Header=BB19_2 Depth=1
	s_andn2_saveexec_b64 s[14:15], s[14:15]
	s_cbranch_execz .LBB19_138
; %bb.137:                              ;   in Loop: Header=BB19_2 Depth=1
	ds_read_b32 v74, v76 offset:4
	s_waitcnt lgkmcnt(1)
	v_mov_b32_e32 v75, v71
.LBB19_138:                             ;   in Loop: Header=BB19_2 Depth=1
	s_or_b64 exec, exec, s[14:15]
	v_add_u32_e32 v77, 1, v72
	v_add_u32_e32 v76, 1, v70
	v_cndmask_b32_e64 v77, v77, v72, s[12:13]
	v_cndmask_b32_e64 v76, v70, v76, s[12:13]
	v_cmp_ge_i32_e64 s[16:17], v77, v25
	s_waitcnt lgkmcnt(0)
	v_cmp_lt_i32_e64 s[18:19], v74, v75
	v_cmp_lt_i32_e64 s[14:15], v76, v26
	s_or_b64 s[16:17], s[16:17], s[18:19]
	s_and_b64 s[14:15], s[14:15], s[16:17]
	s_xor_b64 s[16:17], s[14:15], -1
                                        ; implicit-def: $vgpr78
	s_and_saveexec_b64 s[18:19], s[16:17]
	s_xor_b64 s[16:17], exec, s[18:19]
	s_cbranch_execz .LBB19_140
; %bb.139:                              ;   in Loop: Header=BB19_2 Depth=1
	v_lshlrev_b32_e32 v78, 2, v77
	ds_read_b32 v78, v78 offset:4
.LBB19_140:                             ;   in Loop: Header=BB19_2 Depth=1
	s_or_saveexec_b64 s[16:17], s[16:17]
	v_mov_b32_e32 v79, v74
	s_xor_b64 exec, exec, s[16:17]
	s_cbranch_execz .LBB19_142
; %bb.141:                              ;   in Loop: Header=BB19_2 Depth=1
	s_waitcnt lgkmcnt(0)
	v_lshlrev_b32_e32 v78, 2, v76
	ds_read_b32 v79, v78 offset:4
	v_mov_b32_e32 v78, v75
.LBB19_142:                             ;   in Loop: Header=BB19_2 Depth=1
	s_or_b64 exec, exec, s[16:17]
	v_add_u32_e32 v81, 1, v77
	v_add_u32_e32 v80, 1, v76
	v_cndmask_b32_e64 v81, v81, v77, s[14:15]
	v_cndmask_b32_e64 v80, v76, v80, s[14:15]
	v_cmp_ge_i32_e64 s[18:19], v81, v25
	s_waitcnt lgkmcnt(0)
	v_cmp_lt_i32_e64 s[20:21], v79, v78
	v_cmp_lt_i32_e64 s[16:17], v80, v26
	s_or_b64 s[18:19], s[18:19], s[20:21]
	s_and_b64 s[16:17], s[16:17], s[18:19]
	s_xor_b64 s[18:19], s[16:17], -1
                                        ; implicit-def: $vgpr82
	s_and_saveexec_b64 s[20:21], s[18:19]
	s_xor_b64 s[18:19], exec, s[20:21]
	s_cbranch_execz .LBB19_144
; %bb.143:                              ;   in Loop: Header=BB19_2 Depth=1
	v_lshlrev_b32_e32 v82, 2, v81
	ds_read_b32 v82, v82 offset:4
.LBB19_144:                             ;   in Loop: Header=BB19_2 Depth=1
	s_or_saveexec_b64 s[18:19], s[18:19]
	v_mov_b32_e32 v83, v79
	s_xor_b64 exec, exec, s[18:19]
	s_cbranch_execz .LBB19_146
; %bb.145:                              ;   in Loop: Header=BB19_2 Depth=1
	s_waitcnt lgkmcnt(0)
	v_lshlrev_b32_e32 v82, 2, v80
	ds_read_b32 v83, v82 offset:4
	v_mov_b32_e32 v82, v78
.LBB19_146:                             ;   in Loop: Header=BB19_2 Depth=1
	s_or_b64 exec, exec, s[18:19]
	v_add_u32_e32 v85, 1, v81
	v_add_u32_e32 v84, 1, v80
	v_cndmask_b32_e64 v85, v85, v81, s[16:17]
	v_cndmask_b32_e64 v84, v80, v84, s[16:17]
	v_cmp_ge_i32_e64 s[20:21], v85, v25
	s_waitcnt lgkmcnt(0)
	v_cmp_lt_i32_e64 s[22:23], v83, v82
	v_cmp_lt_i32_e64 s[18:19], v84, v26
	s_or_b64 s[20:21], s[20:21], s[22:23]
	s_and_b64 s[18:19], s[18:19], s[20:21]
	s_xor_b64 s[20:21], s[18:19], -1
                                        ; implicit-def: $vgpr86
	s_and_saveexec_b64 s[22:23], s[20:21]
	s_xor_b64 s[20:21], exec, s[22:23]
	s_cbranch_execz .LBB19_148
; %bb.147:                              ;   in Loop: Header=BB19_2 Depth=1
	v_lshlrev_b32_e32 v86, 2, v85
	ds_read_b32 v86, v86 offset:4
.LBB19_148:                             ;   in Loop: Header=BB19_2 Depth=1
	s_or_saveexec_b64 s[20:21], s[20:21]
	v_mov_b32_e32 v87, v83
	s_xor_b64 exec, exec, s[20:21]
	s_cbranch_execz .LBB19_150
; %bb.149:                              ;   in Loop: Header=BB19_2 Depth=1
	s_waitcnt lgkmcnt(0)
	v_lshlrev_b32_e32 v86, 2, v84
	ds_read_b32 v87, v86 offset:4
	v_mov_b32_e32 v86, v82
.LBB19_150:                             ;   in Loop: Header=BB19_2 Depth=1
	s_or_b64 exec, exec, s[20:21]
	v_add_u32_e32 v89, 1, v85
	v_add_u32_e32 v88, 1, v84
	v_cndmask_b32_e64 v89, v89, v85, s[18:19]
	v_cndmask_b32_e64 v88, v84, v88, s[18:19]
	v_cmp_ge_i32_e64 s[22:23], v89, v25
	s_waitcnt lgkmcnt(0)
	v_cmp_lt_i32_e64 s[24:25], v87, v86
	v_cmp_lt_i32_e64 s[20:21], v88, v26
	s_or_b64 s[22:23], s[22:23], s[24:25]
	s_and_b64 s[20:21], s[20:21], s[22:23]
	s_xor_b64 s[22:23], s[20:21], -1
                                        ; implicit-def: $vgpr90
	s_and_saveexec_b64 s[24:25], s[22:23]
	s_xor_b64 s[22:23], exec, s[24:25]
	s_cbranch_execz .LBB19_152
; %bb.151:                              ;   in Loop: Header=BB19_2 Depth=1
	v_lshlrev_b32_e32 v90, 2, v89
	ds_read_b32 v90, v90 offset:4
.LBB19_152:                             ;   in Loop: Header=BB19_2 Depth=1
	s_or_saveexec_b64 s[22:23], s[22:23]
	v_mov_b32_e32 v91, v87
	s_xor_b64 exec, exec, s[22:23]
	s_cbranch_execz .LBB19_154
; %bb.153:                              ;   in Loop: Header=BB19_2 Depth=1
	s_waitcnt lgkmcnt(0)
	v_lshlrev_b32_e32 v90, 2, v88
	ds_read_b32 v91, v90 offset:4
	v_mov_b32_e32 v90, v86
.LBB19_154:                             ;   in Loop: Header=BB19_2 Depth=1
	s_or_b64 exec, exec, s[22:23]
	v_add_u32_e32 v93, 1, v89
	v_add_u32_e32 v92, 1, v88
	v_cndmask_b32_e64 v93, v93, v89, s[20:21]
	v_cndmask_b32_e64 v92, v88, v92, s[20:21]
	v_cmp_ge_i32_e64 s[24:25], v93, v25
	s_waitcnt lgkmcnt(0)
	v_cmp_lt_i32_e64 s[26:27], v91, v90
	v_cmp_lt_i32_e64 s[22:23], v92, v26
	s_or_b64 s[24:25], s[24:25], s[26:27]
	s_and_b64 s[22:23], s[22:23], s[24:25]
	s_xor_b64 s[24:25], s[22:23], -1
                                        ; implicit-def: $vgpr94
	s_and_saveexec_b64 s[26:27], s[24:25]
	s_xor_b64 s[24:25], exec, s[26:27]
	s_cbranch_execz .LBB19_156
; %bb.155:                              ;   in Loop: Header=BB19_2 Depth=1
	v_lshlrev_b32_e32 v94, 2, v93
	ds_read_b32 v94, v94 offset:4
.LBB19_156:                             ;   in Loop: Header=BB19_2 Depth=1
	s_or_saveexec_b64 s[24:25], s[24:25]
	v_mov_b32_e32 v95, v91
	s_xor_b64 exec, exec, s[24:25]
	s_cbranch_execz .LBB19_158
; %bb.157:                              ;   in Loop: Header=BB19_2 Depth=1
	s_waitcnt lgkmcnt(0)
	v_lshlrev_b32_e32 v94, 2, v92
	ds_read_b32 v95, v94 offset:4
	v_mov_b32_e32 v94, v90
.LBB19_158:                             ;   in Loop: Header=BB19_2 Depth=1
	s_or_b64 exec, exec, s[24:25]
	v_add_u32_e32 v98, 1, v93
	v_add_u32_e32 v96, 1, v92
	v_cndmask_b32_e64 v98, v98, v93, s[22:23]
	v_cndmask_b32_e64 v97, v92, v96, s[22:23]
	v_cmp_ge_i32_e64 s[26:27], v98, v25
	s_waitcnt lgkmcnt(0)
	v_cmp_lt_i32_e64 s[28:29], v95, v94
	v_cmp_lt_i32_e64 s[24:25], v97, v26
	s_or_b64 s[26:27], s[26:27], s[28:29]
	s_and_b64 s[24:25], s[24:25], s[26:27]
	s_xor_b64 s[26:27], s[24:25], -1
                                        ; implicit-def: $vgpr96
	s_and_saveexec_b64 s[28:29], s[26:27]
	s_xor_b64 s[26:27], exec, s[28:29]
	s_cbranch_execz .LBB19_160
; %bb.159:                              ;   in Loop: Header=BB19_2 Depth=1
	v_lshlrev_b32_e32 v96, 2, v98
	ds_read_b32 v96, v96 offset:4
.LBB19_160:                             ;   in Loop: Header=BB19_2 Depth=1
	s_or_saveexec_b64 s[26:27], s[26:27]
	v_mov_b32_e32 v99, v95
	s_xor_b64 exec, exec, s[26:27]
	s_cbranch_execz .LBB19_162
; %bb.161:                              ;   in Loop: Header=BB19_2 Depth=1
	s_waitcnt lgkmcnt(0)
	v_lshlrev_b32_e32 v96, 2, v97
	ds_read_b32 v99, v96 offset:4
	v_mov_b32_e32 v96, v94
.LBB19_162:                             ;   in Loop: Header=BB19_2 Depth=1
	s_or_b64 exec, exec, s[26:27]
	v_add_u32_e32 v100, 1, v98
	v_cndmask_b32_e64 v94, v94, v95, s[24:25]
	v_add_u32_e32 v95, 1, v97
	v_cndmask_b32_e64 v100, v100, v98, s[24:25]
	v_cndmask_b32_e64 v95, v97, v95, s[24:25]
	;; [unrolled: 1-line block ×6, first 2 shown]
	v_cmp_ge_i32_e64 s[14:15], v100, v25
	s_waitcnt lgkmcnt(0)
	v_cmp_lt_i32_e64 s[16:17], v99, v96
	v_cndmask_b32_e64 v71, v71, v73, s[12:13]
	v_cndmask_b32_e64 v70, v72, v70, s[12:13]
	v_cmp_lt_i32_e64 s[12:13], v95, v26
	s_or_b64 s[14:15], s[14:15], s[16:17]
	s_and_b64 s[12:13], s[12:13], s[14:15]
	v_cndmask_b32_e64 v97, v98, v97, s[24:25]
	v_cndmask_b32_e64 v90, v90, v91, s[22:23]
	;; [unrolled: 1-line block ×8, first 2 shown]
	s_barrier
	ds_write2_b32 v3, v62, v63 offset1:1
	ds_write2_b32 v3, v64, v65 offset0:2 offset1:3
	ds_write2_b32 v3, v66, v67 offset0:4 offset1:5
	;; [unrolled: 1-line block ×3, first 2 shown]
	v_lshlrev_b32_e32 v62, 2, v70
	v_lshlrev_b32_e32 v63, 2, v75
	;; [unrolled: 1-line block ×8, first 2 shown]
	s_waitcnt lgkmcnt(0)
	s_barrier
	ds_read_b32 v62, v62
	ds_read_b32 v63, v63
	;; [unrolled: 1-line block ×8, first 2 shown]
	v_cndmask_b32_e64 v72, v96, v99, s[12:13]
	s_waitcnt lgkmcnt(0)
	s_barrier
	ds_write2_b32 v3, v71, v74 offset1:1
	ds_write2_b32 v3, v78, v82 offset0:2 offset1:3
	ds_write2_b32 v3, v86, v90 offset0:4 offset1:5
	;; [unrolled: 1-line block ×3, first 2 shown]
	v_mov_b32_e32 v72, v39
	s_waitcnt lgkmcnt(0)
	s_barrier
	s_and_saveexec_b64 s[14:15], s[8:9]
	s_cbranch_execz .LBB19_166
; %bb.163:                              ;   in Loop: Header=BB19_2 Depth=1
	s_mov_b64 s[16:17], 0
	v_mov_b32_e32 v72, v39
	v_mov_b32_e32 v70, v40
.LBB19_164:                             ;   Parent Loop BB19_2 Depth=1
                                        ; =>  This Inner Loop Header: Depth=2
	v_sub_u32_e32 v71, v70, v72
	v_lshrrev_b32_e32 v73, 31, v71
	v_add_u32_e32 v71, v71, v73
	v_ashrrev_i32_e32 v71, 1, v71
	v_add_u32_e32 v71, v71, v72
	v_xad_u32 v74, v71, -1, v15
	v_lshl_add_u32 v73, v71, 2, v57
	v_lshl_add_u32 v74, v74, 2, v58
	ds_read_b32 v73, v73
	ds_read_b32 v74, v74
	v_add_u32_e32 v75, 1, v71
	s_waitcnt lgkmcnt(0)
	v_cmp_lt_i32_e64 s[12:13], v74, v73
	s_nop 1
	v_cndmask_b32_e64 v70, v70, v71, s[12:13]
	v_cndmask_b32_e64 v72, v75, v72, s[12:13]
	v_cmp_ge_i32_e64 s[12:13], v72, v70
	s_or_b64 s[16:17], s[12:13], s[16:17]
	s_andn2_b64 exec, exec, s[16:17]
	s_cbranch_execnz .LBB19_164
; %bb.165:                              ;   in Loop: Header=BB19_2 Depth=1
	s_or_b64 exec, exec, s[16:17]
.LBB19_166:                             ;   in Loop: Header=BB19_2 Depth=1
	s_or_b64 exec, exec, s[14:15]
	v_sub_u32_e32 v70, v59, v72
	v_lshl_add_u32 v77, v72, 2, v57
	v_lshlrev_b32_e32 v76, 2, v70
	ds_read_b32 v71, v77
	ds_read_b32 v73, v76
	v_add_u32_e32 v72, v72, v14
	v_cmp_le_i32_e64 s[14:15], v27, v72
	v_cmp_gt_i32_e64 s[12:13], v28, v70
                                        ; implicit-def: $vgpr74
                                        ; implicit-def: $vgpr75
	s_waitcnt lgkmcnt(0)
	v_cmp_lt_i32_e64 s[16:17], v73, v71
	s_or_b64 s[14:15], s[14:15], s[16:17]
	s_and_b64 s[12:13], s[12:13], s[14:15]
	s_xor_b64 s[14:15], s[12:13], -1
	s_and_saveexec_b64 s[16:17], s[14:15]
	s_xor_b64 s[14:15], exec, s[16:17]
	s_cbranch_execz .LBB19_168
; %bb.167:                              ;   in Loop: Header=BB19_2 Depth=1
	ds_read_b32 v75, v77 offset:4
	v_mov_b32_e32 v74, v73
                                        ; implicit-def: $vgpr76
.LBB19_168:                             ;   in Loop: Header=BB19_2 Depth=1
	s_andn2_saveexec_b64 s[14:15], s[14:15]
	s_cbranch_execz .LBB19_170
; %bb.169:                              ;   in Loop: Header=BB19_2 Depth=1
	ds_read_b32 v74, v76 offset:4
	s_waitcnt lgkmcnt(1)
	v_mov_b32_e32 v75, v71
.LBB19_170:                             ;   in Loop: Header=BB19_2 Depth=1
	s_or_b64 exec, exec, s[14:15]
	v_add_u32_e32 v77, 1, v72
	v_add_u32_e32 v76, 1, v70
	v_cndmask_b32_e64 v77, v77, v72, s[12:13]
	v_cndmask_b32_e64 v76, v70, v76, s[12:13]
	v_cmp_ge_i32_e64 s[16:17], v77, v27
	s_waitcnt lgkmcnt(0)
	v_cmp_lt_i32_e64 s[18:19], v74, v75
	v_cmp_lt_i32_e64 s[14:15], v76, v28
	s_or_b64 s[16:17], s[16:17], s[18:19]
	s_and_b64 s[14:15], s[14:15], s[16:17]
	s_xor_b64 s[16:17], s[14:15], -1
                                        ; implicit-def: $vgpr78
	s_and_saveexec_b64 s[18:19], s[16:17]
	s_xor_b64 s[16:17], exec, s[18:19]
	s_cbranch_execz .LBB19_172
; %bb.171:                              ;   in Loop: Header=BB19_2 Depth=1
	v_lshlrev_b32_e32 v78, 2, v77
	ds_read_b32 v78, v78 offset:4
.LBB19_172:                             ;   in Loop: Header=BB19_2 Depth=1
	s_or_saveexec_b64 s[16:17], s[16:17]
	v_mov_b32_e32 v79, v74
	s_xor_b64 exec, exec, s[16:17]
	s_cbranch_execz .LBB19_174
; %bb.173:                              ;   in Loop: Header=BB19_2 Depth=1
	s_waitcnt lgkmcnt(0)
	v_lshlrev_b32_e32 v78, 2, v76
	ds_read_b32 v79, v78 offset:4
	v_mov_b32_e32 v78, v75
.LBB19_174:                             ;   in Loop: Header=BB19_2 Depth=1
	s_or_b64 exec, exec, s[16:17]
	v_add_u32_e32 v81, 1, v77
	v_add_u32_e32 v80, 1, v76
	v_cndmask_b32_e64 v81, v81, v77, s[14:15]
	v_cndmask_b32_e64 v80, v76, v80, s[14:15]
	v_cmp_ge_i32_e64 s[18:19], v81, v27
	s_waitcnt lgkmcnt(0)
	v_cmp_lt_i32_e64 s[20:21], v79, v78
	v_cmp_lt_i32_e64 s[16:17], v80, v28
	s_or_b64 s[18:19], s[18:19], s[20:21]
	s_and_b64 s[16:17], s[16:17], s[18:19]
	s_xor_b64 s[18:19], s[16:17], -1
                                        ; implicit-def: $vgpr82
	s_and_saveexec_b64 s[20:21], s[18:19]
	s_xor_b64 s[18:19], exec, s[20:21]
	s_cbranch_execz .LBB19_176
; %bb.175:                              ;   in Loop: Header=BB19_2 Depth=1
	v_lshlrev_b32_e32 v82, 2, v81
	ds_read_b32 v82, v82 offset:4
.LBB19_176:                             ;   in Loop: Header=BB19_2 Depth=1
	s_or_saveexec_b64 s[18:19], s[18:19]
	v_mov_b32_e32 v83, v79
	s_xor_b64 exec, exec, s[18:19]
	s_cbranch_execz .LBB19_178
; %bb.177:                              ;   in Loop: Header=BB19_2 Depth=1
	s_waitcnt lgkmcnt(0)
	v_lshlrev_b32_e32 v82, 2, v80
	ds_read_b32 v83, v82 offset:4
	v_mov_b32_e32 v82, v78
.LBB19_178:                             ;   in Loop: Header=BB19_2 Depth=1
	s_or_b64 exec, exec, s[18:19]
	v_add_u32_e32 v85, 1, v81
	v_add_u32_e32 v84, 1, v80
	v_cndmask_b32_e64 v85, v85, v81, s[16:17]
	v_cndmask_b32_e64 v84, v80, v84, s[16:17]
	v_cmp_ge_i32_e64 s[20:21], v85, v27
	s_waitcnt lgkmcnt(0)
	v_cmp_lt_i32_e64 s[22:23], v83, v82
	v_cmp_lt_i32_e64 s[18:19], v84, v28
	s_or_b64 s[20:21], s[20:21], s[22:23]
	s_and_b64 s[18:19], s[18:19], s[20:21]
	s_xor_b64 s[20:21], s[18:19], -1
                                        ; implicit-def: $vgpr86
	s_and_saveexec_b64 s[22:23], s[20:21]
	s_xor_b64 s[20:21], exec, s[22:23]
	s_cbranch_execz .LBB19_180
; %bb.179:                              ;   in Loop: Header=BB19_2 Depth=1
	v_lshlrev_b32_e32 v86, 2, v85
	ds_read_b32 v86, v86 offset:4
.LBB19_180:                             ;   in Loop: Header=BB19_2 Depth=1
	s_or_saveexec_b64 s[20:21], s[20:21]
	v_mov_b32_e32 v87, v83
	s_xor_b64 exec, exec, s[20:21]
	s_cbranch_execz .LBB19_182
; %bb.181:                              ;   in Loop: Header=BB19_2 Depth=1
	s_waitcnt lgkmcnt(0)
	v_lshlrev_b32_e32 v86, 2, v84
	ds_read_b32 v87, v86 offset:4
	v_mov_b32_e32 v86, v82
.LBB19_182:                             ;   in Loop: Header=BB19_2 Depth=1
	s_or_b64 exec, exec, s[20:21]
	v_add_u32_e32 v89, 1, v85
	v_add_u32_e32 v88, 1, v84
	v_cndmask_b32_e64 v89, v89, v85, s[18:19]
	v_cndmask_b32_e64 v88, v84, v88, s[18:19]
	v_cmp_ge_i32_e64 s[22:23], v89, v27
	s_waitcnt lgkmcnt(0)
	v_cmp_lt_i32_e64 s[24:25], v87, v86
	v_cmp_lt_i32_e64 s[20:21], v88, v28
	s_or_b64 s[22:23], s[22:23], s[24:25]
	s_and_b64 s[20:21], s[20:21], s[22:23]
	s_xor_b64 s[22:23], s[20:21], -1
                                        ; implicit-def: $vgpr90
	s_and_saveexec_b64 s[24:25], s[22:23]
	s_xor_b64 s[22:23], exec, s[24:25]
	s_cbranch_execz .LBB19_184
; %bb.183:                              ;   in Loop: Header=BB19_2 Depth=1
	v_lshlrev_b32_e32 v90, 2, v89
	ds_read_b32 v90, v90 offset:4
.LBB19_184:                             ;   in Loop: Header=BB19_2 Depth=1
	s_or_saveexec_b64 s[22:23], s[22:23]
	v_mov_b32_e32 v91, v87
	s_xor_b64 exec, exec, s[22:23]
	s_cbranch_execz .LBB19_186
; %bb.185:                              ;   in Loop: Header=BB19_2 Depth=1
	s_waitcnt lgkmcnt(0)
	v_lshlrev_b32_e32 v90, 2, v88
	ds_read_b32 v91, v90 offset:4
	v_mov_b32_e32 v90, v86
.LBB19_186:                             ;   in Loop: Header=BB19_2 Depth=1
	s_or_b64 exec, exec, s[22:23]
	v_add_u32_e32 v93, 1, v89
	v_add_u32_e32 v92, 1, v88
	v_cndmask_b32_e64 v93, v93, v89, s[20:21]
	v_cndmask_b32_e64 v92, v88, v92, s[20:21]
	v_cmp_ge_i32_e64 s[24:25], v93, v27
	s_waitcnt lgkmcnt(0)
	v_cmp_lt_i32_e64 s[26:27], v91, v90
	v_cmp_lt_i32_e64 s[22:23], v92, v28
	s_or_b64 s[24:25], s[24:25], s[26:27]
	s_and_b64 s[22:23], s[22:23], s[24:25]
	s_xor_b64 s[24:25], s[22:23], -1
                                        ; implicit-def: $vgpr94
	s_and_saveexec_b64 s[26:27], s[24:25]
	s_xor_b64 s[24:25], exec, s[26:27]
	s_cbranch_execz .LBB19_188
; %bb.187:                              ;   in Loop: Header=BB19_2 Depth=1
	v_lshlrev_b32_e32 v94, 2, v93
	ds_read_b32 v94, v94 offset:4
.LBB19_188:                             ;   in Loop: Header=BB19_2 Depth=1
	s_or_saveexec_b64 s[24:25], s[24:25]
	v_mov_b32_e32 v95, v91
	s_xor_b64 exec, exec, s[24:25]
	s_cbranch_execz .LBB19_190
; %bb.189:                              ;   in Loop: Header=BB19_2 Depth=1
	s_waitcnt lgkmcnt(0)
	v_lshlrev_b32_e32 v94, 2, v92
	ds_read_b32 v95, v94 offset:4
	v_mov_b32_e32 v94, v90
.LBB19_190:                             ;   in Loop: Header=BB19_2 Depth=1
	s_or_b64 exec, exec, s[24:25]
	v_add_u32_e32 v98, 1, v93
	v_add_u32_e32 v96, 1, v92
	v_cndmask_b32_e64 v98, v98, v93, s[22:23]
	v_cndmask_b32_e64 v97, v92, v96, s[22:23]
	v_cmp_ge_i32_e64 s[26:27], v98, v27
	s_waitcnt lgkmcnt(0)
	v_cmp_lt_i32_e64 s[28:29], v95, v94
	v_cmp_lt_i32_e64 s[24:25], v97, v28
	s_or_b64 s[26:27], s[26:27], s[28:29]
	s_and_b64 s[24:25], s[24:25], s[26:27]
	s_xor_b64 s[26:27], s[24:25], -1
                                        ; implicit-def: $vgpr96
	s_and_saveexec_b64 s[28:29], s[26:27]
	s_xor_b64 s[26:27], exec, s[28:29]
	s_cbranch_execz .LBB19_192
; %bb.191:                              ;   in Loop: Header=BB19_2 Depth=1
	v_lshlrev_b32_e32 v96, 2, v98
	ds_read_b32 v96, v96 offset:4
.LBB19_192:                             ;   in Loop: Header=BB19_2 Depth=1
	s_or_saveexec_b64 s[26:27], s[26:27]
	v_mov_b32_e32 v99, v95
	s_xor_b64 exec, exec, s[26:27]
	s_cbranch_execz .LBB19_194
; %bb.193:                              ;   in Loop: Header=BB19_2 Depth=1
	s_waitcnt lgkmcnt(0)
	v_lshlrev_b32_e32 v96, 2, v97
	ds_read_b32 v99, v96 offset:4
	v_mov_b32_e32 v96, v94
.LBB19_194:                             ;   in Loop: Header=BB19_2 Depth=1
	s_or_b64 exec, exec, s[26:27]
	v_add_u32_e32 v100, 1, v98
	v_cndmask_b32_e64 v94, v94, v95, s[24:25]
	v_add_u32_e32 v95, 1, v97
	v_cndmask_b32_e64 v100, v100, v98, s[24:25]
	v_cndmask_b32_e64 v95, v97, v95, s[24:25]
	;; [unrolled: 1-line block ×6, first 2 shown]
	v_cmp_ge_i32_e64 s[14:15], v100, v27
	s_waitcnt lgkmcnt(0)
	v_cmp_lt_i32_e64 s[16:17], v99, v96
	v_cndmask_b32_e64 v71, v71, v73, s[12:13]
	v_cndmask_b32_e64 v70, v72, v70, s[12:13]
	v_cmp_lt_i32_e64 s[12:13], v95, v28
	s_or_b64 s[14:15], s[14:15], s[16:17]
	s_and_b64 s[12:13], s[12:13], s[14:15]
	v_cndmask_b32_e64 v97, v98, v97, s[24:25]
	v_cndmask_b32_e64 v90, v90, v91, s[22:23]
	;; [unrolled: 1-line block ×8, first 2 shown]
	s_barrier
	ds_write2_b32 v3, v62, v63 offset1:1
	ds_write2_b32 v3, v64, v65 offset0:2 offset1:3
	ds_write2_b32 v3, v66, v67 offset0:4 offset1:5
	;; [unrolled: 1-line block ×3, first 2 shown]
	v_lshlrev_b32_e32 v62, 2, v70
	v_lshlrev_b32_e32 v63, 2, v75
	;; [unrolled: 1-line block ×8, first 2 shown]
	s_waitcnt lgkmcnt(0)
	s_barrier
	ds_read_b32 v62, v62
	ds_read_b32 v63, v63
	;; [unrolled: 1-line block ×8, first 2 shown]
	v_mov_b32_e32 v70, v41
	v_cndmask_b32_e64 v72, v96, v99, s[12:13]
	s_waitcnt lgkmcnt(0)
	s_barrier
	ds_write2_b32 v3, v71, v74 offset1:1
	ds_write2_b32 v3, v78, v82 offset0:2 offset1:3
	ds_write2_b32 v3, v86, v90 offset0:4 offset1:5
	;; [unrolled: 1-line block ×3, first 2 shown]
	s_waitcnt lgkmcnt(0)
	s_barrier
	s_and_saveexec_b64 s[14:15], s[10:11]
	s_cbranch_execz .LBB19_198
; %bb.195:                              ;   in Loop: Header=BB19_2 Depth=1
	s_mov_b64 s[16:17], 0
	v_mov_b32_e32 v70, v41
	v_mov_b32_e32 v71, v42
.LBB19_196:                             ;   Parent Loop BB19_2 Depth=1
                                        ; =>  This Inner Loop Header: Depth=2
	v_sub_u32_e32 v72, v71, v70
	v_lshrrev_b32_e32 v73, 31, v72
	v_add_u32_e32 v72, v72, v73
	v_ashrrev_i32_e32 v72, 1, v72
	v_add_u32_e32 v72, v72, v70
	v_xad_u32 v74, v72, -1, v2
	v_lshlrev_b32_e32 v73, 2, v72
	v_lshl_add_u32 v74, v74, 2, v60
	ds_read_b32 v73, v73
	ds_read_b32 v74, v74
	v_add_u32_e32 v75, 1, v72
	s_waitcnt lgkmcnt(0)
	v_cmp_lt_i32_e64 s[12:13], v74, v73
	s_nop 1
	v_cndmask_b32_e64 v71, v71, v72, s[12:13]
	v_cndmask_b32_e64 v70, v75, v70, s[12:13]
	v_cmp_ge_i32_e64 s[12:13], v70, v71
	s_or_b64 s[16:17], s[12:13], s[16:17]
	s_andn2_b64 exec, exec, s[16:17]
	s_cbranch_execnz .LBB19_196
; %bb.197:                              ;   in Loop: Header=BB19_2 Depth=1
	s_or_b64 exec, exec, s[16:17]
.LBB19_198:                             ;   in Loop: Header=BB19_2 Depth=1
	s_or_b64 exec, exec, s[14:15]
	v_sub_u32_e32 v71, v61, v70
	v_lshlrev_b32_e32 v77, 2, v70
	v_lshlrev_b32_e32 v74, 2, v71
	ds_read_b32 v72, v77
	ds_read_b32 v73, v74
	v_cmp_le_i32_e64 s[14:15], v1, v70
	v_cmp_gt_i32_e64 s[12:13], s33, v71
                                        ; implicit-def: $vgpr75
                                        ; implicit-def: $vgpr76
	s_waitcnt lgkmcnt(0)
	v_cmp_lt_i32_e64 s[16:17], v73, v72
	s_or_b64 s[14:15], s[14:15], s[16:17]
	s_and_b64 s[12:13], s[12:13], s[14:15]
	s_xor_b64 s[14:15], s[12:13], -1
	s_and_saveexec_b64 s[16:17], s[14:15]
	s_xor_b64 s[14:15], exec, s[16:17]
	s_cbranch_execz .LBB19_200
; %bb.199:                              ;   in Loop: Header=BB19_2 Depth=1
	ds_read_b32 v76, v77 offset:4
	v_mov_b32_e32 v75, v73
                                        ; implicit-def: $vgpr74
.LBB19_200:                             ;   in Loop: Header=BB19_2 Depth=1
	s_andn2_saveexec_b64 s[14:15], s[14:15]
	s_cbranch_execz .LBB19_202
; %bb.201:                              ;   in Loop: Header=BB19_2 Depth=1
	ds_read_b32 v75, v74 offset:4
	s_waitcnt lgkmcnt(1)
	v_mov_b32_e32 v76, v72
.LBB19_202:                             ;   in Loop: Header=BB19_2 Depth=1
	s_or_b64 exec, exec, s[14:15]
	v_add_u32_e32 v78, 1, v70
	v_add_u32_e32 v74, 1, v71
	v_cndmask_b32_e64 v78, v78, v70, s[12:13]
	v_cndmask_b32_e64 v77, v71, v74, s[12:13]
	v_cmp_ge_i32_e64 s[16:17], v78, v1
	s_waitcnt lgkmcnt(0)
	v_cmp_lt_i32_e64 s[18:19], v75, v76
	v_cmp_gt_i32_e64 s[14:15], s33, v77
	s_or_b64 s[16:17], s[16:17], s[18:19]
	s_and_b64 s[14:15], s[14:15], s[16:17]
	s_xor_b64 s[16:17], s[14:15], -1
                                        ; implicit-def: $vgpr79
	s_and_saveexec_b64 s[18:19], s[16:17]
	s_xor_b64 s[16:17], exec, s[18:19]
	s_cbranch_execz .LBB19_204
; %bb.203:                              ;   in Loop: Header=BB19_2 Depth=1
	v_lshlrev_b32_e32 v74, 2, v78
	ds_read_b32 v79, v74 offset:4
.LBB19_204:                             ;   in Loop: Header=BB19_2 Depth=1
	s_or_saveexec_b64 s[16:17], s[16:17]
	v_mov_b32_e32 v80, v75
	s_xor_b64 exec, exec, s[16:17]
	s_cbranch_execz .LBB19_206
; %bb.205:                              ;   in Loop: Header=BB19_2 Depth=1
	v_lshlrev_b32_e32 v74, 2, v77
	ds_read_b32 v80, v74 offset:4
	s_waitcnt lgkmcnt(1)
	v_mov_b32_e32 v79, v76
.LBB19_206:                             ;   in Loop: Header=BB19_2 Depth=1
	s_or_b64 exec, exec, s[16:17]
	v_add_u32_e32 v82, 1, v78
	v_add_u32_e32 v74, 1, v77
	v_cndmask_b32_e64 v82, v82, v78, s[14:15]
	v_cndmask_b32_e64 v81, v77, v74, s[14:15]
	v_cmp_ge_i32_e64 s[18:19], v82, v1
	s_waitcnt lgkmcnt(0)
	v_cmp_lt_i32_e64 s[20:21], v80, v79
	v_cmp_gt_i32_e64 s[16:17], s33, v81
	s_or_b64 s[18:19], s[18:19], s[20:21]
	s_and_b64 s[16:17], s[16:17], s[18:19]
	s_xor_b64 s[18:19], s[16:17], -1
                                        ; implicit-def: $vgpr83
	s_and_saveexec_b64 s[20:21], s[18:19]
	s_xor_b64 s[18:19], exec, s[20:21]
	s_cbranch_execz .LBB19_208
; %bb.207:                              ;   in Loop: Header=BB19_2 Depth=1
	v_lshlrev_b32_e32 v74, 2, v82
	ds_read_b32 v83, v74 offset:4
.LBB19_208:                             ;   in Loop: Header=BB19_2 Depth=1
	s_or_saveexec_b64 s[18:19], s[18:19]
	v_mov_b32_e32 v84, v80
	s_xor_b64 exec, exec, s[18:19]
	s_cbranch_execz .LBB19_210
; %bb.209:                              ;   in Loop: Header=BB19_2 Depth=1
	v_lshlrev_b32_e32 v74, 2, v81
	ds_read_b32 v84, v74 offset:4
	s_waitcnt lgkmcnt(1)
	v_mov_b32_e32 v83, v79
.LBB19_210:                             ;   in Loop: Header=BB19_2 Depth=1
	s_or_b64 exec, exec, s[18:19]
	v_add_u32_e32 v86, 1, v82
	v_add_u32_e32 v74, 1, v81
	v_cndmask_b32_e64 v86, v86, v82, s[16:17]
	v_cndmask_b32_e64 v85, v81, v74, s[16:17]
	v_cmp_ge_i32_e64 s[20:21], v86, v1
	s_waitcnt lgkmcnt(0)
	v_cmp_lt_i32_e64 s[22:23], v84, v83
	v_cmp_gt_i32_e64 s[18:19], s33, v85
	s_or_b64 s[20:21], s[20:21], s[22:23]
	s_and_b64 s[18:19], s[18:19], s[20:21]
	s_xor_b64 s[20:21], s[18:19], -1
                                        ; implicit-def: $vgpr88
	s_and_saveexec_b64 s[22:23], s[20:21]
	s_xor_b64 s[20:21], exec, s[22:23]
	s_cbranch_execz .LBB19_212
; %bb.211:                              ;   in Loop: Header=BB19_2 Depth=1
	v_lshlrev_b32_e32 v74, 2, v86
	ds_read_b32 v88, v74 offset:4
.LBB19_212:                             ;   in Loop: Header=BB19_2 Depth=1
	s_or_saveexec_b64 s[20:21], s[20:21]
	v_mov_b32_e32 v90, v84
	s_xor_b64 exec, exec, s[20:21]
	s_cbranch_execz .LBB19_214
; %bb.213:                              ;   in Loop: Header=BB19_2 Depth=1
	v_lshlrev_b32_e32 v74, 2, v85
	ds_read_b32 v90, v74 offset:4
	s_waitcnt lgkmcnt(1)
	v_mov_b32_e32 v88, v83
.LBB19_214:                             ;   in Loop: Header=BB19_2 Depth=1
	s_or_b64 exec, exec, s[20:21]
	v_add_u32_e32 v87, 1, v86
	v_add_u32_e32 v74, 1, v85
	v_cndmask_b32_e64 v92, v87, v86, s[18:19]
	v_cndmask_b32_e64 v91, v85, v74, s[18:19]
	v_cmp_ge_i32_e64 s[22:23], v92, v1
	s_waitcnt lgkmcnt(0)
	v_cmp_lt_i32_e64 s[24:25], v90, v88
	v_cmp_gt_i32_e64 s[20:21], s33, v91
	s_or_b64 s[22:23], s[22:23], s[24:25]
	s_and_b64 s[22:23], s[20:21], s[22:23]
	s_xor_b64 s[20:21], s[22:23], -1
                                        ; implicit-def: $vgpr87
	s_and_saveexec_b64 s[24:25], s[20:21]
	s_xor_b64 s[20:21], exec, s[24:25]
	s_cbranch_execz .LBB19_216
; %bb.215:                              ;   in Loop: Header=BB19_2 Depth=1
	v_lshlrev_b32_e32 v74, 2, v92
	ds_read_b32 v87, v74 offset:4
.LBB19_216:                             ;   in Loop: Header=BB19_2 Depth=1
	s_or_saveexec_b64 s[20:21], s[20:21]
	v_mov_b32_e32 v89, v90
	s_xor_b64 exec, exec, s[20:21]
	s_cbranch_execz .LBB19_218
; %bb.217:                              ;   in Loop: Header=BB19_2 Depth=1
	v_lshlrev_b32_e32 v74, 2, v91
	ds_read_b32 v89, v74 offset:4
	s_waitcnt lgkmcnt(1)
	v_mov_b32_e32 v87, v88
.LBB19_218:                             ;   in Loop: Header=BB19_2 Depth=1
	s_or_b64 exec, exec, s[20:21]
	v_add_u32_e32 v93, 1, v92
	v_add_u32_e32 v74, 1, v91
	v_cndmask_b32_e64 v96, v93, v92, s[22:23]
	v_cndmask_b32_e64 v95, v91, v74, s[22:23]
	v_cmp_ge_i32_e64 s[24:25], v96, v1
	s_waitcnt lgkmcnt(0)
	v_cmp_lt_i32_e64 s[26:27], v89, v87
	v_cmp_gt_i32_e64 s[20:21], s33, v95
	s_or_b64 s[24:25], s[24:25], s[26:27]
	s_and_b64 s[20:21], s[20:21], s[24:25]
	s_xor_b64 s[24:25], s[20:21], -1
                                        ; implicit-def: $vgpr93
	s_and_saveexec_b64 s[26:27], s[24:25]
	s_xor_b64 s[24:25], exec, s[26:27]
	s_cbranch_execz .LBB19_220
; %bb.219:                              ;   in Loop: Header=BB19_2 Depth=1
	v_lshlrev_b32_e32 v74, 2, v96
	ds_read_b32 v93, v74 offset:4
.LBB19_220:                             ;   in Loop: Header=BB19_2 Depth=1
	s_or_saveexec_b64 s[24:25], s[24:25]
	v_mov_b32_e32 v94, v89
	s_xor_b64 exec, exec, s[24:25]
	s_cbranch_execz .LBB19_222
; %bb.221:                              ;   in Loop: Header=BB19_2 Depth=1
	v_lshlrev_b32_e32 v74, 2, v95
	ds_read_b32 v94, v74 offset:4
	s_waitcnt lgkmcnt(1)
	v_mov_b32_e32 v93, v87
.LBB19_222:                             ;   in Loop: Header=BB19_2 Depth=1
	s_or_b64 exec, exec, s[24:25]
	v_add_u32_e32 v74, 1, v95
	v_add_u32_e32 v98, 1, v96
	v_cndmask_b32_e64 v97, v95, v74, s[20:21]
	v_cndmask_b32_e64 v74, v98, v96, s[20:21]
	v_cmp_ge_i32_e64 s[26:27], v74, v1
	s_waitcnt lgkmcnt(0)
	v_cmp_lt_i32_e64 s[28:29], v94, v93
	v_cmp_gt_i32_e64 s[24:25], s33, v97
	s_or_b64 s[26:27], s[26:27], s[28:29]
	s_and_b64 s[24:25], s[24:25], s[26:27]
	s_xor_b64 s[26:27], s[24:25], -1
                                        ; implicit-def: $vgpr100
                                        ; implicit-def: $vgpr99
	s_and_saveexec_b64 s[28:29], s[26:27]
	s_xor_b64 s[26:27], exec, s[28:29]
	s_cbranch_execz .LBB19_224
; %bb.223:                              ;   in Loop: Header=BB19_2 Depth=1
	v_lshlrev_b32_e32 v98, 2, v74
	ds_read_b32 v100, v98 offset:4
	v_add_u32_e32 v99, 1, v74
.LBB19_224:                             ;   in Loop: Header=BB19_2 Depth=1
	s_or_saveexec_b64 s[26:27], s[26:27]
	v_mov_b32_e32 v98, v74
	v_mov_b32_e32 v101, v94
	s_xor_b64 exec, exec, s[26:27]
	s_cbranch_execz .LBB19_1
; %bb.225:                              ;   in Loop: Header=BB19_2 Depth=1
	v_lshlrev_b32_e32 v98, 2, v97
	ds_read_b32 v101, v98 offset:4
	s_waitcnt lgkmcnt(1)
	v_add_u32_e32 v100, 1, v97
	v_mov_b32_e32 v98, v97
	v_mov_b32_e32 v99, v74
	;; [unrolled: 1-line block ×4, first 2 shown]
	s_branch .LBB19_1
.LBB19_226:
	s_add_u32 s0, s90, s92
	s_waitcnt lgkmcnt(7)
	v_add_u32_e32 v1, v74, v62
	s_addc_u32 s1, s91, s93
	v_lshlrev_b32_e32 v0, 2, v0
	s_waitcnt lgkmcnt(6)
	v_add_u32_e32 v2, v76, v66
	s_waitcnt lgkmcnt(5)
	v_add_u32_e32 v3, v73, v63
	;; [unrolled: 2-line block ×7, first 2 shown]
	global_store_dword v0, v1, s[0:1]
	global_store_dword v0, v2, s[0:1] offset:512
	global_store_dword v0, v3, s[0:1] offset:1024
	;; [unrolled: 1-line block ×7, first 2 shown]
	s_endpgm
	.section	.rodata,"a",@progbits
	.p2align	6, 0x0
	.amdhsa_kernel _Z17sort_pairs_kernelIiLj128ELj8EN10test_utils4lessELj10EEvPKT_PS2_T2_
		.amdhsa_group_segment_fixed_size 4100
		.amdhsa_private_segment_fixed_size 0
		.amdhsa_kernarg_size 20
		.amdhsa_user_sgpr_count 2
		.amdhsa_user_sgpr_dispatch_ptr 0
		.amdhsa_user_sgpr_queue_ptr 0
		.amdhsa_user_sgpr_kernarg_segment_ptr 1
		.amdhsa_user_sgpr_dispatch_id 0
		.amdhsa_user_sgpr_kernarg_preload_length 0
		.amdhsa_user_sgpr_kernarg_preload_offset 0
		.amdhsa_user_sgpr_private_segment_size 0
		.amdhsa_uses_dynamic_stack 0
		.amdhsa_enable_private_segment 0
		.amdhsa_system_sgpr_workgroup_id_x 1
		.amdhsa_system_sgpr_workgroup_id_y 0
		.amdhsa_system_sgpr_workgroup_id_z 0
		.amdhsa_system_sgpr_workgroup_info 0
		.amdhsa_system_vgpr_workitem_id 0
		.amdhsa_next_free_vgpr 102
		.amdhsa_next_free_sgpr 96
		.amdhsa_accum_offset 104
		.amdhsa_reserve_vcc 1
		.amdhsa_float_round_mode_32 0
		.amdhsa_float_round_mode_16_64 0
		.amdhsa_float_denorm_mode_32 3
		.amdhsa_float_denorm_mode_16_64 3
		.amdhsa_dx10_clamp 1
		.amdhsa_ieee_mode 1
		.amdhsa_fp16_overflow 0
		.amdhsa_tg_split 0
		.amdhsa_exception_fp_ieee_invalid_op 0
		.amdhsa_exception_fp_denorm_src 0
		.amdhsa_exception_fp_ieee_div_zero 0
		.amdhsa_exception_fp_ieee_overflow 0
		.amdhsa_exception_fp_ieee_underflow 0
		.amdhsa_exception_fp_ieee_inexact 0
		.amdhsa_exception_int_div_zero 0
	.end_amdhsa_kernel
	.section	.text._Z17sort_pairs_kernelIiLj128ELj8EN10test_utils4lessELj10EEvPKT_PS2_T2_,"axG",@progbits,_Z17sort_pairs_kernelIiLj128ELj8EN10test_utils4lessELj10EEvPKT_PS2_T2_,comdat
.Lfunc_end19:
	.size	_Z17sort_pairs_kernelIiLj128ELj8EN10test_utils4lessELj10EEvPKT_PS2_T2_, .Lfunc_end19-_Z17sort_pairs_kernelIiLj128ELj8EN10test_utils4lessELj10EEvPKT_PS2_T2_
                                        ; -- End function
	.section	.AMDGPU.csdata,"",@progbits
; Kernel info:
; codeLenInByte = 11848
; NumSgprs: 102
; NumVgprs: 102
; NumAgprs: 0
; TotalNumVgprs: 102
; ScratchSize: 0
; MemoryBound: 0
; FloatMode: 240
; IeeeMode: 1
; LDSByteSize: 4100 bytes/workgroup (compile time only)
; SGPRBlocks: 12
; VGPRBlocks: 12
; NumSGPRsForWavesPerEU: 102
; NumVGPRsForWavesPerEU: 102
; AccumOffset: 104
; Occupancy: 4
; WaveLimiterHint : 1
; COMPUTE_PGM_RSRC2:SCRATCH_EN: 0
; COMPUTE_PGM_RSRC2:USER_SGPR: 2
; COMPUTE_PGM_RSRC2:TRAP_HANDLER: 0
; COMPUTE_PGM_RSRC2:TGID_X_EN: 1
; COMPUTE_PGM_RSRC2:TGID_Y_EN: 0
; COMPUTE_PGM_RSRC2:TGID_Z_EN: 0
; COMPUTE_PGM_RSRC2:TIDIG_COMP_CNT: 0
; COMPUTE_PGM_RSRC3_GFX90A:ACCUM_OFFSET: 25
; COMPUTE_PGM_RSRC3_GFX90A:TG_SPLIT: 0
	.section	.text._Z16sort_keys_kernelIiLj256ELj1EN10test_utils4lessELj10EEvPKT_PS2_T2_,"axG",@progbits,_Z16sort_keys_kernelIiLj256ELj1EN10test_utils4lessELj10EEvPKT_PS2_T2_,comdat
	.protected	_Z16sort_keys_kernelIiLj256ELj1EN10test_utils4lessELj10EEvPKT_PS2_T2_ ; -- Begin function _Z16sort_keys_kernelIiLj256ELj1EN10test_utils4lessELj10EEvPKT_PS2_T2_
	.globl	_Z16sort_keys_kernelIiLj256ELj1EN10test_utils4lessELj10EEvPKT_PS2_T2_
	.p2align	8
	.type	_Z16sort_keys_kernelIiLj256ELj1EN10test_utils4lessELj10EEvPKT_PS2_T2_,@function
_Z16sort_keys_kernelIiLj256ELj1EN10test_utils4lessELj10EEvPKT_PS2_T2_: ; @_Z16sort_keys_kernelIiLj256ELj1EN10test_utils4lessELj10EEvPKT_PS2_T2_
; %bb.0:
	s_load_dwordx4 s[20:23], s[0:1], 0x0
	s_lshl_b32 s24, s2, 8
	s_mov_b32 s25, 0
	s_lshl_b64 s[26:27], s[24:25], 2
	v_lshlrev_b32_e32 v1, 2, v0
	s_waitcnt lgkmcnt(0)
	s_add_u32 s2, s20, s26
	s_addc_u32 s3, s21, s27
	global_load_dword v62, v1, s[2:3]
	v_and_b32_e32 v11, 0xfc, v0
	v_and_b32_e32 v19, 0xf8, v0
	;; [unrolled: 1-line block ×7, first 2 shown]
	v_or_b32_e32 v15, 2, v11
	v_add_u32_e32 v9, 4, v11
	v_or_b32_e32 v23, 4, v19
	v_add_u32_e32 v17, 8, v19
	;; [unrolled: 2-line block ×6, first 2 shown]
	v_and_b32_e32 v2, 1, v0
	v_or_b32_e32 v3, 1, v5
	v_and_b32_e32 v8, 3, v0
	v_sub_u32_e32 v13, v9, v15
	v_and_b32_e32 v16, 7, v0
	v_sub_u32_e32 v21, v17, v23
	;; [unrolled: 2-line block ×6, first 2 shown]
	v_sub_u32_e32 v4, v3, v5
	v_add_u32_e32 v6, -1, v2
	v_cmp_lt_i32_e32 vcc, 0, v2
	v_sub_u32_e32 v10, v15, v11
	v_sub_u32_e32 v14, v8, v13
	v_cmp_ge_i32_e64 s[0:1], v8, v13
	v_sub_u32_e32 v18, v23, v19
	v_sub_u32_e32 v22, v16, v21
	v_cmp_ge_i32_e64 s[2:3], v16, v21
	v_sub_u32_e32 v26, v31, v27
	v_sub_u32_e32 v30, v24, v29
	v_cmp_ge_i32_e64 s[4:5], v24, v29
	v_sub_u32_e32 v34, v39, v35
	v_sub_u32_e32 v38, v32, v37
	v_cmp_ge_i32_e64 s[6:7], v32, v37
	v_sub_u32_e32 v42, v47, v43
	v_sub_u32_e32 v46, v40, v45
	v_cmp_ge_i32_e64 s[8:9], v40, v45
	v_mov_b32_e32 v48, 0x80
	v_sub_u32_e32 v51, v56, v52
	v_sub_u32_e32 v55, v49, v54
	v_cmp_ge_i32_e64 s[10:11], v49, v54
	v_cndmask_b32_e32 v6, 0, v6, vcc
	v_min_i32_e32 v7, v2, v4
	v_cndmask_b32_e64 v13, 0, v14, s[0:1]
	v_min_i32_e32 v14, v8, v10
	v_cndmask_b32_e64 v21, 0, v22, s[2:3]
	;; [unrolled: 2-line block ×6, first 2 shown]
	v_min_i32_e32 v55, v49, v51
	v_sub_u32_e64 v57, v0, v48 clamp
	v_min_i32_e32 v58, 0x80, v0
	v_lshlrev_b32_e32 v5, 2, v5
	v_cmp_lt_i32_e32 vcc, v6, v7
	v_lshlrev_b32_e32 v11, 2, v11
	v_lshlrev_b32_e32 v12, 2, v15
	v_cmp_lt_i32_e64 s[0:1], v13, v14
	v_add_u32_e32 v15, v15, v8
	v_lshlrev_b32_e32 v19, 2, v19
	v_lshlrev_b32_e32 v20, 2, v23
	v_cmp_lt_i32_e64 s[2:3], v21, v22
	v_add_u32_e32 v23, v23, v16
	;; [unrolled: 4-line block ×6, first 2 shown]
	v_cmp_lt_i32_e64 s[12:13], v57, v58
	s_movk_i32 s20, 0x100
	v_lshlrev_b32_e32 v59, 2, v3
	v_add_u32_e32 v60, v3, v2
	v_add_u32_e32 v61, 0x80, v0
	s_branch .LBB20_2
.LBB20_1:                               ;   in Loop: Header=BB20_2 Depth=1
	s_or_b64 exec, exec, s[16:17]
	v_sub_u32_e32 v63, v61, v62
	v_lshlrev_b32_e32 v64, 2, v62
	v_lshlrev_b32_e32 v65, 2, v63
	ds_read_b32 v64, v64
	ds_read_b32 v65, v65
	v_cmp_ge_i32_e64 s[14:15], v62, v48
	v_cmp_gt_i32_e64 s[16:17], s20, v63
	s_add_i32 s25, s25, 1
	s_waitcnt lgkmcnt(0)
	v_cmp_lt_i32_e64 s[18:19], v65, v64
	s_or_b64 s[14:15], s[14:15], s[18:19]
	s_and_b64 s[14:15], s[16:17], s[14:15]
	s_cmp_eq_u32 s25, 10
	v_cndmask_b32_e64 v62, v64, v65, s[14:15]
	s_cbranch_scc1 .LBB20_34
.LBB20_2:                               ; =>This Loop Header: Depth=1
                                        ;     Child Loop BB20_4 Depth 2
                                        ;     Child Loop BB20_8 Depth 2
	;; [unrolled: 1-line block ×8, first 2 shown]
	s_barrier
	s_waitcnt vmcnt(0)
	ds_write_b32 v1, v62
	v_mov_b32_e32 v62, v6
	s_waitcnt lgkmcnt(0)
	s_barrier
	s_and_saveexec_b64 s[16:17], vcc
	s_cbranch_execz .LBB20_6
; %bb.3:                                ;   in Loop: Header=BB20_2 Depth=1
	s_mov_b64 s[18:19], 0
	v_mov_b32_e32 v62, v6
	v_mov_b32_e32 v63, v7
.LBB20_4:                               ;   Parent Loop BB20_2 Depth=1
                                        ; =>  This Inner Loop Header: Depth=2
	v_sub_u32_e32 v64, v63, v62
	v_lshrrev_b32_e32 v65, 31, v64
	v_add_u32_e32 v64, v64, v65
	v_ashrrev_i32_e32 v64, 1, v64
	v_add_u32_e32 v64, v64, v62
	v_xad_u32 v66, v64, -1, v2
	v_lshl_add_u32 v65, v64, 2, v5
	v_lshl_add_u32 v66, v66, 2, v59
	ds_read_b32 v65, v65
	ds_read_b32 v66, v66
	v_add_u32_e32 v67, 1, v64
	s_waitcnt lgkmcnt(0)
	v_cmp_lt_i32_e64 s[14:15], v66, v65
	s_nop 1
	v_cndmask_b32_e64 v63, v63, v64, s[14:15]
	v_cndmask_b32_e64 v62, v67, v62, s[14:15]
	v_cmp_ge_i32_e64 s[14:15], v62, v63
	s_or_b64 s[18:19], s[14:15], s[18:19]
	s_andn2_b64 exec, exec, s[18:19]
	s_cbranch_execnz .LBB20_4
; %bb.5:                                ;   in Loop: Header=BB20_2 Depth=1
	s_or_b64 exec, exec, s[18:19]
.LBB20_6:                               ;   in Loop: Header=BB20_2 Depth=1
	s_or_b64 exec, exec, s[16:17]
	v_sub_u32_e32 v63, v60, v62
	v_lshl_add_u32 v64, v62, 2, v5
	v_lshlrev_b32_e32 v65, 2, v63
	ds_read_b32 v64, v64
	ds_read_b32 v65, v65
	v_cmp_ge_i32_e64 s[14:15], v62, v4
	v_cmp_ge_i32_e64 s[16:17], v3, v63
	s_waitcnt lgkmcnt(0)
	s_barrier
	v_cmp_lt_i32_e64 s[18:19], v65, v64
	s_or_b64 s[14:15], s[14:15], s[18:19]
	s_and_b64 s[14:15], s[16:17], s[14:15]
	v_cndmask_b32_e64 v62, v64, v65, s[14:15]
	ds_write_b32 v1, v62
	v_mov_b32_e32 v62, v13
	s_waitcnt lgkmcnt(0)
	s_barrier
	s_and_saveexec_b64 s[16:17], s[0:1]
	s_cbranch_execz .LBB20_10
; %bb.7:                                ;   in Loop: Header=BB20_2 Depth=1
	s_mov_b64 s[18:19], 0
	v_mov_b32_e32 v62, v13
	v_mov_b32_e32 v63, v14
.LBB20_8:                               ;   Parent Loop BB20_2 Depth=1
                                        ; =>  This Inner Loop Header: Depth=2
	v_sub_u32_e32 v64, v63, v62
	v_lshrrev_b32_e32 v65, 31, v64
	v_add_u32_e32 v64, v64, v65
	v_ashrrev_i32_e32 v64, 1, v64
	v_add_u32_e32 v64, v64, v62
	v_xad_u32 v66, v64, -1, v8
	v_lshl_add_u32 v65, v64, 2, v11
	v_lshl_add_u32 v66, v66, 2, v12
	ds_read_b32 v65, v65
	ds_read_b32 v66, v66
	v_add_u32_e32 v67, 1, v64
	s_waitcnt lgkmcnt(0)
	v_cmp_lt_i32_e64 s[14:15], v66, v65
	s_nop 1
	v_cndmask_b32_e64 v63, v63, v64, s[14:15]
	v_cndmask_b32_e64 v62, v67, v62, s[14:15]
	v_cmp_ge_i32_e64 s[14:15], v62, v63
	s_or_b64 s[18:19], s[14:15], s[18:19]
	s_andn2_b64 exec, exec, s[18:19]
	s_cbranch_execnz .LBB20_8
; %bb.9:                                ;   in Loop: Header=BB20_2 Depth=1
	s_or_b64 exec, exec, s[18:19]
.LBB20_10:                              ;   in Loop: Header=BB20_2 Depth=1
	s_or_b64 exec, exec, s[16:17]
	v_sub_u32_e32 v63, v15, v62
	v_lshl_add_u32 v64, v62, 2, v11
	v_lshlrev_b32_e32 v65, 2, v63
	ds_read_b32 v64, v64
	ds_read_b32 v65, v65
	v_cmp_ge_i32_e64 s[14:15], v62, v10
	v_cmp_gt_i32_e64 s[16:17], v9, v63
	s_waitcnt lgkmcnt(0)
	s_barrier
	v_cmp_lt_i32_e64 s[18:19], v65, v64
	s_or_b64 s[14:15], s[14:15], s[18:19]
	s_and_b64 s[14:15], s[16:17], s[14:15]
	v_cndmask_b32_e64 v62, v64, v65, s[14:15]
	ds_write_b32 v1, v62
	v_mov_b32_e32 v62, v21
	s_waitcnt lgkmcnt(0)
	s_barrier
	s_and_saveexec_b64 s[16:17], s[2:3]
	s_cbranch_execz .LBB20_14
; %bb.11:                               ;   in Loop: Header=BB20_2 Depth=1
	s_mov_b64 s[18:19], 0
	v_mov_b32_e32 v62, v21
	v_mov_b32_e32 v63, v22
.LBB20_12:                              ;   Parent Loop BB20_2 Depth=1
                                        ; =>  This Inner Loop Header: Depth=2
	v_sub_u32_e32 v64, v63, v62
	v_lshrrev_b32_e32 v65, 31, v64
	v_add_u32_e32 v64, v64, v65
	v_ashrrev_i32_e32 v64, 1, v64
	v_add_u32_e32 v64, v64, v62
	v_xad_u32 v66, v64, -1, v16
	v_lshl_add_u32 v65, v64, 2, v19
	v_lshl_add_u32 v66, v66, 2, v20
	ds_read_b32 v65, v65
	ds_read_b32 v66, v66
	v_add_u32_e32 v67, 1, v64
	s_waitcnt lgkmcnt(0)
	v_cmp_lt_i32_e64 s[14:15], v66, v65
	s_nop 1
	v_cndmask_b32_e64 v63, v63, v64, s[14:15]
	v_cndmask_b32_e64 v62, v67, v62, s[14:15]
	v_cmp_ge_i32_e64 s[14:15], v62, v63
	s_or_b64 s[18:19], s[14:15], s[18:19]
	s_andn2_b64 exec, exec, s[18:19]
	s_cbranch_execnz .LBB20_12
; %bb.13:                               ;   in Loop: Header=BB20_2 Depth=1
	s_or_b64 exec, exec, s[18:19]
.LBB20_14:                              ;   in Loop: Header=BB20_2 Depth=1
	s_or_b64 exec, exec, s[16:17]
	v_sub_u32_e32 v63, v23, v62
	v_lshl_add_u32 v64, v62, 2, v19
	v_lshlrev_b32_e32 v65, 2, v63
	ds_read_b32 v64, v64
	ds_read_b32 v65, v65
	v_cmp_ge_i32_e64 s[14:15], v62, v18
	v_cmp_gt_i32_e64 s[16:17], v17, v63
	s_waitcnt lgkmcnt(0)
	s_barrier
	v_cmp_lt_i32_e64 s[18:19], v65, v64
	s_or_b64 s[14:15], s[14:15], s[18:19]
	s_and_b64 s[14:15], s[16:17], s[14:15]
	v_cndmask_b32_e64 v62, v64, v65, s[14:15]
	ds_write_b32 v1, v62
	v_mov_b32_e32 v62, v29
	s_waitcnt lgkmcnt(0)
	s_barrier
	s_and_saveexec_b64 s[16:17], s[4:5]
	s_cbranch_execz .LBB20_18
; %bb.15:                               ;   in Loop: Header=BB20_2 Depth=1
	s_mov_b64 s[18:19], 0
	v_mov_b32_e32 v62, v29
	v_mov_b32_e32 v63, v30
.LBB20_16:                              ;   Parent Loop BB20_2 Depth=1
                                        ; =>  This Inner Loop Header: Depth=2
	v_sub_u32_e32 v64, v63, v62
	v_lshrrev_b32_e32 v65, 31, v64
	v_add_u32_e32 v64, v64, v65
	v_ashrrev_i32_e32 v64, 1, v64
	v_add_u32_e32 v64, v64, v62
	v_xad_u32 v66, v64, -1, v24
	v_lshl_add_u32 v65, v64, 2, v27
	v_lshl_add_u32 v66, v66, 2, v28
	ds_read_b32 v65, v65
	ds_read_b32 v66, v66
	v_add_u32_e32 v67, 1, v64
	s_waitcnt lgkmcnt(0)
	v_cmp_lt_i32_e64 s[14:15], v66, v65
	s_nop 1
	v_cndmask_b32_e64 v63, v63, v64, s[14:15]
	v_cndmask_b32_e64 v62, v67, v62, s[14:15]
	v_cmp_ge_i32_e64 s[14:15], v62, v63
	s_or_b64 s[18:19], s[14:15], s[18:19]
	s_andn2_b64 exec, exec, s[18:19]
	s_cbranch_execnz .LBB20_16
; %bb.17:                               ;   in Loop: Header=BB20_2 Depth=1
	s_or_b64 exec, exec, s[18:19]
.LBB20_18:                              ;   in Loop: Header=BB20_2 Depth=1
	;; [unrolled: 49-line block ×5, first 2 shown]
	s_or_b64 exec, exec, s[16:17]
	v_sub_u32_e32 v63, v56, v62
	v_lshl_add_u32 v64, v62, 2, v52
	v_lshlrev_b32_e32 v65, 2, v63
	ds_read_b32 v64, v64
	ds_read_b32 v65, v65
	v_cmp_ge_i32_e64 s[14:15], v62, v51
	v_cmp_gt_i32_e64 s[16:17], v50, v63
	s_waitcnt lgkmcnt(0)
	s_barrier
	v_cmp_lt_i32_e64 s[18:19], v65, v64
	s_or_b64 s[14:15], s[14:15], s[18:19]
	s_and_b64 s[14:15], s[16:17], s[14:15]
	v_cndmask_b32_e64 v62, v64, v65, s[14:15]
	ds_write_b32 v1, v62
	v_mov_b32_e32 v62, v57
	s_waitcnt lgkmcnt(0)
	s_barrier
	s_and_saveexec_b64 s[16:17], s[12:13]
	s_cbranch_execz .LBB20_1
; %bb.31:                               ;   in Loop: Header=BB20_2 Depth=1
	s_mov_b64 s[18:19], 0
	v_mov_b32_e32 v62, v57
	v_mov_b32_e32 v63, v58
.LBB20_32:                              ;   Parent Loop BB20_2 Depth=1
                                        ; =>  This Inner Loop Header: Depth=2
	v_sub_u32_e32 v64, v63, v62
	v_lshrrev_b32_e32 v65, 31, v64
	v_add_u32_e32 v64, v64, v65
	v_ashrrev_i32_e32 v64, 1, v64
	v_add_u32_e32 v64, v64, v62
	v_xad_u32 v66, v64, -1, v0
	v_mov_b32_e32 v67, 0x200
	v_lshlrev_b32_e32 v65, 2, v64
	v_lshl_add_u32 v66, v66, 2, v67
	ds_read_b32 v65, v65
	ds_read_b32 v66, v66
	v_add_u32_e32 v67, 1, v64
	s_waitcnt lgkmcnt(0)
	v_cmp_lt_i32_e64 s[14:15], v66, v65
	s_nop 1
	v_cndmask_b32_e64 v63, v63, v64, s[14:15]
	v_cndmask_b32_e64 v62, v67, v62, s[14:15]
	v_cmp_ge_i32_e64 s[14:15], v62, v63
	s_or_b64 s[18:19], s[14:15], s[18:19]
	s_andn2_b64 exec, exec, s[18:19]
	s_cbranch_execnz .LBB20_32
; %bb.33:                               ;   in Loop: Header=BB20_2 Depth=1
	s_or_b64 exec, exec, s[18:19]
	s_branch .LBB20_1
.LBB20_34:
	s_add_u32 s0, s22, s26
	s_addc_u32 s1, s23, s27
	v_lshlrev_b32_e32 v0, 2, v0
	global_store_dword v0, v62, s[0:1]
	s_endpgm
	.section	.rodata,"a",@progbits
	.p2align	6, 0x0
	.amdhsa_kernel _Z16sort_keys_kernelIiLj256ELj1EN10test_utils4lessELj10EEvPKT_PS2_T2_
		.amdhsa_group_segment_fixed_size 1028
		.amdhsa_private_segment_fixed_size 0
		.amdhsa_kernarg_size 20
		.amdhsa_user_sgpr_count 2
		.amdhsa_user_sgpr_dispatch_ptr 0
		.amdhsa_user_sgpr_queue_ptr 0
		.amdhsa_user_sgpr_kernarg_segment_ptr 1
		.amdhsa_user_sgpr_dispatch_id 0
		.amdhsa_user_sgpr_kernarg_preload_length 0
		.amdhsa_user_sgpr_kernarg_preload_offset 0
		.amdhsa_user_sgpr_private_segment_size 0
		.amdhsa_uses_dynamic_stack 0
		.amdhsa_enable_private_segment 0
		.amdhsa_system_sgpr_workgroup_id_x 1
		.amdhsa_system_sgpr_workgroup_id_y 0
		.amdhsa_system_sgpr_workgroup_id_z 0
		.amdhsa_system_sgpr_workgroup_info 0
		.amdhsa_system_vgpr_workitem_id 0
		.amdhsa_next_free_vgpr 68
		.amdhsa_next_free_sgpr 28
		.amdhsa_accum_offset 68
		.amdhsa_reserve_vcc 1
		.amdhsa_float_round_mode_32 0
		.amdhsa_float_round_mode_16_64 0
		.amdhsa_float_denorm_mode_32 3
		.amdhsa_float_denorm_mode_16_64 3
		.amdhsa_dx10_clamp 1
		.amdhsa_ieee_mode 1
		.amdhsa_fp16_overflow 0
		.amdhsa_tg_split 0
		.amdhsa_exception_fp_ieee_invalid_op 0
		.amdhsa_exception_fp_denorm_src 0
		.amdhsa_exception_fp_ieee_div_zero 0
		.amdhsa_exception_fp_ieee_overflow 0
		.amdhsa_exception_fp_ieee_underflow 0
		.amdhsa_exception_fp_ieee_inexact 0
		.amdhsa_exception_int_div_zero 0
	.end_amdhsa_kernel
	.section	.text._Z16sort_keys_kernelIiLj256ELj1EN10test_utils4lessELj10EEvPKT_PS2_T2_,"axG",@progbits,_Z16sort_keys_kernelIiLj256ELj1EN10test_utils4lessELj10EEvPKT_PS2_T2_,comdat
.Lfunc_end20:
	.size	_Z16sort_keys_kernelIiLj256ELj1EN10test_utils4lessELj10EEvPKT_PS2_T2_, .Lfunc_end20-_Z16sort_keys_kernelIiLj256ELj1EN10test_utils4lessELj10EEvPKT_PS2_T2_
                                        ; -- End function
	.section	.AMDGPU.csdata,"",@progbits
; Kernel info:
; codeLenInByte = 2580
; NumSgprs: 34
; NumVgprs: 68
; NumAgprs: 0
; TotalNumVgprs: 68
; ScratchSize: 0
; MemoryBound: 0
; FloatMode: 240
; IeeeMode: 1
; LDSByteSize: 1028 bytes/workgroup (compile time only)
; SGPRBlocks: 4
; VGPRBlocks: 8
; NumSGPRsForWavesPerEU: 34
; NumVGPRsForWavesPerEU: 68
; AccumOffset: 68
; Occupancy: 7
; WaveLimiterHint : 0
; COMPUTE_PGM_RSRC2:SCRATCH_EN: 0
; COMPUTE_PGM_RSRC2:USER_SGPR: 2
; COMPUTE_PGM_RSRC2:TRAP_HANDLER: 0
; COMPUTE_PGM_RSRC2:TGID_X_EN: 1
; COMPUTE_PGM_RSRC2:TGID_Y_EN: 0
; COMPUTE_PGM_RSRC2:TGID_Z_EN: 0
; COMPUTE_PGM_RSRC2:TIDIG_COMP_CNT: 0
; COMPUTE_PGM_RSRC3_GFX90A:ACCUM_OFFSET: 16
; COMPUTE_PGM_RSRC3_GFX90A:TG_SPLIT: 0
	.section	.text._Z17sort_pairs_kernelIiLj256ELj1EN10test_utils4lessELj10EEvPKT_PS2_T2_,"axG",@progbits,_Z17sort_pairs_kernelIiLj256ELj1EN10test_utils4lessELj10EEvPKT_PS2_T2_,comdat
	.protected	_Z17sort_pairs_kernelIiLj256ELj1EN10test_utils4lessELj10EEvPKT_PS2_T2_ ; -- Begin function _Z17sort_pairs_kernelIiLj256ELj1EN10test_utils4lessELj10EEvPKT_PS2_T2_
	.globl	_Z17sort_pairs_kernelIiLj256ELj1EN10test_utils4lessELj10EEvPKT_PS2_T2_
	.p2align	8
	.type	_Z17sort_pairs_kernelIiLj256ELj1EN10test_utils4lessELj10EEvPKT_PS2_T2_,@function
_Z17sort_pairs_kernelIiLj256ELj1EN10test_utils4lessELj10EEvPKT_PS2_T2_: ; @_Z17sort_pairs_kernelIiLj256ELj1EN10test_utils4lessELj10EEvPKT_PS2_T2_
; %bb.0:
	s_load_dwordx4 s[20:23], s[0:1], 0x0
	s_lshl_b32 s24, s2, 8
	s_mov_b32 s25, 0
	s_lshl_b64 s[26:27], s[24:25], 2
	v_lshlrev_b32_e32 v1, 2, v0
	s_waitcnt lgkmcnt(0)
	s_add_u32 s0, s20, s26
	s_addc_u32 s1, s21, s27
	global_load_dword v69, v1, s[0:1]
	v_and_b32_e32 v5, 0xfc, v0
	v_and_b32_e32 v7, 0xf8, v0
	v_or_b32_e32 v18, 2, v5
	v_add_u32_e32 v19, 4, v5
	v_and_b32_e32 v6, 3, v0
	v_and_b32_e32 v9, 0xf0, v0
	v_or_b32_e32 v21, 4, v7
	v_add_u32_e32 v22, 8, v7
	v_sub_u32_e32 v45, v19, v18
	v_and_b32_e32 v8, 7, v0
	v_and_b32_e32 v11, 0xe0, v0
	v_or_b32_e32 v24, 8, v9
	v_add_u32_e32 v25, 16, v9
	v_sub_u32_e32 v46, v22, v21
	v_sub_u32_e32 v50, v6, v45
	v_cmp_ge_i32_e64 s[0:1], v6, v45
	v_and_b32_e32 v10, 15, v0
	v_and_b32_e32 v13, 0xc0, v0
	v_or_b32_e32 v27, 16, v11
	v_add_u32_e32 v28, 32, v11
	v_sub_u32_e32 v47, v25, v24
	v_sub_u32_e32 v51, v8, v46
	v_cndmask_b32_e64 v45, 0, v50, s[0:1]
	v_cmp_ge_i32_e64 s[0:1], v8, v46
	v_and_b32_e32 v12, 31, v0
	v_and_b32_e32 v15, 0x80, v0
	v_or_b32_e32 v29, 32, v13
	v_add_u32_e32 v30, 64, v13
	v_sub_u32_e32 v48, v28, v27
	v_sub_u32_e32 v52, v10, v47
	v_cndmask_b32_e64 v46, 0, v51, s[0:1]
	v_cmp_ge_i32_e64 s[0:1], v10, v47
	v_and_b32_e32 v3, 0xfe, v0
	v_and_b32_e32 v14, 63, v0
	v_sub_u32_e32 v49, v30, v29
	v_sub_u32_e32 v53, v12, v48
	v_cndmask_b32_e64 v47, 0, v52, s[0:1]
	v_cmp_ge_i32_e64 s[0:1], v12, v48
	v_or_b32_e32 v51, 64, v15
	v_add_u32_e32 v52, 0x80, v15
	v_and_b32_e32 v4, 1, v0
	v_or_b32_e32 v16, 1, v3
	v_sub_u32_e32 v54, v14, v49
	v_cndmask_b32_e64 v48, 0, v53, s[0:1]
	v_cmp_ge_i32_e64 s[0:1], v14, v49
	v_and_b32_e32 v50, 0x7f, v0
	v_sub_u32_e32 v53, v52, v51
	v_mov_b32_e32 v2, 0x80
	v_add_u32_e32 v32, -1, v4
	v_sub_u32_e32 v39, v16, v3
	v_cmp_lt_i32_e32 vcc, 0, v4
	v_sub_u32_e32 v40, v18, v5
	v_sub_u32_e32 v41, v21, v7
	;; [unrolled: 1-line block ×5, first 2 shown]
	v_cndmask_b32_e64 v49, 0, v54, s[0:1]
	v_sub_u32_e32 v54, v51, v15
	v_sub_u32_e32 v55, v50, v53
	v_cmp_ge_i32_e64 s[10:11], v50, v53
	v_cndmask_b32_e32 v32, 0, v32, vcc
	v_min_i32_e32 v39, v4, v39
	v_min_i32_e32 v40, v6, v40
	;; [unrolled: 1-line block ×6, first 2 shown]
	v_cndmask_b32_e64 v53, 0, v55, s[10:11]
	v_min_i32_e32 v54, v50, v54
	v_sub_u32_e64 v55, v0, v2 clamp
	v_min_i32_e32 v56, 0x80, v0
	v_lshlrev_b32_e32 v17, 2, v3
	v_lshlrev_b32_e32 v20, 2, v5
	v_lshlrev_b32_e32 v23, 2, v7
	v_lshlrev_b32_e32 v26, 2, v9
	v_lshlrev_b32_e32 v31, 2, v16
	v_add_u32_e32 v33, v16, v4
	v_lshlrev_b32_e32 v34, 2, v18
	v_add_u32_e32 v35, v18, v6
	v_lshlrev_b32_e32 v36, 2, v21
	;; [unrolled: 2-line block ×3, first 2 shown]
	v_cmp_lt_i32_e32 vcc, v32, v39
	v_cmp_lt_i32_e64 s[0:1], v45, v40
	v_cmp_lt_i32_e64 s[2:3], v46, v41
	;; [unrolled: 1-line block ×5, first 2 shown]
	s_waitcnt vmcnt(0)
	v_add_u32_e32 v70, 1, v69
	v_cmp_lt_i32_e64 s[10:11], v53, v54
	v_cmp_lt_i32_e64 s[12:13], v55, v56
	s_movk_i32 s20, 0x100
	v_add_u32_e32 v57, v24, v10
	v_lshlrev_b32_e32 v58, 2, v11
	v_lshlrev_b32_e32 v59, 2, v27
	v_add_u32_e32 v60, v27, v12
	v_lshlrev_b32_e32 v61, 2, v13
	v_lshlrev_b32_e32 v62, 2, v29
	;; [unrolled: 3-line block ×3, first 2 shown]
	v_add_u32_e32 v66, v51, v50
	v_mov_b32_e32 v67, 0x200
	v_add_u32_e32 v68, 0x80, v0
	s_branch .LBB21_2
.LBB21_1:                               ;   in Loop: Header=BB21_2 Depth=1
	s_or_b64 exec, exec, s[16:17]
	v_sub_u32_e32 v72, v68, v71
	v_lshlrev_b32_e32 v69, 2, v71
	v_lshlrev_b32_e32 v73, 2, v72
	ds_read_b32 v69, v69
	ds_read_b32 v73, v73
	v_cmp_le_i32_e64 s[14:15], v2, v71
	v_cmp_gt_i32_e64 s[16:17], s20, v72
	s_waitcnt lgkmcnt(0)
	s_barrier
	v_cmp_lt_i32_e64 s[18:19], v73, v69
	s_or_b64 s[14:15], s[14:15], s[18:19]
	s_and_b64 s[14:15], s[16:17], s[14:15]
	v_cndmask_b32_e64 v71, v71, v72, s[14:15]
	ds_write_b32 v1, v70
	v_lshlrev_b32_e32 v70, 2, v71
	s_waitcnt lgkmcnt(0)
	s_barrier
	ds_read_b32 v70, v70
	s_add_i32 s25, s25, 1
	v_cndmask_b32_e64 v69, v69, v73, s[14:15]
	s_cmp_lg_u32 s25, 10
	s_cbranch_scc0 .LBB21_34
.LBB21_2:                               ; =>This Loop Header: Depth=1
                                        ;     Child Loop BB21_4 Depth 2
                                        ;     Child Loop BB21_8 Depth 2
	;; [unrolled: 1-line block ×8, first 2 shown]
	s_barrier
	ds_write_b32 v1, v69
	v_mov_b32_e32 v69, v32
	s_waitcnt lgkmcnt(0)
	s_barrier
	s_and_saveexec_b64 s[16:17], vcc
	s_cbranch_execz .LBB21_6
; %bb.3:                                ;   in Loop: Header=BB21_2 Depth=1
	s_mov_b64 s[18:19], 0
	v_mov_b32_e32 v69, v32
	v_mov_b32_e32 v71, v39
.LBB21_4:                               ;   Parent Loop BB21_2 Depth=1
                                        ; =>  This Inner Loop Header: Depth=2
	v_sub_u32_e32 v72, v71, v69
	v_lshrrev_b32_e32 v73, 31, v72
	v_add_u32_e32 v72, v72, v73
	v_ashrrev_i32_e32 v72, 1, v72
	v_add_u32_e32 v72, v72, v69
	v_xad_u32 v74, v72, -1, v4
	v_lshl_add_u32 v73, v72, 2, v17
	v_lshl_add_u32 v74, v74, 2, v31
	ds_read_b32 v73, v73
	ds_read_b32 v74, v74
	v_add_u32_e32 v75, 1, v72
	s_waitcnt lgkmcnt(0)
	v_cmp_lt_i32_e64 s[14:15], v74, v73
	s_nop 1
	v_cndmask_b32_e64 v71, v71, v72, s[14:15]
	v_cndmask_b32_e64 v69, v75, v69, s[14:15]
	v_cmp_ge_i32_e64 s[14:15], v69, v71
	s_or_b64 s[18:19], s[14:15], s[18:19]
	s_andn2_b64 exec, exec, s[18:19]
	s_cbranch_execnz .LBB21_4
; %bb.5:                                ;   in Loop: Header=BB21_2 Depth=1
	s_or_b64 exec, exec, s[18:19]
.LBB21_6:                               ;   in Loop: Header=BB21_2 Depth=1
	s_or_b64 exec, exec, s[16:17]
	v_sub_u32_e32 v71, v33, v69
	v_lshl_add_u32 v72, v69, 2, v17
	v_lshlrev_b32_e32 v73, 2, v71
	ds_read_b32 v72, v72
	ds_read_b32 v73, v73
	v_add_u32_e32 v69, v69, v3
	v_cmp_le_i32_e64 s[16:17], v16, v69
	v_cmp_ge_i32_e64 s[14:15], v16, v71
	s_waitcnt lgkmcnt(0)
	v_cmp_lt_i32_e64 s[18:19], v73, v72
	s_or_b64 s[16:17], s[16:17], s[18:19]
	s_and_b64 s[14:15], s[14:15], s[16:17]
	v_cndmask_b32_e64 v69, v69, v71, s[14:15]
	v_lshlrev_b32_e32 v69, 2, v69
	s_barrier
	ds_write_b32 v1, v70
	s_waitcnt lgkmcnt(0)
	s_barrier
	ds_read_b32 v69, v69
	v_cndmask_b32_e64 v72, v72, v73, s[14:15]
	v_mov_b32_e32 v70, v45
	s_waitcnt lgkmcnt(0)
	s_barrier
	ds_write_b32 v1, v72
	s_waitcnt lgkmcnt(0)
	s_barrier
	s_and_saveexec_b64 s[16:17], s[0:1]
	s_cbranch_execz .LBB21_10
; %bb.7:                                ;   in Loop: Header=BB21_2 Depth=1
	s_mov_b64 s[18:19], 0
	v_mov_b32_e32 v70, v45
	v_mov_b32_e32 v71, v40
.LBB21_8:                               ;   Parent Loop BB21_2 Depth=1
                                        ; =>  This Inner Loop Header: Depth=2
	v_sub_u32_e32 v72, v71, v70
	v_lshrrev_b32_e32 v73, 31, v72
	v_add_u32_e32 v72, v72, v73
	v_ashrrev_i32_e32 v72, 1, v72
	v_add_u32_e32 v72, v72, v70
	v_xad_u32 v74, v72, -1, v6
	v_lshl_add_u32 v73, v72, 2, v20
	v_lshl_add_u32 v74, v74, 2, v34
	ds_read_b32 v73, v73
	ds_read_b32 v74, v74
	v_add_u32_e32 v75, 1, v72
	s_waitcnt lgkmcnt(0)
	v_cmp_lt_i32_e64 s[14:15], v74, v73
	s_nop 1
	v_cndmask_b32_e64 v71, v71, v72, s[14:15]
	v_cndmask_b32_e64 v70, v75, v70, s[14:15]
	v_cmp_ge_i32_e64 s[14:15], v70, v71
	s_or_b64 s[18:19], s[14:15], s[18:19]
	s_andn2_b64 exec, exec, s[18:19]
	s_cbranch_execnz .LBB21_8
; %bb.9:                                ;   in Loop: Header=BB21_2 Depth=1
	s_or_b64 exec, exec, s[18:19]
.LBB21_10:                              ;   in Loop: Header=BB21_2 Depth=1
	s_or_b64 exec, exec, s[16:17]
	v_sub_u32_e32 v71, v35, v70
	v_lshl_add_u32 v72, v70, 2, v20
	v_lshlrev_b32_e32 v73, 2, v71
	ds_read_b32 v72, v72
	ds_read_b32 v73, v73
	v_add_u32_e32 v70, v70, v5
	v_cmp_le_i32_e64 s[16:17], v18, v70
	v_cmp_gt_i32_e64 s[14:15], v19, v71
	s_waitcnt lgkmcnt(0)
	v_cmp_lt_i32_e64 s[18:19], v73, v72
	s_or_b64 s[16:17], s[16:17], s[18:19]
	s_and_b64 s[14:15], s[14:15], s[16:17]
	v_cndmask_b32_e64 v70, v70, v71, s[14:15]
	s_barrier
	ds_write_b32 v1, v69
	v_lshlrev_b32_e32 v69, 2, v70
	s_waitcnt lgkmcnt(0)
	s_barrier
	ds_read_b32 v69, v69
	v_cndmask_b32_e64 v72, v72, v73, s[14:15]
	v_mov_b32_e32 v70, v46
	s_waitcnt lgkmcnt(0)
	s_barrier
	ds_write_b32 v1, v72
	s_waitcnt lgkmcnt(0)
	s_barrier
	s_and_saveexec_b64 s[16:17], s[2:3]
	s_cbranch_execz .LBB21_14
; %bb.11:                               ;   in Loop: Header=BB21_2 Depth=1
	s_mov_b64 s[18:19], 0
	v_mov_b32_e32 v70, v46
	v_mov_b32_e32 v71, v41
.LBB21_12:                              ;   Parent Loop BB21_2 Depth=1
                                        ; =>  This Inner Loop Header: Depth=2
	v_sub_u32_e32 v72, v71, v70
	v_lshrrev_b32_e32 v73, 31, v72
	v_add_u32_e32 v72, v72, v73
	v_ashrrev_i32_e32 v72, 1, v72
	v_add_u32_e32 v72, v72, v70
	v_xad_u32 v74, v72, -1, v8
	v_lshl_add_u32 v73, v72, 2, v23
	v_lshl_add_u32 v74, v74, 2, v36
	ds_read_b32 v73, v73
	ds_read_b32 v74, v74
	v_add_u32_e32 v75, 1, v72
	s_waitcnt lgkmcnt(0)
	v_cmp_lt_i32_e64 s[14:15], v74, v73
	s_nop 1
	v_cndmask_b32_e64 v71, v71, v72, s[14:15]
	v_cndmask_b32_e64 v70, v75, v70, s[14:15]
	v_cmp_ge_i32_e64 s[14:15], v70, v71
	s_or_b64 s[18:19], s[14:15], s[18:19]
	s_andn2_b64 exec, exec, s[18:19]
	s_cbranch_execnz .LBB21_12
; %bb.13:                               ;   in Loop: Header=BB21_2 Depth=1
	s_or_b64 exec, exec, s[18:19]
.LBB21_14:                              ;   in Loop: Header=BB21_2 Depth=1
	s_or_b64 exec, exec, s[16:17]
	v_sub_u32_e32 v71, v37, v70
	v_lshl_add_u32 v72, v70, 2, v23
	v_lshlrev_b32_e32 v73, 2, v71
	ds_read_b32 v72, v72
	ds_read_b32 v73, v73
	v_add_u32_e32 v70, v70, v7
	v_cmp_le_i32_e64 s[16:17], v21, v70
	v_cmp_gt_i32_e64 s[14:15], v22, v71
	s_waitcnt lgkmcnt(0)
	v_cmp_lt_i32_e64 s[18:19], v73, v72
	s_or_b64 s[16:17], s[16:17], s[18:19]
	s_and_b64 s[14:15], s[14:15], s[16:17]
	v_cndmask_b32_e64 v70, v70, v71, s[14:15]
	s_barrier
	ds_write_b32 v1, v69
	v_lshlrev_b32_e32 v69, 2, v70
	s_waitcnt lgkmcnt(0)
	s_barrier
	ds_read_b32 v69, v69
	v_cndmask_b32_e64 v72, v72, v73, s[14:15]
	v_mov_b32_e32 v70, v47
	s_waitcnt lgkmcnt(0)
	s_barrier
	ds_write_b32 v1, v72
	s_waitcnt lgkmcnt(0)
	s_barrier
	s_and_saveexec_b64 s[16:17], s[4:5]
	s_cbranch_execz .LBB21_18
; %bb.15:                               ;   in Loop: Header=BB21_2 Depth=1
	s_mov_b64 s[18:19], 0
	v_mov_b32_e32 v70, v47
	v_mov_b32_e32 v71, v42
.LBB21_16:                              ;   Parent Loop BB21_2 Depth=1
                                        ; =>  This Inner Loop Header: Depth=2
	v_sub_u32_e32 v72, v71, v70
	v_lshrrev_b32_e32 v73, 31, v72
	v_add_u32_e32 v72, v72, v73
	v_ashrrev_i32_e32 v72, 1, v72
	v_add_u32_e32 v72, v72, v70
	v_xad_u32 v74, v72, -1, v10
	v_lshl_add_u32 v73, v72, 2, v26
	v_lshl_add_u32 v74, v74, 2, v38
	ds_read_b32 v73, v73
	ds_read_b32 v74, v74
	v_add_u32_e32 v75, 1, v72
	s_waitcnt lgkmcnt(0)
	v_cmp_lt_i32_e64 s[14:15], v74, v73
	s_nop 1
	v_cndmask_b32_e64 v71, v71, v72, s[14:15]
	v_cndmask_b32_e64 v70, v75, v70, s[14:15]
	v_cmp_ge_i32_e64 s[14:15], v70, v71
	s_or_b64 s[18:19], s[14:15], s[18:19]
	s_andn2_b64 exec, exec, s[18:19]
	s_cbranch_execnz .LBB21_16
; %bb.17:                               ;   in Loop: Header=BB21_2 Depth=1
	s_or_b64 exec, exec, s[18:19]
.LBB21_18:                              ;   in Loop: Header=BB21_2 Depth=1
	;; [unrolled: 58-line block ×5, first 2 shown]
	s_or_b64 exec, exec, s[16:17]
	v_sub_u32_e32 v71, v66, v70
	v_lshl_add_u32 v72, v70, 2, v64
	v_lshlrev_b32_e32 v73, 2, v71
	ds_read_b32 v72, v72
	ds_read_b32 v73, v73
	v_add_u32_e32 v70, v70, v15
	v_cmp_le_i32_e64 s[16:17], v51, v70
	v_cmp_gt_i32_e64 s[14:15], v52, v71
	s_waitcnt lgkmcnt(0)
	v_cmp_lt_i32_e64 s[18:19], v73, v72
	s_or_b64 s[16:17], s[16:17], s[18:19]
	s_and_b64 s[14:15], s[14:15], s[16:17]
	v_cndmask_b32_e64 v70, v70, v71, s[14:15]
	s_barrier
	ds_write_b32 v1, v69
	v_lshlrev_b32_e32 v69, 2, v70
	s_waitcnt lgkmcnt(0)
	s_barrier
	ds_read_b32 v70, v69
	v_cndmask_b32_e64 v72, v72, v73, s[14:15]
	v_mov_b32_e32 v71, v55
	s_waitcnt lgkmcnt(0)
	s_barrier
	ds_write_b32 v1, v72
	s_waitcnt lgkmcnt(0)
	s_barrier
	s_and_saveexec_b64 s[16:17], s[12:13]
	s_cbranch_execz .LBB21_1
; %bb.31:                               ;   in Loop: Header=BB21_2 Depth=1
	s_mov_b64 s[18:19], 0
	v_mov_b32_e32 v71, v55
	v_mov_b32_e32 v69, v56
.LBB21_32:                              ;   Parent Loop BB21_2 Depth=1
                                        ; =>  This Inner Loop Header: Depth=2
	v_sub_u32_e32 v72, v69, v71
	v_lshrrev_b32_e32 v73, 31, v72
	v_add_u32_e32 v72, v72, v73
	v_ashrrev_i32_e32 v72, 1, v72
	v_add_u32_e32 v72, v72, v71
	v_xad_u32 v74, v72, -1, v0
	v_lshlrev_b32_e32 v73, 2, v72
	v_lshl_add_u32 v74, v74, 2, v67
	ds_read_b32 v73, v73
	ds_read_b32 v74, v74
	v_add_u32_e32 v75, 1, v72
	s_waitcnt lgkmcnt(0)
	v_cmp_lt_i32_e64 s[14:15], v74, v73
	s_nop 1
	v_cndmask_b32_e64 v69, v69, v72, s[14:15]
	v_cndmask_b32_e64 v71, v75, v71, s[14:15]
	v_cmp_ge_i32_e64 s[14:15], v71, v69
	s_or_b64 s[18:19], s[14:15], s[18:19]
	s_andn2_b64 exec, exec, s[18:19]
	s_cbranch_execnz .LBB21_32
; %bb.33:                               ;   in Loop: Header=BB21_2 Depth=1
	s_or_b64 exec, exec, s[18:19]
	s_branch .LBB21_1
.LBB21_34:
	s_add_u32 s0, s22, s26
	s_waitcnt lgkmcnt(0)
	v_add_u32_e32 v1, v69, v70
	s_addc_u32 s1, s23, s27
	v_lshlrev_b32_e32 v0, 2, v0
	global_store_dword v0, v1, s[0:1]
	s_endpgm
	.section	.rodata,"a",@progbits
	.p2align	6, 0x0
	.amdhsa_kernel _Z17sort_pairs_kernelIiLj256ELj1EN10test_utils4lessELj10EEvPKT_PS2_T2_
		.amdhsa_group_segment_fixed_size 1028
		.amdhsa_private_segment_fixed_size 0
		.amdhsa_kernarg_size 20
		.amdhsa_user_sgpr_count 2
		.amdhsa_user_sgpr_dispatch_ptr 0
		.amdhsa_user_sgpr_queue_ptr 0
		.amdhsa_user_sgpr_kernarg_segment_ptr 1
		.amdhsa_user_sgpr_dispatch_id 0
		.amdhsa_user_sgpr_kernarg_preload_length 0
		.amdhsa_user_sgpr_kernarg_preload_offset 0
		.amdhsa_user_sgpr_private_segment_size 0
		.amdhsa_uses_dynamic_stack 0
		.amdhsa_enable_private_segment 0
		.amdhsa_system_sgpr_workgroup_id_x 1
		.amdhsa_system_sgpr_workgroup_id_y 0
		.amdhsa_system_sgpr_workgroup_id_z 0
		.amdhsa_system_sgpr_workgroup_info 0
		.amdhsa_system_vgpr_workitem_id 0
		.amdhsa_next_free_vgpr 76
		.amdhsa_next_free_sgpr 28
		.amdhsa_accum_offset 76
		.amdhsa_reserve_vcc 1
		.amdhsa_float_round_mode_32 0
		.amdhsa_float_round_mode_16_64 0
		.amdhsa_float_denorm_mode_32 3
		.amdhsa_float_denorm_mode_16_64 3
		.amdhsa_dx10_clamp 1
		.amdhsa_ieee_mode 1
		.amdhsa_fp16_overflow 0
		.amdhsa_tg_split 0
		.amdhsa_exception_fp_ieee_invalid_op 0
		.amdhsa_exception_fp_denorm_src 0
		.amdhsa_exception_fp_ieee_div_zero 0
		.amdhsa_exception_fp_ieee_overflow 0
		.amdhsa_exception_fp_ieee_underflow 0
		.amdhsa_exception_fp_ieee_inexact 0
		.amdhsa_exception_int_div_zero 0
	.end_amdhsa_kernel
	.section	.text._Z17sort_pairs_kernelIiLj256ELj1EN10test_utils4lessELj10EEvPKT_PS2_T2_,"axG",@progbits,_Z17sort_pairs_kernelIiLj256ELj1EN10test_utils4lessELj10EEvPKT_PS2_T2_,comdat
.Lfunc_end21:
	.size	_Z17sort_pairs_kernelIiLj256ELj1EN10test_utils4lessELj10EEvPKT_PS2_T2_, .Lfunc_end21-_Z17sort_pairs_kernelIiLj256ELj1EN10test_utils4lessELj10EEvPKT_PS2_T2_
                                        ; -- End function
	.section	.AMDGPU.csdata,"",@progbits
; Kernel info:
; codeLenInByte = 2968
; NumSgprs: 34
; NumVgprs: 76
; NumAgprs: 0
; TotalNumVgprs: 76
; ScratchSize: 0
; MemoryBound: 0
; FloatMode: 240
; IeeeMode: 1
; LDSByteSize: 1028 bytes/workgroup (compile time only)
; SGPRBlocks: 4
; VGPRBlocks: 9
; NumSGPRsForWavesPerEU: 34
; NumVGPRsForWavesPerEU: 76
; AccumOffset: 76
; Occupancy: 6
; WaveLimiterHint : 0
; COMPUTE_PGM_RSRC2:SCRATCH_EN: 0
; COMPUTE_PGM_RSRC2:USER_SGPR: 2
; COMPUTE_PGM_RSRC2:TRAP_HANDLER: 0
; COMPUTE_PGM_RSRC2:TGID_X_EN: 1
; COMPUTE_PGM_RSRC2:TGID_Y_EN: 0
; COMPUTE_PGM_RSRC2:TGID_Z_EN: 0
; COMPUTE_PGM_RSRC2:TIDIG_COMP_CNT: 0
; COMPUTE_PGM_RSRC3_GFX90A:ACCUM_OFFSET: 18
; COMPUTE_PGM_RSRC3_GFX90A:TG_SPLIT: 0
	.section	.text._Z16sort_keys_kernelIiLj256ELj2EN10test_utils4lessELj10EEvPKT_PS2_T2_,"axG",@progbits,_Z16sort_keys_kernelIiLj256ELj2EN10test_utils4lessELj10EEvPKT_PS2_T2_,comdat
	.protected	_Z16sort_keys_kernelIiLj256ELj2EN10test_utils4lessELj10EEvPKT_PS2_T2_ ; -- Begin function _Z16sort_keys_kernelIiLj256ELj2EN10test_utils4lessELj10EEvPKT_PS2_T2_
	.globl	_Z16sort_keys_kernelIiLj256ELj2EN10test_utils4lessELj10EEvPKT_PS2_T2_
	.p2align	8
	.type	_Z16sort_keys_kernelIiLj256ELj2EN10test_utils4lessELj10EEvPKT_PS2_T2_,@function
_Z16sort_keys_kernelIiLj256ELj2EN10test_utils4lessELj10EEvPKT_PS2_T2_: ; @_Z16sort_keys_kernelIiLj256ELj2EN10test_utils4lessELj10EEvPKT_PS2_T2_
; %bb.0:
	s_load_dwordx4 s[20:23], s[0:1], 0x0
	s_lshl_b32 s24, s2, 9
	s_mov_b32 s25, 0
	s_lshl_b64 s[26:27], s[24:25], 2
	v_lshlrev_b32_e32 v1, 2, v0
	s_waitcnt lgkmcnt(0)
	s_add_u32 s0, s20, s26
	s_addc_u32 s1, s21, s27
	global_load_dword v71, v1, s[0:1]
	global_load_dword v72, v1, s[0:1] offset:1024
	v_lshlrev_b32_e32 v1, 1, v0
	v_and_b32_e32 v30, 0x1e0, v1
	v_or_b32_e32 v32, 16, v30
	v_add_u32_e32 v33, 32, v30
	v_and_b32_e32 v31, 30, v1
	v_sub_u32_e32 v34, v33, v32
	v_sub_u32_e32 v36, v31, v34
	v_cmp_ge_i32_e64 s[4:5], v31, v34
	v_and_b32_e32 v37, 62, v1
	v_and_b32_e32 v3, 0x1fc, v1
	v_cndmask_b32_e64 v34, 0, v36, s[4:5]
	v_and_b32_e32 v36, 0x1c0, v1
	v_or_b32_e32 v38, 32, v36
	v_add_u32_e32 v39, 64, v36
	v_sub_u32_e32 v40, v39, v38
	v_sub_u32_e32 v42, v37, v40
	v_cmp_ge_i32_e64 s[6:7], v37, v40
	v_and_b32_e32 v12, 0x1f8, v1
	v_and_b32_e32 v21, 0x1f0, v1
	v_cndmask_b32_e64 v40, 0, v42, s[6:7]
	v_and_b32_e32 v42, 0x180, v1
	v_or_b32_e32 v44, 64, v42
	v_add_u32_e32 v45, 0x80, v42
	v_and_b32_e32 v49, 0x100, v1
	v_or_b32_e32 v5, 2, v3
	v_add_u32_e32 v6, 4, v3
	v_or_b32_e32 v14, 4, v12
	v_add_u32_e32 v15, 8, v12
	;; [unrolled: 2-line block ×3, first 2 shown]
	v_and_b32_e32 v43, 0x7e, v1
	v_sub_u32_e32 v46, v45, v44
	v_or_b32_e32 v51, 0x80, v49
	v_add_u32_e32 v52, 0x100, v49
	v_and_b32_e32 v4, 2, v1
	v_sub_u32_e32 v9, v6, v5
	v_and_b32_e32 v13, 6, v1
	v_sub_u32_e32 v18, v15, v14
	v_and_b32_e32 v22, 14, v1
	v_sub_u32_e32 v27, v24, v23
	v_sub_u32_e32 v48, v43, v46
	v_cmp_ge_i32_e64 s[8:9], v43, v46
	v_and_b32_e32 v50, 0xfe, v1
	v_sub_u32_e32 v53, v52, v51
	v_sub_u32_e32 v10, v5, v3
	;; [unrolled: 1-line block ×3, first 2 shown]
	v_cmp_ge_i32_e32 vcc, v4, v9
	v_sub_u32_e32 v19, v14, v12
	v_sub_u32_e32 v20, v13, v18
	v_cmp_ge_i32_e64 s[0:1], v13, v18
	v_sub_u32_e32 v28, v23, v21
	v_sub_u32_e32 v29, v22, v27
	v_cmp_ge_i32_e64 s[2:3], v22, v27
	v_sub_u32_e32 v35, v32, v30
	v_sub_u32_e32 v41, v38, v36
	;; [unrolled: 1-line block ×3, first 2 shown]
	v_cndmask_b32_e64 v46, 0, v48, s[8:9]
	v_mov_b32_e32 v48, 0x100
	v_sub_u32_e32 v54, v51, v49
	v_sub_u32_e32 v55, v50, v53
	v_cmp_ge_i32_e64 s[10:11], v50, v53
	v_cndmask_b32_e32 v9, 0, v11, vcc
	v_min_i32_e32 v10, v4, v10
	v_cndmask_b32_e64 v18, 0, v20, s[0:1]
	v_min_i32_e32 v19, v13, v19
	v_cndmask_b32_e64 v27, 0, v29, s[2:3]
	v_min_i32_e32 v28, v22, v28
	v_min_i32_e32 v35, v31, v35
	;; [unrolled: 1-line block ×4, first 2 shown]
	v_cndmask_b32_e64 v53, 0, v55, s[10:11]
	v_min_i32_e32 v54, v50, v54
	v_sub_u32_e64 v55, v1, v48 clamp
	v_min_i32_e32 v56, 0x100, v1
	v_lshlrev_b32_e32 v2, 3, v0
	v_lshlrev_b32_e32 v7, 2, v3
	;; [unrolled: 1-line block ×3, first 2 shown]
	v_cmp_lt_i32_e32 vcc, v9, v10
	v_add_u32_e32 v11, v5, v4
	v_lshlrev_b32_e32 v16, 2, v12
	v_lshlrev_b32_e32 v17, 2, v14
	v_cmp_lt_i32_e64 s[0:1], v18, v19
	v_add_u32_e32 v20, v14, v13
	v_lshlrev_b32_e32 v25, 2, v21
	v_lshlrev_b32_e32 v26, 2, v23
	v_cmp_lt_i32_e64 s[2:3], v27, v28
	v_add_u32_e32 v29, v23, v22
	v_cmp_lt_i32_e64 s[4:5], v34, v35
	v_cmp_lt_i32_e64 s[6:7], v40, v41
	;; [unrolled: 1-line block ×5, first 2 shown]
	s_movk_i32 s20, 0x200
	v_lshlrev_b32_e32 v57, 2, v30
	v_lshlrev_b32_e32 v58, 2, v32
	v_add_u32_e32 v59, v32, v31
	v_lshlrev_b32_e32 v60, 2, v36
	v_lshlrev_b32_e32 v61, 2, v38
	v_add_u32_e32 v62, v38, v37
	;; [unrolled: 3-line block ×4, first 2 shown]
	v_mov_b32_e32 v69, 0x400
	v_add_u32_e32 v70, 0x100, v1
	s_branch .LBB22_2
.LBB22_1:                               ;   in Loop: Header=BB22_2 Depth=1
	s_or_b64 exec, exec, s[16:17]
	v_cmp_ge_i32_e64 s[16:17], v72, v48
	s_waitcnt lgkmcnt(0)
	v_cmp_lt_i32_e64 s[18:19], v75, v76
	v_cndmask_b32_e64 v71, v71, v74, s[14:15]
	v_cmp_gt_i32_e64 s[14:15], s20, v73
	s_or_b64 s[16:17], s[16:17], s[18:19]
	s_add_i32 s25, s25, 1
	s_and_b64 s[14:15], s[14:15], s[16:17]
	s_cmp_eq_u32 s25, 10
	v_cndmask_b32_e64 v72, v76, v75, s[14:15]
	s_cbranch_scc1 .LBB22_66
.LBB22_2:                               ; =>This Loop Header: Depth=1
                                        ;     Child Loop BB22_4 Depth 2
                                        ;     Child Loop BB22_12 Depth 2
	;; [unrolled: 1-line block ×8, first 2 shown]
	s_waitcnt vmcnt(0)
	v_cmp_lt_i32_e64 s[14:15], v72, v71
	s_barrier
	s_nop 0
	v_cndmask_b32_e64 v73, v72, v71, s[14:15]
	v_cndmask_b32_e64 v71, v71, v72, s[14:15]
	v_mov_b32_e32 v72, v9
	ds_write2_b32 v2, v71, v73 offset1:1
	s_waitcnt lgkmcnt(0)
	s_barrier
	s_and_saveexec_b64 s[16:17], vcc
	s_cbranch_execz .LBB22_6
; %bb.3:                                ;   in Loop: Header=BB22_2 Depth=1
	s_mov_b64 s[18:19], 0
	v_mov_b32_e32 v72, v9
	v_mov_b32_e32 v71, v10
.LBB22_4:                               ;   Parent Loop BB22_2 Depth=1
                                        ; =>  This Inner Loop Header: Depth=2
	v_sub_u32_e32 v73, v71, v72
	v_lshrrev_b32_e32 v74, 31, v73
	v_add_u32_e32 v73, v73, v74
	v_ashrrev_i32_e32 v73, 1, v73
	v_add_u32_e32 v73, v73, v72
	v_xad_u32 v75, v73, -1, v4
	v_lshl_add_u32 v74, v73, 2, v7
	v_lshl_add_u32 v75, v75, 2, v8
	ds_read_b32 v74, v74
	ds_read_b32 v75, v75
	v_add_u32_e32 v76, 1, v73
	s_waitcnt lgkmcnt(0)
	v_cmp_lt_i32_e64 s[14:15], v75, v74
	s_nop 1
	v_cndmask_b32_e64 v71, v71, v73, s[14:15]
	v_cndmask_b32_e64 v72, v76, v72, s[14:15]
	v_cmp_ge_i32_e64 s[14:15], v72, v71
	s_or_b64 s[18:19], s[14:15], s[18:19]
	s_andn2_b64 exec, exec, s[18:19]
	s_cbranch_execnz .LBB22_4
; %bb.5:                                ;   in Loop: Header=BB22_2 Depth=1
	s_or_b64 exec, exec, s[18:19]
.LBB22_6:                               ;   in Loop: Header=BB22_2 Depth=1
	s_or_b64 exec, exec, s[16:17]
	v_sub_u32_e32 v71, v11, v72
	v_lshl_add_u32 v78, v72, 2, v7
	v_lshlrev_b32_e32 v77, 2, v71
	ds_read_b32 v73, v78
	ds_read_b32 v74, v77
	v_add_u32_e32 v72, v72, v3
	v_cmp_le_i32_e64 s[16:17], v5, v72
	v_cmp_gt_i32_e64 s[14:15], v6, v71
                                        ; implicit-def: $vgpr75
                                        ; implicit-def: $vgpr76
	s_waitcnt lgkmcnt(0)
	v_cmp_lt_i32_e64 s[18:19], v74, v73
	s_or_b64 s[16:17], s[16:17], s[18:19]
	s_and_b64 s[14:15], s[14:15], s[16:17]
	s_xor_b64 s[16:17], s[14:15], -1
	s_and_saveexec_b64 s[18:19], s[16:17]
	s_xor_b64 s[16:17], exec, s[18:19]
	s_cbranch_execz .LBB22_8
; %bb.7:                                ;   in Loop: Header=BB22_2 Depth=1
	ds_read_b32 v76, v78 offset:4
	v_mov_b32_e32 v75, v74
                                        ; implicit-def: $vgpr77
.LBB22_8:                               ;   in Loop: Header=BB22_2 Depth=1
	s_andn2_saveexec_b64 s[16:17], s[16:17]
	s_cbranch_execz .LBB22_10
; %bb.9:                                ;   in Loop: Header=BB22_2 Depth=1
	ds_read_b32 v75, v77 offset:4
	s_waitcnt lgkmcnt(1)
	v_mov_b32_e32 v76, v73
.LBB22_10:                              ;   in Loop: Header=BB22_2 Depth=1
	s_or_b64 exec, exec, s[16:17]
	v_add_u32_e32 v77, 1, v72
	v_cndmask_b32_e64 v73, v73, v74, s[14:15]
	v_add_u32_e32 v74, 1, v71
	v_cndmask_b32_e64 v72, v77, v72, s[14:15]
	v_cndmask_b32_e64 v71, v71, v74, s[14:15]
	v_cmp_ge_i32_e64 s[16:17], v72, v5
	s_waitcnt lgkmcnt(0)
	v_cmp_lt_i32_e64 s[18:19], v75, v76
	v_cmp_lt_i32_e64 s[14:15], v71, v6
	s_or_b64 s[16:17], s[16:17], s[18:19]
	s_and_b64 s[14:15], s[14:15], s[16:17]
	v_cndmask_b32_e64 v71, v76, v75, s[14:15]
	s_barrier
	ds_write2_b32 v2, v73, v71 offset1:1
	v_mov_b32_e32 v71, v18
	s_waitcnt lgkmcnt(0)
	s_barrier
	s_and_saveexec_b64 s[16:17], s[0:1]
	s_cbranch_execz .LBB22_14
; %bb.11:                               ;   in Loop: Header=BB22_2 Depth=1
	s_mov_b64 s[18:19], 0
	v_mov_b32_e32 v71, v18
	v_mov_b32_e32 v72, v19
.LBB22_12:                              ;   Parent Loop BB22_2 Depth=1
                                        ; =>  This Inner Loop Header: Depth=2
	v_sub_u32_e32 v73, v72, v71
	v_lshrrev_b32_e32 v74, 31, v73
	v_add_u32_e32 v73, v73, v74
	v_ashrrev_i32_e32 v73, 1, v73
	v_add_u32_e32 v73, v73, v71
	v_xad_u32 v75, v73, -1, v13
	v_lshl_add_u32 v74, v73, 2, v16
	v_lshl_add_u32 v75, v75, 2, v17
	ds_read_b32 v74, v74
	ds_read_b32 v75, v75
	v_add_u32_e32 v76, 1, v73
	s_waitcnt lgkmcnt(0)
	v_cmp_lt_i32_e64 s[14:15], v75, v74
	s_nop 1
	v_cndmask_b32_e64 v72, v72, v73, s[14:15]
	v_cndmask_b32_e64 v71, v76, v71, s[14:15]
	v_cmp_ge_i32_e64 s[14:15], v71, v72
	s_or_b64 s[18:19], s[14:15], s[18:19]
	s_andn2_b64 exec, exec, s[18:19]
	s_cbranch_execnz .LBB22_12
; %bb.13:                               ;   in Loop: Header=BB22_2 Depth=1
	s_or_b64 exec, exec, s[18:19]
.LBB22_14:                              ;   in Loop: Header=BB22_2 Depth=1
	s_or_b64 exec, exec, s[16:17]
	v_sub_u32_e32 v72, v20, v71
	v_lshl_add_u32 v78, v71, 2, v16
	v_lshlrev_b32_e32 v77, 2, v72
	ds_read_b32 v73, v78
	ds_read_b32 v74, v77
	v_add_u32_e32 v71, v71, v12
	v_cmp_le_i32_e64 s[16:17], v14, v71
	v_cmp_gt_i32_e64 s[14:15], v15, v72
                                        ; implicit-def: $vgpr75
                                        ; implicit-def: $vgpr76
	s_waitcnt lgkmcnt(0)
	v_cmp_lt_i32_e64 s[18:19], v74, v73
	s_or_b64 s[16:17], s[16:17], s[18:19]
	s_and_b64 s[14:15], s[14:15], s[16:17]
	s_xor_b64 s[16:17], s[14:15], -1
	s_and_saveexec_b64 s[18:19], s[16:17]
	s_xor_b64 s[16:17], exec, s[18:19]
	s_cbranch_execz .LBB22_16
; %bb.15:                               ;   in Loop: Header=BB22_2 Depth=1
	ds_read_b32 v76, v78 offset:4
	v_mov_b32_e32 v75, v74
                                        ; implicit-def: $vgpr77
.LBB22_16:                              ;   in Loop: Header=BB22_2 Depth=1
	s_andn2_saveexec_b64 s[16:17], s[16:17]
	s_cbranch_execz .LBB22_18
; %bb.17:                               ;   in Loop: Header=BB22_2 Depth=1
	ds_read_b32 v75, v77 offset:4
	s_waitcnt lgkmcnt(1)
	v_mov_b32_e32 v76, v73
.LBB22_18:                              ;   in Loop: Header=BB22_2 Depth=1
	s_or_b64 exec, exec, s[16:17]
	v_add_u32_e32 v77, 1, v71
	v_cndmask_b32_e64 v73, v73, v74, s[14:15]
	v_add_u32_e32 v74, 1, v72
	v_cndmask_b32_e64 v71, v77, v71, s[14:15]
	v_cndmask_b32_e64 v72, v72, v74, s[14:15]
	v_cmp_ge_i32_e64 s[16:17], v71, v14
	s_waitcnt lgkmcnt(0)
	v_cmp_lt_i32_e64 s[18:19], v75, v76
	v_cmp_lt_i32_e64 s[14:15], v72, v15
	s_or_b64 s[16:17], s[16:17], s[18:19]
	s_and_b64 s[14:15], s[14:15], s[16:17]
	v_cndmask_b32_e64 v71, v76, v75, s[14:15]
	s_barrier
	ds_write2_b32 v2, v73, v71 offset1:1
	v_mov_b32_e32 v71, v27
	s_waitcnt lgkmcnt(0)
	s_barrier
	s_and_saveexec_b64 s[16:17], s[2:3]
	s_cbranch_execz .LBB22_22
; %bb.19:                               ;   in Loop: Header=BB22_2 Depth=1
	s_mov_b64 s[18:19], 0
	v_mov_b32_e32 v71, v27
	v_mov_b32_e32 v72, v28
.LBB22_20:                              ;   Parent Loop BB22_2 Depth=1
                                        ; =>  This Inner Loop Header: Depth=2
	v_sub_u32_e32 v73, v72, v71
	v_lshrrev_b32_e32 v74, 31, v73
	v_add_u32_e32 v73, v73, v74
	v_ashrrev_i32_e32 v73, 1, v73
	v_add_u32_e32 v73, v73, v71
	v_xad_u32 v75, v73, -1, v22
	v_lshl_add_u32 v74, v73, 2, v25
	v_lshl_add_u32 v75, v75, 2, v26
	ds_read_b32 v74, v74
	ds_read_b32 v75, v75
	v_add_u32_e32 v76, 1, v73
	s_waitcnt lgkmcnt(0)
	v_cmp_lt_i32_e64 s[14:15], v75, v74
	s_nop 1
	v_cndmask_b32_e64 v72, v72, v73, s[14:15]
	v_cndmask_b32_e64 v71, v76, v71, s[14:15]
	v_cmp_ge_i32_e64 s[14:15], v71, v72
	s_or_b64 s[18:19], s[14:15], s[18:19]
	s_andn2_b64 exec, exec, s[18:19]
	s_cbranch_execnz .LBB22_20
; %bb.21:                               ;   in Loop: Header=BB22_2 Depth=1
	s_or_b64 exec, exec, s[18:19]
.LBB22_22:                              ;   in Loop: Header=BB22_2 Depth=1
	s_or_b64 exec, exec, s[16:17]
	v_sub_u32_e32 v72, v29, v71
	v_lshl_add_u32 v78, v71, 2, v25
	v_lshlrev_b32_e32 v77, 2, v72
	ds_read_b32 v73, v78
	ds_read_b32 v74, v77
	v_add_u32_e32 v71, v71, v21
	v_cmp_le_i32_e64 s[16:17], v23, v71
	v_cmp_gt_i32_e64 s[14:15], v24, v72
                                        ; implicit-def: $vgpr75
                                        ; implicit-def: $vgpr76
	s_waitcnt lgkmcnt(0)
	v_cmp_lt_i32_e64 s[18:19], v74, v73
	s_or_b64 s[16:17], s[16:17], s[18:19]
	s_and_b64 s[14:15], s[14:15], s[16:17]
	s_xor_b64 s[16:17], s[14:15], -1
	s_and_saveexec_b64 s[18:19], s[16:17]
	s_xor_b64 s[16:17], exec, s[18:19]
	s_cbranch_execz .LBB22_24
; %bb.23:                               ;   in Loop: Header=BB22_2 Depth=1
	ds_read_b32 v76, v78 offset:4
	v_mov_b32_e32 v75, v74
                                        ; implicit-def: $vgpr77
.LBB22_24:                              ;   in Loop: Header=BB22_2 Depth=1
	s_andn2_saveexec_b64 s[16:17], s[16:17]
	s_cbranch_execz .LBB22_26
; %bb.25:                               ;   in Loop: Header=BB22_2 Depth=1
	ds_read_b32 v75, v77 offset:4
	s_waitcnt lgkmcnt(1)
	v_mov_b32_e32 v76, v73
.LBB22_26:                              ;   in Loop: Header=BB22_2 Depth=1
	s_or_b64 exec, exec, s[16:17]
	v_add_u32_e32 v77, 1, v71
	v_cndmask_b32_e64 v73, v73, v74, s[14:15]
	v_add_u32_e32 v74, 1, v72
	v_cndmask_b32_e64 v71, v77, v71, s[14:15]
	v_cndmask_b32_e64 v72, v72, v74, s[14:15]
	v_cmp_ge_i32_e64 s[16:17], v71, v23
	s_waitcnt lgkmcnt(0)
	v_cmp_lt_i32_e64 s[18:19], v75, v76
	v_cmp_lt_i32_e64 s[14:15], v72, v24
	s_or_b64 s[16:17], s[16:17], s[18:19]
	s_and_b64 s[14:15], s[14:15], s[16:17]
	v_cndmask_b32_e64 v71, v76, v75, s[14:15]
	s_barrier
	ds_write2_b32 v2, v73, v71 offset1:1
	v_mov_b32_e32 v71, v34
	s_waitcnt lgkmcnt(0)
	s_barrier
	s_and_saveexec_b64 s[16:17], s[4:5]
	s_cbranch_execz .LBB22_30
; %bb.27:                               ;   in Loop: Header=BB22_2 Depth=1
	s_mov_b64 s[18:19], 0
	v_mov_b32_e32 v71, v34
	v_mov_b32_e32 v72, v35
.LBB22_28:                              ;   Parent Loop BB22_2 Depth=1
                                        ; =>  This Inner Loop Header: Depth=2
	v_sub_u32_e32 v73, v72, v71
	v_lshrrev_b32_e32 v74, 31, v73
	v_add_u32_e32 v73, v73, v74
	v_ashrrev_i32_e32 v73, 1, v73
	v_add_u32_e32 v73, v73, v71
	v_xad_u32 v75, v73, -1, v31
	v_lshl_add_u32 v74, v73, 2, v57
	v_lshl_add_u32 v75, v75, 2, v58
	ds_read_b32 v74, v74
	ds_read_b32 v75, v75
	v_add_u32_e32 v76, 1, v73
	s_waitcnt lgkmcnt(0)
	v_cmp_lt_i32_e64 s[14:15], v75, v74
	s_nop 1
	v_cndmask_b32_e64 v72, v72, v73, s[14:15]
	v_cndmask_b32_e64 v71, v76, v71, s[14:15]
	v_cmp_ge_i32_e64 s[14:15], v71, v72
	s_or_b64 s[18:19], s[14:15], s[18:19]
	s_andn2_b64 exec, exec, s[18:19]
	s_cbranch_execnz .LBB22_28
; %bb.29:                               ;   in Loop: Header=BB22_2 Depth=1
	s_or_b64 exec, exec, s[18:19]
.LBB22_30:                              ;   in Loop: Header=BB22_2 Depth=1
	s_or_b64 exec, exec, s[16:17]
	v_sub_u32_e32 v72, v59, v71
	v_lshl_add_u32 v78, v71, 2, v57
	v_lshlrev_b32_e32 v77, 2, v72
	ds_read_b32 v73, v78
	ds_read_b32 v74, v77
	v_add_u32_e32 v71, v71, v30
	v_cmp_le_i32_e64 s[16:17], v32, v71
	v_cmp_gt_i32_e64 s[14:15], v33, v72
                                        ; implicit-def: $vgpr75
                                        ; implicit-def: $vgpr76
	s_waitcnt lgkmcnt(0)
	v_cmp_lt_i32_e64 s[18:19], v74, v73
	s_or_b64 s[16:17], s[16:17], s[18:19]
	s_and_b64 s[14:15], s[14:15], s[16:17]
	s_xor_b64 s[16:17], s[14:15], -1
	s_and_saveexec_b64 s[18:19], s[16:17]
	s_xor_b64 s[16:17], exec, s[18:19]
	s_cbranch_execz .LBB22_32
; %bb.31:                               ;   in Loop: Header=BB22_2 Depth=1
	ds_read_b32 v76, v78 offset:4
	v_mov_b32_e32 v75, v74
                                        ; implicit-def: $vgpr77
.LBB22_32:                              ;   in Loop: Header=BB22_2 Depth=1
	s_andn2_saveexec_b64 s[16:17], s[16:17]
	s_cbranch_execz .LBB22_34
; %bb.33:                               ;   in Loop: Header=BB22_2 Depth=1
	ds_read_b32 v75, v77 offset:4
	s_waitcnt lgkmcnt(1)
	v_mov_b32_e32 v76, v73
.LBB22_34:                              ;   in Loop: Header=BB22_2 Depth=1
	s_or_b64 exec, exec, s[16:17]
	v_add_u32_e32 v77, 1, v71
	v_cndmask_b32_e64 v73, v73, v74, s[14:15]
	v_add_u32_e32 v74, 1, v72
	v_cndmask_b32_e64 v71, v77, v71, s[14:15]
	v_cndmask_b32_e64 v72, v72, v74, s[14:15]
	v_cmp_ge_i32_e64 s[16:17], v71, v32
	s_waitcnt lgkmcnt(0)
	v_cmp_lt_i32_e64 s[18:19], v75, v76
	v_cmp_lt_i32_e64 s[14:15], v72, v33
	s_or_b64 s[16:17], s[16:17], s[18:19]
	s_and_b64 s[14:15], s[14:15], s[16:17]
	v_cndmask_b32_e64 v71, v76, v75, s[14:15]
	s_barrier
	ds_write2_b32 v2, v73, v71 offset1:1
	v_mov_b32_e32 v71, v40
	s_waitcnt lgkmcnt(0)
	s_barrier
	s_and_saveexec_b64 s[16:17], s[6:7]
	s_cbranch_execz .LBB22_38
; %bb.35:                               ;   in Loop: Header=BB22_2 Depth=1
	s_mov_b64 s[18:19], 0
	v_mov_b32_e32 v71, v40
	v_mov_b32_e32 v72, v41
.LBB22_36:                              ;   Parent Loop BB22_2 Depth=1
                                        ; =>  This Inner Loop Header: Depth=2
	v_sub_u32_e32 v73, v72, v71
	v_lshrrev_b32_e32 v74, 31, v73
	v_add_u32_e32 v73, v73, v74
	v_ashrrev_i32_e32 v73, 1, v73
	v_add_u32_e32 v73, v73, v71
	v_xad_u32 v75, v73, -1, v37
	v_lshl_add_u32 v74, v73, 2, v60
	v_lshl_add_u32 v75, v75, 2, v61
	ds_read_b32 v74, v74
	ds_read_b32 v75, v75
	v_add_u32_e32 v76, 1, v73
	s_waitcnt lgkmcnt(0)
	v_cmp_lt_i32_e64 s[14:15], v75, v74
	s_nop 1
	v_cndmask_b32_e64 v72, v72, v73, s[14:15]
	v_cndmask_b32_e64 v71, v76, v71, s[14:15]
	v_cmp_ge_i32_e64 s[14:15], v71, v72
	s_or_b64 s[18:19], s[14:15], s[18:19]
	s_andn2_b64 exec, exec, s[18:19]
	s_cbranch_execnz .LBB22_36
; %bb.37:                               ;   in Loop: Header=BB22_2 Depth=1
	s_or_b64 exec, exec, s[18:19]
.LBB22_38:                              ;   in Loop: Header=BB22_2 Depth=1
	s_or_b64 exec, exec, s[16:17]
	v_sub_u32_e32 v72, v62, v71
	v_lshl_add_u32 v78, v71, 2, v60
	v_lshlrev_b32_e32 v77, 2, v72
	ds_read_b32 v73, v78
	ds_read_b32 v74, v77
	v_add_u32_e32 v71, v71, v36
	v_cmp_le_i32_e64 s[16:17], v38, v71
	v_cmp_gt_i32_e64 s[14:15], v39, v72
                                        ; implicit-def: $vgpr75
                                        ; implicit-def: $vgpr76
	s_waitcnt lgkmcnt(0)
	v_cmp_lt_i32_e64 s[18:19], v74, v73
	s_or_b64 s[16:17], s[16:17], s[18:19]
	s_and_b64 s[14:15], s[14:15], s[16:17]
	s_xor_b64 s[16:17], s[14:15], -1
	s_and_saveexec_b64 s[18:19], s[16:17]
	s_xor_b64 s[16:17], exec, s[18:19]
	s_cbranch_execz .LBB22_40
; %bb.39:                               ;   in Loop: Header=BB22_2 Depth=1
	ds_read_b32 v76, v78 offset:4
	v_mov_b32_e32 v75, v74
                                        ; implicit-def: $vgpr77
.LBB22_40:                              ;   in Loop: Header=BB22_2 Depth=1
	s_andn2_saveexec_b64 s[16:17], s[16:17]
	s_cbranch_execz .LBB22_42
; %bb.41:                               ;   in Loop: Header=BB22_2 Depth=1
	ds_read_b32 v75, v77 offset:4
	s_waitcnt lgkmcnt(1)
	v_mov_b32_e32 v76, v73
.LBB22_42:                              ;   in Loop: Header=BB22_2 Depth=1
	s_or_b64 exec, exec, s[16:17]
	v_add_u32_e32 v77, 1, v71
	v_cndmask_b32_e64 v73, v73, v74, s[14:15]
	v_add_u32_e32 v74, 1, v72
	v_cndmask_b32_e64 v71, v77, v71, s[14:15]
	v_cndmask_b32_e64 v72, v72, v74, s[14:15]
	v_cmp_ge_i32_e64 s[16:17], v71, v38
	s_waitcnt lgkmcnt(0)
	v_cmp_lt_i32_e64 s[18:19], v75, v76
	v_cmp_lt_i32_e64 s[14:15], v72, v39
	s_or_b64 s[16:17], s[16:17], s[18:19]
	s_and_b64 s[14:15], s[14:15], s[16:17]
	v_cndmask_b32_e64 v71, v76, v75, s[14:15]
	s_barrier
	ds_write2_b32 v2, v73, v71 offset1:1
	v_mov_b32_e32 v71, v46
	s_waitcnt lgkmcnt(0)
	s_barrier
	s_and_saveexec_b64 s[16:17], s[8:9]
	s_cbranch_execz .LBB22_46
; %bb.43:                               ;   in Loop: Header=BB22_2 Depth=1
	s_mov_b64 s[18:19], 0
	v_mov_b32_e32 v71, v46
	v_mov_b32_e32 v72, v47
.LBB22_44:                              ;   Parent Loop BB22_2 Depth=1
                                        ; =>  This Inner Loop Header: Depth=2
	v_sub_u32_e32 v73, v72, v71
	v_lshrrev_b32_e32 v74, 31, v73
	v_add_u32_e32 v73, v73, v74
	v_ashrrev_i32_e32 v73, 1, v73
	v_add_u32_e32 v73, v73, v71
	v_xad_u32 v75, v73, -1, v43
	v_lshl_add_u32 v74, v73, 2, v63
	v_lshl_add_u32 v75, v75, 2, v64
	ds_read_b32 v74, v74
	ds_read_b32 v75, v75
	v_add_u32_e32 v76, 1, v73
	s_waitcnt lgkmcnt(0)
	v_cmp_lt_i32_e64 s[14:15], v75, v74
	s_nop 1
	v_cndmask_b32_e64 v72, v72, v73, s[14:15]
	v_cndmask_b32_e64 v71, v76, v71, s[14:15]
	v_cmp_ge_i32_e64 s[14:15], v71, v72
	s_or_b64 s[18:19], s[14:15], s[18:19]
	s_andn2_b64 exec, exec, s[18:19]
	s_cbranch_execnz .LBB22_44
; %bb.45:                               ;   in Loop: Header=BB22_2 Depth=1
	s_or_b64 exec, exec, s[18:19]
.LBB22_46:                              ;   in Loop: Header=BB22_2 Depth=1
	s_or_b64 exec, exec, s[16:17]
	v_sub_u32_e32 v72, v65, v71
	v_lshl_add_u32 v78, v71, 2, v63
	v_lshlrev_b32_e32 v77, 2, v72
	ds_read_b32 v73, v78
	ds_read_b32 v74, v77
	v_add_u32_e32 v71, v71, v42
	v_cmp_le_i32_e64 s[16:17], v44, v71
	v_cmp_gt_i32_e64 s[14:15], v45, v72
                                        ; implicit-def: $vgpr75
                                        ; implicit-def: $vgpr76
	s_waitcnt lgkmcnt(0)
	v_cmp_lt_i32_e64 s[18:19], v74, v73
	s_or_b64 s[16:17], s[16:17], s[18:19]
	s_and_b64 s[14:15], s[14:15], s[16:17]
	s_xor_b64 s[16:17], s[14:15], -1
	s_and_saveexec_b64 s[18:19], s[16:17]
	s_xor_b64 s[16:17], exec, s[18:19]
	s_cbranch_execz .LBB22_48
; %bb.47:                               ;   in Loop: Header=BB22_2 Depth=1
	ds_read_b32 v76, v78 offset:4
	v_mov_b32_e32 v75, v74
                                        ; implicit-def: $vgpr77
.LBB22_48:                              ;   in Loop: Header=BB22_2 Depth=1
	s_andn2_saveexec_b64 s[16:17], s[16:17]
	s_cbranch_execz .LBB22_50
; %bb.49:                               ;   in Loop: Header=BB22_2 Depth=1
	ds_read_b32 v75, v77 offset:4
	s_waitcnt lgkmcnt(1)
	v_mov_b32_e32 v76, v73
.LBB22_50:                              ;   in Loop: Header=BB22_2 Depth=1
	s_or_b64 exec, exec, s[16:17]
	v_add_u32_e32 v77, 1, v71
	v_cndmask_b32_e64 v73, v73, v74, s[14:15]
	v_add_u32_e32 v74, 1, v72
	v_cndmask_b32_e64 v71, v77, v71, s[14:15]
	v_cndmask_b32_e64 v72, v72, v74, s[14:15]
	v_cmp_ge_i32_e64 s[16:17], v71, v44
	s_waitcnt lgkmcnt(0)
	v_cmp_lt_i32_e64 s[18:19], v75, v76
	v_cmp_lt_i32_e64 s[14:15], v72, v45
	s_or_b64 s[16:17], s[16:17], s[18:19]
	s_and_b64 s[14:15], s[14:15], s[16:17]
	v_cndmask_b32_e64 v71, v76, v75, s[14:15]
	s_barrier
	ds_write2_b32 v2, v73, v71 offset1:1
	v_mov_b32_e32 v71, v53
	s_waitcnt lgkmcnt(0)
	s_barrier
	s_and_saveexec_b64 s[16:17], s[10:11]
	s_cbranch_execz .LBB22_54
; %bb.51:                               ;   in Loop: Header=BB22_2 Depth=1
	s_mov_b64 s[18:19], 0
	v_mov_b32_e32 v71, v53
	v_mov_b32_e32 v72, v54
.LBB22_52:                              ;   Parent Loop BB22_2 Depth=1
                                        ; =>  This Inner Loop Header: Depth=2
	v_sub_u32_e32 v73, v72, v71
	v_lshrrev_b32_e32 v74, 31, v73
	v_add_u32_e32 v73, v73, v74
	v_ashrrev_i32_e32 v73, 1, v73
	v_add_u32_e32 v73, v73, v71
	v_xad_u32 v75, v73, -1, v50
	v_lshl_add_u32 v74, v73, 2, v66
	v_lshl_add_u32 v75, v75, 2, v67
	ds_read_b32 v74, v74
	ds_read_b32 v75, v75
	v_add_u32_e32 v76, 1, v73
	s_waitcnt lgkmcnt(0)
	v_cmp_lt_i32_e64 s[14:15], v75, v74
	s_nop 1
	v_cndmask_b32_e64 v72, v72, v73, s[14:15]
	v_cndmask_b32_e64 v71, v76, v71, s[14:15]
	v_cmp_ge_i32_e64 s[14:15], v71, v72
	s_or_b64 s[18:19], s[14:15], s[18:19]
	s_andn2_b64 exec, exec, s[18:19]
	s_cbranch_execnz .LBB22_52
; %bb.53:                               ;   in Loop: Header=BB22_2 Depth=1
	s_or_b64 exec, exec, s[18:19]
.LBB22_54:                              ;   in Loop: Header=BB22_2 Depth=1
	s_or_b64 exec, exec, s[16:17]
	v_sub_u32_e32 v72, v68, v71
	v_lshl_add_u32 v78, v71, 2, v66
	v_lshlrev_b32_e32 v77, 2, v72
	ds_read_b32 v73, v78
	ds_read_b32 v74, v77
	v_add_u32_e32 v71, v71, v49
	v_cmp_le_i32_e64 s[16:17], v51, v71
	v_cmp_gt_i32_e64 s[14:15], v52, v72
                                        ; implicit-def: $vgpr75
                                        ; implicit-def: $vgpr76
	s_waitcnt lgkmcnt(0)
	v_cmp_lt_i32_e64 s[18:19], v74, v73
	s_or_b64 s[16:17], s[16:17], s[18:19]
	s_and_b64 s[14:15], s[14:15], s[16:17]
	s_xor_b64 s[16:17], s[14:15], -1
	s_and_saveexec_b64 s[18:19], s[16:17]
	s_xor_b64 s[16:17], exec, s[18:19]
	s_cbranch_execz .LBB22_56
; %bb.55:                               ;   in Loop: Header=BB22_2 Depth=1
	ds_read_b32 v76, v78 offset:4
	v_mov_b32_e32 v75, v74
                                        ; implicit-def: $vgpr77
.LBB22_56:                              ;   in Loop: Header=BB22_2 Depth=1
	s_andn2_saveexec_b64 s[16:17], s[16:17]
	s_cbranch_execz .LBB22_58
; %bb.57:                               ;   in Loop: Header=BB22_2 Depth=1
	ds_read_b32 v75, v77 offset:4
	s_waitcnt lgkmcnt(1)
	v_mov_b32_e32 v76, v73
.LBB22_58:                              ;   in Loop: Header=BB22_2 Depth=1
	s_or_b64 exec, exec, s[16:17]
	v_add_u32_e32 v77, 1, v71
	v_cndmask_b32_e64 v73, v73, v74, s[14:15]
	v_add_u32_e32 v74, 1, v72
	v_cndmask_b32_e64 v71, v77, v71, s[14:15]
	v_cndmask_b32_e64 v72, v72, v74, s[14:15]
	v_cmp_ge_i32_e64 s[16:17], v71, v51
	s_waitcnt lgkmcnt(0)
	v_cmp_lt_i32_e64 s[18:19], v75, v76
	v_cmp_lt_i32_e64 s[14:15], v72, v52
	s_or_b64 s[16:17], s[16:17], s[18:19]
	s_and_b64 s[14:15], s[14:15], s[16:17]
	v_cndmask_b32_e64 v71, v76, v75, s[14:15]
	v_mov_b32_e32 v72, v55
	s_barrier
	ds_write2_b32 v2, v73, v71 offset1:1
	s_waitcnt lgkmcnt(0)
	s_barrier
	s_and_saveexec_b64 s[16:17], s[12:13]
	s_cbranch_execz .LBB22_62
; %bb.59:                               ;   in Loop: Header=BB22_2 Depth=1
	s_mov_b64 s[18:19], 0
	v_mov_b32_e32 v72, v55
	v_mov_b32_e32 v71, v56
.LBB22_60:                              ;   Parent Loop BB22_2 Depth=1
                                        ; =>  This Inner Loop Header: Depth=2
	v_sub_u32_e32 v73, v71, v72
	v_lshrrev_b32_e32 v74, 31, v73
	v_add_u32_e32 v73, v73, v74
	v_ashrrev_i32_e32 v73, 1, v73
	v_add_u32_e32 v73, v73, v72
	v_xad_u32 v75, v73, -1, v1
	v_lshlrev_b32_e32 v74, 2, v73
	v_lshl_add_u32 v75, v75, 2, v69
	ds_read_b32 v74, v74
	ds_read_b32 v75, v75
	v_add_u32_e32 v76, 1, v73
	s_waitcnt lgkmcnt(0)
	v_cmp_lt_i32_e64 s[14:15], v75, v74
	s_nop 1
	v_cndmask_b32_e64 v71, v71, v73, s[14:15]
	v_cndmask_b32_e64 v72, v76, v72, s[14:15]
	v_cmp_ge_i32_e64 s[14:15], v72, v71
	s_or_b64 s[18:19], s[14:15], s[18:19]
	s_andn2_b64 exec, exec, s[18:19]
	s_cbranch_execnz .LBB22_60
; %bb.61:                               ;   in Loop: Header=BB22_2 Depth=1
	s_or_b64 exec, exec, s[18:19]
.LBB22_62:                              ;   in Loop: Header=BB22_2 Depth=1
	s_or_b64 exec, exec, s[16:17]
	v_sub_u32_e32 v73, v70, v72
	v_lshlrev_b32_e32 v78, 2, v72
	v_lshlrev_b32_e32 v77, 2, v73
	ds_read_b32 v71, v78
	ds_read_b32 v74, v77
	v_cmp_le_i32_e64 s[16:17], v48, v72
	v_cmp_gt_i32_e64 s[14:15], s20, v73
                                        ; implicit-def: $vgpr75
                                        ; implicit-def: $vgpr76
	s_waitcnt lgkmcnt(0)
	v_cmp_lt_i32_e64 s[18:19], v74, v71
	s_or_b64 s[16:17], s[16:17], s[18:19]
	s_and_b64 s[14:15], s[14:15], s[16:17]
	s_xor_b64 s[16:17], s[14:15], -1
	s_and_saveexec_b64 s[18:19], s[16:17]
	s_xor_b64 s[16:17], exec, s[18:19]
	s_cbranch_execz .LBB22_64
; %bb.63:                               ;   in Loop: Header=BB22_2 Depth=1
	ds_read_b32 v76, v78 offset:4
	v_add_u32_e32 v72, 1, v72
	v_mov_b32_e32 v75, v74
                                        ; implicit-def: $vgpr77
.LBB22_64:                              ;   in Loop: Header=BB22_2 Depth=1
	s_andn2_saveexec_b64 s[16:17], s[16:17]
	s_cbranch_execz .LBB22_1
; %bb.65:                               ;   in Loop: Header=BB22_2 Depth=1
	ds_read_b32 v75, v77 offset:4
	v_add_u32_e32 v73, 1, v73
	s_waitcnt lgkmcnt(1)
	v_mov_b32_e32 v76, v71
	s_branch .LBB22_1
.LBB22_66:
	s_add_u32 s0, s22, s26
	s_addc_u32 s1, s23, s27
	v_lshlrev_b32_e32 v0, 2, v0
	global_store_dword v0, v71, s[0:1]
	global_store_dword v0, v72, s[0:1] offset:1024
	s_endpgm
	.section	.rodata,"a",@progbits
	.p2align	6, 0x0
	.amdhsa_kernel _Z16sort_keys_kernelIiLj256ELj2EN10test_utils4lessELj10EEvPKT_PS2_T2_
		.amdhsa_group_segment_fixed_size 2052
		.amdhsa_private_segment_fixed_size 0
		.amdhsa_kernarg_size 20
		.amdhsa_user_sgpr_count 2
		.amdhsa_user_sgpr_dispatch_ptr 0
		.amdhsa_user_sgpr_queue_ptr 0
		.amdhsa_user_sgpr_kernarg_segment_ptr 1
		.amdhsa_user_sgpr_dispatch_id 0
		.amdhsa_user_sgpr_kernarg_preload_length 0
		.amdhsa_user_sgpr_kernarg_preload_offset 0
		.amdhsa_user_sgpr_private_segment_size 0
		.amdhsa_uses_dynamic_stack 0
		.amdhsa_enable_private_segment 0
		.amdhsa_system_sgpr_workgroup_id_x 1
		.amdhsa_system_sgpr_workgroup_id_y 0
		.amdhsa_system_sgpr_workgroup_id_z 0
		.amdhsa_system_sgpr_workgroup_info 0
		.amdhsa_system_vgpr_workitem_id 0
		.amdhsa_next_free_vgpr 79
		.amdhsa_next_free_sgpr 28
		.amdhsa_accum_offset 80
		.amdhsa_reserve_vcc 1
		.amdhsa_float_round_mode_32 0
		.amdhsa_float_round_mode_16_64 0
		.amdhsa_float_denorm_mode_32 3
		.amdhsa_float_denorm_mode_16_64 3
		.amdhsa_dx10_clamp 1
		.amdhsa_ieee_mode 1
		.amdhsa_fp16_overflow 0
		.amdhsa_tg_split 0
		.amdhsa_exception_fp_ieee_invalid_op 0
		.amdhsa_exception_fp_denorm_src 0
		.amdhsa_exception_fp_ieee_div_zero 0
		.amdhsa_exception_fp_ieee_overflow 0
		.amdhsa_exception_fp_ieee_underflow 0
		.amdhsa_exception_fp_ieee_inexact 0
		.amdhsa_exception_int_div_zero 0
	.end_amdhsa_kernel
	.section	.text._Z16sort_keys_kernelIiLj256ELj2EN10test_utils4lessELj10EEvPKT_PS2_T2_,"axG",@progbits,_Z16sort_keys_kernelIiLj256ELj2EN10test_utils4lessELj10EEvPKT_PS2_T2_,comdat
.Lfunc_end22:
	.size	_Z16sort_keys_kernelIiLj256ELj2EN10test_utils4lessELj10EEvPKT_PS2_T2_, .Lfunc_end22-_Z16sort_keys_kernelIiLj256ELj2EN10test_utils4lessELj10EEvPKT_PS2_T2_
                                        ; -- End function
	.section	.AMDGPU.csdata,"",@progbits
; Kernel info:
; codeLenInByte = 3656
; NumSgprs: 34
; NumVgprs: 79
; NumAgprs: 0
; TotalNumVgprs: 79
; ScratchSize: 0
; MemoryBound: 0
; FloatMode: 240
; IeeeMode: 1
; LDSByteSize: 2052 bytes/workgroup (compile time only)
; SGPRBlocks: 4
; VGPRBlocks: 9
; NumSGPRsForWavesPerEU: 34
; NumVGPRsForWavesPerEU: 79
; AccumOffset: 80
; Occupancy: 6
; WaveLimiterHint : 1
; COMPUTE_PGM_RSRC2:SCRATCH_EN: 0
; COMPUTE_PGM_RSRC2:USER_SGPR: 2
; COMPUTE_PGM_RSRC2:TRAP_HANDLER: 0
; COMPUTE_PGM_RSRC2:TGID_X_EN: 1
; COMPUTE_PGM_RSRC2:TGID_Y_EN: 0
; COMPUTE_PGM_RSRC2:TGID_Z_EN: 0
; COMPUTE_PGM_RSRC2:TIDIG_COMP_CNT: 0
; COMPUTE_PGM_RSRC3_GFX90A:ACCUM_OFFSET: 19
; COMPUTE_PGM_RSRC3_GFX90A:TG_SPLIT: 0
	.section	.text._Z17sort_pairs_kernelIiLj256ELj2EN10test_utils4lessELj10EEvPKT_PS2_T2_,"axG",@progbits,_Z17sort_pairs_kernelIiLj256ELj2EN10test_utils4lessELj10EEvPKT_PS2_T2_,comdat
	.protected	_Z17sort_pairs_kernelIiLj256ELj2EN10test_utils4lessELj10EEvPKT_PS2_T2_ ; -- Begin function _Z17sort_pairs_kernelIiLj256ELj2EN10test_utils4lessELj10EEvPKT_PS2_T2_
	.globl	_Z17sort_pairs_kernelIiLj256ELj2EN10test_utils4lessELj10EEvPKT_PS2_T2_
	.p2align	8
	.type	_Z17sort_pairs_kernelIiLj256ELj2EN10test_utils4lessELj10EEvPKT_PS2_T2_,@function
_Z17sort_pairs_kernelIiLj256ELj2EN10test_utils4lessELj10EEvPKT_PS2_T2_: ; @_Z17sort_pairs_kernelIiLj256ELj2EN10test_utils4lessELj10EEvPKT_PS2_T2_
; %bb.0:
	s_load_dwordx4 s[20:23], s[0:1], 0x0
	s_lshl_b32 s26, s2, 9
	s_mov_b32 s27, 0
	s_lshl_b64 s[24:25], s[26:27], 2
	v_lshlrev_b32_e32 v1, 2, v0
	s_waitcnt lgkmcnt(0)
	s_add_u32 s0, s20, s24
	s_addc_u32 s1, s21, s25
	global_load_dword v2, v1, s[0:1]
	global_load_dword v3, v1, s[0:1] offset:1024
	v_lshlrev_b32_e32 v1, 1, v0
	v_and_b32_e32 v6, 0x1fc, v1
	v_and_b32_e32 v8, 0x1f8, v1
	v_or_b32_e32 v18, 2, v6
	v_add_u32_e32 v19, 4, v6
	v_and_b32_e32 v7, 2, v1
	v_and_b32_e32 v10, 0x1f0, v1
	v_or_b32_e32 v21, 4, v8
	v_add_u32_e32 v22, 8, v8
	v_sub_u32_e32 v43, v19, v18
	v_and_b32_e32 v9, 6, v1
	v_and_b32_e32 v12, 0x1e0, v1
	v_or_b32_e32 v24, 8, v10
	v_add_u32_e32 v25, 16, v10
	v_sub_u32_e32 v4, v18, v6
	v_sub_u32_e32 v44, v22, v21
	;; [unrolled: 1-line block ×3, first 2 shown]
	v_cmp_ge_i32_e32 vcc, v7, v43
	v_and_b32_e32 v11, 14, v1
	v_and_b32_e32 v14, 0x1c0, v1
	v_or_b32_e32 v27, 16, v12
	v_add_u32_e32 v28, 32, v12
	v_sub_u32_e32 v45, v25, v24
	v_min_i32_e32 v37, v7, v4
	v_sub_u32_e32 v4, v9, v44
	v_cndmask_b32_e32 v43, 0, v49, vcc
	v_cmp_ge_i32_e32 vcc, v9, v44
	v_and_b32_e32 v13, 30, v1
	v_and_b32_e32 v16, 0x180, v1
	v_or_b32_e32 v29, 32, v14
	v_add_u32_e32 v30, 64, v14
	v_sub_u32_e32 v46, v28, v27
	v_sub_u32_e32 v50, v11, v45
	v_cndmask_b32_e32 v44, 0, v4, vcc
	v_cmp_ge_i32_e32 vcc, v11, v45
	v_and_b32_e32 v15, 62, v1
	v_or_b32_e32 v31, 64, v16
	v_add_u32_e32 v32, 0x80, v16
	v_sub_u32_e32 v47, v30, v29
	v_sub_u32_e32 v51, v13, v46
	v_cndmask_b32_e32 v45, 0, v50, vcc
	v_cmp_ge_i32_e32 vcc, v13, v46
	v_and_b32_e32 v17, 0x7e, v1
	v_sub_u32_e32 v48, v32, v31
	v_sub_u32_e32 v52, v15, v47
	v_cndmask_b32_e32 v46, 0, v51, vcc
	v_cmp_ge_i32_e32 vcc, v15, v47
	v_sub_u32_e32 v53, v17, v48
	v_and_b32_e32 v50, 0x100, v1
	v_cndmask_b32_e32 v47, 0, v52, vcc
	v_cmp_ge_i32_e32 vcc, v17, v48
	v_or_b32_e32 v52, 0x80, v50
	v_and_b32_e32 v51, 0xfe, v1
	v_cndmask_b32_e32 v48, 0, v53, vcc
	v_add_u32_e32 v53, 0x100, v50
	v_sub_u32_e32 v54, v53, v52
	v_sub_u32_e32 v38, v21, v8
	;; [unrolled: 1-line block ×6, first 2 shown]
	v_mov_b32_e32 v49, 0x100
	v_sub_u32_e32 v55, v52, v50
	v_sub_u32_e32 v56, v51, v54
	v_cmp_ge_i32_e64 s[10:11], v51, v54
	v_min_i32_e32 v38, v9, v38
	v_min_i32_e32 v39, v11, v39
	;; [unrolled: 1-line block ×5, first 2 shown]
	v_cndmask_b32_e64 v54, 0, v56, s[10:11]
	v_min_i32_e32 v55, v51, v55
	v_sub_u32_e64 v56, v1, v49 clamp
	v_min_i32_e32 v57, 0x100, v1
	v_lshlrev_b32_e32 v5, 3, v0
	v_lshlrev_b32_e32 v20, 2, v6
	;; [unrolled: 1-line block ×5, first 2 shown]
	v_add_u32_e32 v34, v18, v7
	v_lshlrev_b32_e32 v35, 2, v21
	v_add_u32_e32 v36, v21, v9
	v_cmp_lt_i32_e32 vcc, v43, v37
	v_cmp_lt_i32_e64 s[0:1], v44, v38
	v_cmp_lt_i32_e64 s[2:3], v45, v39
	v_cmp_lt_i32_e64 s[4:5], v46, v40
	v_cmp_lt_i32_e64 s[6:7], v47, v41
	v_cmp_lt_i32_e64 s[8:9], v48, v42
	s_waitcnt vmcnt(1)
	v_add_u32_e32 v4, 1, v2
	s_waitcnt vmcnt(0)
	v_add_u32_e32 v73, 1, v3
	v_cmp_lt_i32_e64 s[10:11], v54, v55
	v_cmp_lt_i32_e64 s[12:13], v56, v57
	s_movk_i32 s26, 0x200
	v_lshlrev_b32_e32 v58, 2, v24
	v_add_u32_e32 v59, v24, v11
	v_lshlrev_b32_e32 v60, 2, v12
	v_lshlrev_b32_e32 v61, 2, v27
	v_add_u32_e32 v62, v27, v13
	v_lshlrev_b32_e32 v63, 2, v14
	;; [unrolled: 3-line block ×4, first 2 shown]
	v_lshlrev_b32_e32 v70, 2, v52
	v_add_u32_e32 v71, v52, v51
	v_add_u32_e32 v72, 0x100, v1
	s_branch .LBB23_2
.LBB23_1:                               ;   in Loop: Header=BB23_2 Depth=1
	s_or_b64 exec, exec, s[16:17]
	v_cmp_ge_i32_e64 s[18:19], v77, v49
	s_waitcnt lgkmcnt(0)
	v_cmp_lt_i32_e64 s[20:21], v78, v3
	v_cmp_gt_i32_e64 s[16:17], s26, v4
	s_or_b64 s[18:19], s[18:19], s[20:21]
	s_and_b64 s[16:17], s[16:17], s[18:19]
	v_cndmask_b32_e64 v4, v77, v4, s[16:17]
	s_barrier
	ds_write2_b32 v5, v73, v74 offset1:1
	v_lshlrev_b32_e32 v2, 2, v2
	v_lshlrev_b32_e32 v73, 2, v4
	s_waitcnt lgkmcnt(0)
	s_barrier
	ds_read_b32 v4, v2
	ds_read_b32 v73, v73
	s_add_i32 s27, s27, 1
	v_cndmask_b32_e64 v3, v3, v78, s[16:17]
	s_cmp_eq_u32 s27, 10
	v_cndmask_b32_e64 v2, v75, v76, s[14:15]
	s_cbranch_scc1 .LBB23_66
.LBB23_2:                               ; =>This Loop Header: Depth=1
                                        ;     Child Loop BB23_4 Depth 2
                                        ;     Child Loop BB23_12 Depth 2
                                        ;     Child Loop BB23_20 Depth 2
                                        ;     Child Loop BB23_28 Depth 2
                                        ;     Child Loop BB23_36 Depth 2
                                        ;     Child Loop BB23_44 Depth 2
                                        ;     Child Loop BB23_52 Depth 2
                                        ;     Child Loop BB23_60 Depth 2
	v_cmp_lt_i32_e64 s[14:15], v3, v2
	s_barrier
	s_nop 0
	v_cndmask_b32_e64 v74, v3, v2, s[14:15]
	v_cndmask_b32_e64 v2, v2, v3, s[14:15]
	v_mov_b32_e32 v3, v43
	ds_write2_b32 v5, v2, v74 offset1:1
	s_waitcnt lgkmcnt(0)
	s_barrier
	s_and_saveexec_b64 s[18:19], vcc
	s_cbranch_execz .LBB23_6
; %bb.3:                                ;   in Loop: Header=BB23_2 Depth=1
	s_mov_b64 s[20:21], 0
	v_mov_b32_e32 v3, v43
	v_mov_b32_e32 v2, v37
.LBB23_4:                               ;   Parent Loop BB23_2 Depth=1
                                        ; =>  This Inner Loop Header: Depth=2
	v_sub_u32_e32 v74, v2, v3
	v_lshrrev_b32_e32 v75, 31, v74
	v_add_u32_e32 v74, v74, v75
	v_ashrrev_i32_e32 v74, 1, v74
	v_add_u32_e32 v74, v74, v3
	v_xad_u32 v76, v74, -1, v7
	v_lshl_add_u32 v75, v74, 2, v20
	v_lshl_add_u32 v76, v76, 2, v33
	ds_read_b32 v75, v75
	ds_read_b32 v76, v76
	v_add_u32_e32 v77, 1, v74
	s_waitcnt lgkmcnt(0)
	v_cmp_lt_i32_e64 s[16:17], v76, v75
	s_nop 1
	v_cndmask_b32_e64 v2, v2, v74, s[16:17]
	v_cndmask_b32_e64 v3, v77, v3, s[16:17]
	v_cmp_ge_i32_e64 s[16:17], v3, v2
	s_or_b64 s[20:21], s[16:17], s[20:21]
	s_andn2_b64 exec, exec, s[20:21]
	s_cbranch_execnz .LBB23_4
; %bb.5:                                ;   in Loop: Header=BB23_2 Depth=1
	s_or_b64 exec, exec, s[20:21]
.LBB23_6:                               ;   in Loop: Header=BB23_2 Depth=1
	s_or_b64 exec, exec, s[18:19]
	v_sub_u32_e32 v2, v34, v3
	v_lshl_add_u32 v79, v3, 2, v20
	v_lshlrev_b32_e32 v78, 2, v2
	ds_read_b32 v74, v79
	ds_read_b32 v75, v78
	v_add_u32_e32 v3, v3, v6
	v_cmp_le_i32_e64 s[18:19], v18, v3
	v_cmp_gt_i32_e64 s[16:17], v19, v2
                                        ; implicit-def: $vgpr76
                                        ; implicit-def: $vgpr77
	s_waitcnt lgkmcnt(0)
	v_cmp_lt_i32_e64 s[20:21], v75, v74
	s_or_b64 s[18:19], s[18:19], s[20:21]
	s_and_b64 s[16:17], s[16:17], s[18:19]
	s_xor_b64 s[18:19], s[16:17], -1
	s_and_saveexec_b64 s[20:21], s[18:19]
	s_xor_b64 s[18:19], exec, s[20:21]
	s_cbranch_execz .LBB23_8
; %bb.7:                                ;   in Loop: Header=BB23_2 Depth=1
	ds_read_b32 v77, v79 offset:4
	v_mov_b32_e32 v76, v75
                                        ; implicit-def: $vgpr78
.LBB23_8:                               ;   in Loop: Header=BB23_2 Depth=1
	s_andn2_saveexec_b64 s[18:19], s[18:19]
	s_cbranch_execz .LBB23_10
; %bb.9:                                ;   in Loop: Header=BB23_2 Depth=1
	ds_read_b32 v76, v78 offset:4
	s_waitcnt lgkmcnt(1)
	v_mov_b32_e32 v77, v74
.LBB23_10:                              ;   in Loop: Header=BB23_2 Depth=1
	s_or_b64 exec, exec, s[18:19]
	v_add_u32_e32 v78, 1, v3
	v_cndmask_b32_e64 v74, v74, v75, s[16:17]
	v_add_u32_e32 v75, 1, v2
	v_cndmask_b32_e64 v78, v78, v3, s[16:17]
	v_cndmask_b32_e64 v75, v2, v75, s[16:17]
	;; [unrolled: 1-line block ×3, first 2 shown]
	v_cmp_ge_i32_e64 s[16:17], v78, v18
	s_waitcnt lgkmcnt(0)
	v_cmp_lt_i32_e64 s[18:19], v76, v77
	v_cndmask_b32_e64 v3, v73, v4, s[14:15]
	v_cndmask_b32_e64 v4, v4, v73, s[14:15]
	v_cmp_lt_i32_e64 s[14:15], v75, v19
	s_or_b64 s[16:17], s[16:17], s[18:19]
	s_and_b64 s[14:15], s[14:15], s[16:17]
	v_cndmask_b32_e64 v75, v78, v75, s[14:15]
	s_barrier
	ds_write2_b32 v5, v4, v3 offset1:1
	v_lshlrev_b32_e32 v2, 2, v2
	v_lshlrev_b32_e32 v3, 2, v75
	s_waitcnt lgkmcnt(0)
	s_barrier
	ds_read_b32 v2, v2
	ds_read_b32 v3, v3
	v_cndmask_b32_e64 v73, v77, v76, s[14:15]
	s_waitcnt lgkmcnt(0)
	s_barrier
	ds_write2_b32 v5, v74, v73 offset1:1
	v_mov_b32_e32 v73, v44
	s_waitcnt lgkmcnt(0)
	s_barrier
	s_and_saveexec_b64 s[16:17], s[0:1]
	s_cbranch_execz .LBB23_14
; %bb.11:                               ;   in Loop: Header=BB23_2 Depth=1
	s_mov_b64 s[18:19], 0
	v_mov_b32_e32 v73, v44
	v_mov_b32_e32 v4, v38
.LBB23_12:                              ;   Parent Loop BB23_2 Depth=1
                                        ; =>  This Inner Loop Header: Depth=2
	v_sub_u32_e32 v74, v4, v73
	v_lshrrev_b32_e32 v75, 31, v74
	v_add_u32_e32 v74, v74, v75
	v_ashrrev_i32_e32 v74, 1, v74
	v_add_u32_e32 v74, v74, v73
	v_xad_u32 v76, v74, -1, v9
	v_lshl_add_u32 v75, v74, 2, v23
	v_lshl_add_u32 v76, v76, 2, v35
	ds_read_b32 v75, v75
	ds_read_b32 v76, v76
	v_add_u32_e32 v77, 1, v74
	s_waitcnt lgkmcnt(0)
	v_cmp_lt_i32_e64 s[14:15], v76, v75
	s_nop 1
	v_cndmask_b32_e64 v4, v4, v74, s[14:15]
	v_cndmask_b32_e64 v73, v77, v73, s[14:15]
	v_cmp_ge_i32_e64 s[14:15], v73, v4
	s_or_b64 s[18:19], s[14:15], s[18:19]
	s_andn2_b64 exec, exec, s[18:19]
	s_cbranch_execnz .LBB23_12
; %bb.13:                               ;   in Loop: Header=BB23_2 Depth=1
	s_or_b64 exec, exec, s[18:19]
.LBB23_14:                              ;   in Loop: Header=BB23_2 Depth=1
	s_or_b64 exec, exec, s[16:17]
	v_sub_u32_e32 v4, v36, v73
	v_lshl_add_u32 v79, v73, 2, v23
	v_lshlrev_b32_e32 v78, 2, v4
	ds_read_b32 v74, v79
	ds_read_b32 v75, v78
	v_add_u32_e32 v73, v73, v8
	v_cmp_le_i32_e64 s[16:17], v21, v73
	v_cmp_gt_i32_e64 s[14:15], v22, v4
                                        ; implicit-def: $vgpr76
                                        ; implicit-def: $vgpr77
	s_waitcnt lgkmcnt(0)
	v_cmp_lt_i32_e64 s[18:19], v75, v74
	s_or_b64 s[16:17], s[16:17], s[18:19]
	s_and_b64 s[14:15], s[14:15], s[16:17]
	s_xor_b64 s[16:17], s[14:15], -1
	s_and_saveexec_b64 s[18:19], s[16:17]
	s_xor_b64 s[16:17], exec, s[18:19]
	s_cbranch_execz .LBB23_16
; %bb.15:                               ;   in Loop: Header=BB23_2 Depth=1
	ds_read_b32 v77, v79 offset:4
	v_mov_b32_e32 v76, v75
                                        ; implicit-def: $vgpr78
.LBB23_16:                              ;   in Loop: Header=BB23_2 Depth=1
	s_andn2_saveexec_b64 s[16:17], s[16:17]
	s_cbranch_execz .LBB23_18
; %bb.17:                               ;   in Loop: Header=BB23_2 Depth=1
	ds_read_b32 v76, v78 offset:4
	s_waitcnt lgkmcnt(1)
	v_mov_b32_e32 v77, v74
.LBB23_18:                              ;   in Loop: Header=BB23_2 Depth=1
	s_or_b64 exec, exec, s[16:17]
	v_add_u32_e32 v78, 1, v73
	v_cndmask_b32_e64 v74, v74, v75, s[14:15]
	v_add_u32_e32 v75, 1, v4
	v_cndmask_b32_e64 v78, v78, v73, s[14:15]
	v_cndmask_b32_e64 v75, v4, v75, s[14:15]
	v_cmp_ge_i32_e64 s[16:17], v78, v21
	s_waitcnt lgkmcnt(0)
	v_cmp_lt_i32_e64 s[18:19], v76, v77
	v_cndmask_b32_e64 v4, v73, v4, s[14:15]
	v_cmp_lt_i32_e64 s[14:15], v75, v22
	s_or_b64 s[16:17], s[16:17], s[18:19]
	s_and_b64 s[14:15], s[14:15], s[16:17]
	v_cndmask_b32_e64 v75, v78, v75, s[14:15]
	s_barrier
	ds_write2_b32 v5, v2, v3 offset1:1
	v_lshlrev_b32_e32 v2, 2, v4
	v_lshlrev_b32_e32 v3, 2, v75
	s_waitcnt lgkmcnt(0)
	s_barrier
	ds_read_b32 v2, v2
	ds_read_b32 v3, v3
	v_cndmask_b32_e64 v73, v77, v76, s[14:15]
	s_waitcnt lgkmcnt(0)
	s_barrier
	ds_write2_b32 v5, v74, v73 offset1:1
	v_mov_b32_e32 v73, v45
	s_waitcnt lgkmcnt(0)
	s_barrier
	s_and_saveexec_b64 s[16:17], s[2:3]
	s_cbranch_execz .LBB23_22
; %bb.19:                               ;   in Loop: Header=BB23_2 Depth=1
	s_mov_b64 s[18:19], 0
	v_mov_b32_e32 v73, v45
	v_mov_b32_e32 v4, v39
.LBB23_20:                              ;   Parent Loop BB23_2 Depth=1
                                        ; =>  This Inner Loop Header: Depth=2
	v_sub_u32_e32 v74, v4, v73
	v_lshrrev_b32_e32 v75, 31, v74
	v_add_u32_e32 v74, v74, v75
	v_ashrrev_i32_e32 v74, 1, v74
	v_add_u32_e32 v74, v74, v73
	v_xad_u32 v76, v74, -1, v11
	v_lshl_add_u32 v75, v74, 2, v26
	v_lshl_add_u32 v76, v76, 2, v58
	ds_read_b32 v75, v75
	ds_read_b32 v76, v76
	v_add_u32_e32 v77, 1, v74
	s_waitcnt lgkmcnt(0)
	v_cmp_lt_i32_e64 s[14:15], v76, v75
	s_nop 1
	v_cndmask_b32_e64 v4, v4, v74, s[14:15]
	v_cndmask_b32_e64 v73, v77, v73, s[14:15]
	v_cmp_ge_i32_e64 s[14:15], v73, v4
	s_or_b64 s[18:19], s[14:15], s[18:19]
	s_andn2_b64 exec, exec, s[18:19]
	s_cbranch_execnz .LBB23_20
; %bb.21:                               ;   in Loop: Header=BB23_2 Depth=1
	s_or_b64 exec, exec, s[18:19]
.LBB23_22:                              ;   in Loop: Header=BB23_2 Depth=1
	s_or_b64 exec, exec, s[16:17]
	v_sub_u32_e32 v4, v59, v73
	v_lshl_add_u32 v79, v73, 2, v26
	v_lshlrev_b32_e32 v78, 2, v4
	ds_read_b32 v74, v79
	ds_read_b32 v75, v78
	v_add_u32_e32 v73, v73, v10
	v_cmp_le_i32_e64 s[16:17], v24, v73
	v_cmp_gt_i32_e64 s[14:15], v25, v4
                                        ; implicit-def: $vgpr76
                                        ; implicit-def: $vgpr77
	s_waitcnt lgkmcnt(0)
	v_cmp_lt_i32_e64 s[18:19], v75, v74
	s_or_b64 s[16:17], s[16:17], s[18:19]
	s_and_b64 s[14:15], s[14:15], s[16:17]
	s_xor_b64 s[16:17], s[14:15], -1
	s_and_saveexec_b64 s[18:19], s[16:17]
	s_xor_b64 s[16:17], exec, s[18:19]
	s_cbranch_execz .LBB23_24
; %bb.23:                               ;   in Loop: Header=BB23_2 Depth=1
	ds_read_b32 v77, v79 offset:4
	v_mov_b32_e32 v76, v75
                                        ; implicit-def: $vgpr78
.LBB23_24:                              ;   in Loop: Header=BB23_2 Depth=1
	s_andn2_saveexec_b64 s[16:17], s[16:17]
	s_cbranch_execz .LBB23_26
; %bb.25:                               ;   in Loop: Header=BB23_2 Depth=1
	ds_read_b32 v76, v78 offset:4
	s_waitcnt lgkmcnt(1)
	v_mov_b32_e32 v77, v74
.LBB23_26:                              ;   in Loop: Header=BB23_2 Depth=1
	s_or_b64 exec, exec, s[16:17]
	v_add_u32_e32 v78, 1, v73
	v_cndmask_b32_e64 v74, v74, v75, s[14:15]
	v_add_u32_e32 v75, 1, v4
	v_cndmask_b32_e64 v78, v78, v73, s[14:15]
	v_cndmask_b32_e64 v75, v4, v75, s[14:15]
	v_cmp_ge_i32_e64 s[16:17], v78, v24
	s_waitcnt lgkmcnt(0)
	v_cmp_lt_i32_e64 s[18:19], v76, v77
	v_cndmask_b32_e64 v4, v73, v4, s[14:15]
	v_cmp_lt_i32_e64 s[14:15], v75, v25
	s_or_b64 s[16:17], s[16:17], s[18:19]
	s_and_b64 s[14:15], s[14:15], s[16:17]
	v_cndmask_b32_e64 v75, v78, v75, s[14:15]
	s_barrier
	ds_write2_b32 v5, v2, v3 offset1:1
	v_lshlrev_b32_e32 v2, 2, v4
	v_lshlrev_b32_e32 v3, 2, v75
	s_waitcnt lgkmcnt(0)
	s_barrier
	ds_read_b32 v2, v2
	ds_read_b32 v3, v3
	v_cndmask_b32_e64 v73, v77, v76, s[14:15]
	s_waitcnt lgkmcnt(0)
	s_barrier
	ds_write2_b32 v5, v74, v73 offset1:1
	v_mov_b32_e32 v73, v46
	s_waitcnt lgkmcnt(0)
	s_barrier
	s_and_saveexec_b64 s[16:17], s[4:5]
	s_cbranch_execz .LBB23_30
; %bb.27:                               ;   in Loop: Header=BB23_2 Depth=1
	s_mov_b64 s[18:19], 0
	v_mov_b32_e32 v73, v46
	v_mov_b32_e32 v4, v40
.LBB23_28:                              ;   Parent Loop BB23_2 Depth=1
                                        ; =>  This Inner Loop Header: Depth=2
	v_sub_u32_e32 v74, v4, v73
	v_lshrrev_b32_e32 v75, 31, v74
	v_add_u32_e32 v74, v74, v75
	v_ashrrev_i32_e32 v74, 1, v74
	v_add_u32_e32 v74, v74, v73
	v_xad_u32 v76, v74, -1, v13
	v_lshl_add_u32 v75, v74, 2, v60
	v_lshl_add_u32 v76, v76, 2, v61
	ds_read_b32 v75, v75
	ds_read_b32 v76, v76
	v_add_u32_e32 v77, 1, v74
	s_waitcnt lgkmcnt(0)
	v_cmp_lt_i32_e64 s[14:15], v76, v75
	s_nop 1
	v_cndmask_b32_e64 v4, v4, v74, s[14:15]
	v_cndmask_b32_e64 v73, v77, v73, s[14:15]
	v_cmp_ge_i32_e64 s[14:15], v73, v4
	s_or_b64 s[18:19], s[14:15], s[18:19]
	s_andn2_b64 exec, exec, s[18:19]
	s_cbranch_execnz .LBB23_28
; %bb.29:                               ;   in Loop: Header=BB23_2 Depth=1
	s_or_b64 exec, exec, s[18:19]
.LBB23_30:                              ;   in Loop: Header=BB23_2 Depth=1
	s_or_b64 exec, exec, s[16:17]
	v_sub_u32_e32 v4, v62, v73
	v_lshl_add_u32 v79, v73, 2, v60
	v_lshlrev_b32_e32 v78, 2, v4
	ds_read_b32 v74, v79
	ds_read_b32 v75, v78
	v_add_u32_e32 v73, v73, v12
	v_cmp_le_i32_e64 s[16:17], v27, v73
	v_cmp_gt_i32_e64 s[14:15], v28, v4
                                        ; implicit-def: $vgpr76
                                        ; implicit-def: $vgpr77
	s_waitcnt lgkmcnt(0)
	v_cmp_lt_i32_e64 s[18:19], v75, v74
	s_or_b64 s[16:17], s[16:17], s[18:19]
	s_and_b64 s[14:15], s[14:15], s[16:17]
	s_xor_b64 s[16:17], s[14:15], -1
	s_and_saveexec_b64 s[18:19], s[16:17]
	s_xor_b64 s[16:17], exec, s[18:19]
	s_cbranch_execz .LBB23_32
; %bb.31:                               ;   in Loop: Header=BB23_2 Depth=1
	ds_read_b32 v77, v79 offset:4
	v_mov_b32_e32 v76, v75
                                        ; implicit-def: $vgpr78
.LBB23_32:                              ;   in Loop: Header=BB23_2 Depth=1
	s_andn2_saveexec_b64 s[16:17], s[16:17]
	s_cbranch_execz .LBB23_34
; %bb.33:                               ;   in Loop: Header=BB23_2 Depth=1
	ds_read_b32 v76, v78 offset:4
	s_waitcnt lgkmcnt(1)
	v_mov_b32_e32 v77, v74
.LBB23_34:                              ;   in Loop: Header=BB23_2 Depth=1
	s_or_b64 exec, exec, s[16:17]
	v_add_u32_e32 v78, 1, v73
	v_cndmask_b32_e64 v74, v74, v75, s[14:15]
	v_add_u32_e32 v75, 1, v4
	v_cndmask_b32_e64 v78, v78, v73, s[14:15]
	v_cndmask_b32_e64 v75, v4, v75, s[14:15]
	v_cmp_ge_i32_e64 s[16:17], v78, v27
	s_waitcnt lgkmcnt(0)
	v_cmp_lt_i32_e64 s[18:19], v76, v77
	v_cndmask_b32_e64 v4, v73, v4, s[14:15]
	v_cmp_lt_i32_e64 s[14:15], v75, v28
	s_or_b64 s[16:17], s[16:17], s[18:19]
	s_and_b64 s[14:15], s[14:15], s[16:17]
	v_cndmask_b32_e64 v75, v78, v75, s[14:15]
	s_barrier
	ds_write2_b32 v5, v2, v3 offset1:1
	v_lshlrev_b32_e32 v2, 2, v4
	v_lshlrev_b32_e32 v3, 2, v75
	s_waitcnt lgkmcnt(0)
	s_barrier
	ds_read_b32 v2, v2
	ds_read_b32 v3, v3
	v_cndmask_b32_e64 v73, v77, v76, s[14:15]
	s_waitcnt lgkmcnt(0)
	s_barrier
	ds_write2_b32 v5, v74, v73 offset1:1
	v_mov_b32_e32 v73, v47
	s_waitcnt lgkmcnt(0)
	s_barrier
	s_and_saveexec_b64 s[16:17], s[6:7]
	s_cbranch_execz .LBB23_38
; %bb.35:                               ;   in Loop: Header=BB23_2 Depth=1
	s_mov_b64 s[18:19], 0
	v_mov_b32_e32 v73, v47
	v_mov_b32_e32 v4, v41
.LBB23_36:                              ;   Parent Loop BB23_2 Depth=1
                                        ; =>  This Inner Loop Header: Depth=2
	v_sub_u32_e32 v74, v4, v73
	v_lshrrev_b32_e32 v75, 31, v74
	v_add_u32_e32 v74, v74, v75
	v_ashrrev_i32_e32 v74, 1, v74
	v_add_u32_e32 v74, v74, v73
	v_xad_u32 v76, v74, -1, v15
	v_lshl_add_u32 v75, v74, 2, v63
	v_lshl_add_u32 v76, v76, 2, v64
	ds_read_b32 v75, v75
	ds_read_b32 v76, v76
	v_add_u32_e32 v77, 1, v74
	s_waitcnt lgkmcnt(0)
	v_cmp_lt_i32_e64 s[14:15], v76, v75
	s_nop 1
	v_cndmask_b32_e64 v4, v4, v74, s[14:15]
	v_cndmask_b32_e64 v73, v77, v73, s[14:15]
	v_cmp_ge_i32_e64 s[14:15], v73, v4
	s_or_b64 s[18:19], s[14:15], s[18:19]
	s_andn2_b64 exec, exec, s[18:19]
	s_cbranch_execnz .LBB23_36
; %bb.37:                               ;   in Loop: Header=BB23_2 Depth=1
	s_or_b64 exec, exec, s[18:19]
.LBB23_38:                              ;   in Loop: Header=BB23_2 Depth=1
	s_or_b64 exec, exec, s[16:17]
	v_sub_u32_e32 v4, v65, v73
	v_lshl_add_u32 v79, v73, 2, v63
	v_lshlrev_b32_e32 v78, 2, v4
	ds_read_b32 v74, v79
	ds_read_b32 v75, v78
	v_add_u32_e32 v73, v73, v14
	v_cmp_le_i32_e64 s[16:17], v29, v73
	v_cmp_gt_i32_e64 s[14:15], v30, v4
                                        ; implicit-def: $vgpr76
                                        ; implicit-def: $vgpr77
	s_waitcnt lgkmcnt(0)
	v_cmp_lt_i32_e64 s[18:19], v75, v74
	s_or_b64 s[16:17], s[16:17], s[18:19]
	s_and_b64 s[14:15], s[14:15], s[16:17]
	s_xor_b64 s[16:17], s[14:15], -1
	s_and_saveexec_b64 s[18:19], s[16:17]
	s_xor_b64 s[16:17], exec, s[18:19]
	s_cbranch_execz .LBB23_40
; %bb.39:                               ;   in Loop: Header=BB23_2 Depth=1
	ds_read_b32 v77, v79 offset:4
	v_mov_b32_e32 v76, v75
                                        ; implicit-def: $vgpr78
.LBB23_40:                              ;   in Loop: Header=BB23_2 Depth=1
	s_andn2_saveexec_b64 s[16:17], s[16:17]
	s_cbranch_execz .LBB23_42
; %bb.41:                               ;   in Loop: Header=BB23_2 Depth=1
	ds_read_b32 v76, v78 offset:4
	s_waitcnt lgkmcnt(1)
	v_mov_b32_e32 v77, v74
.LBB23_42:                              ;   in Loop: Header=BB23_2 Depth=1
	s_or_b64 exec, exec, s[16:17]
	v_add_u32_e32 v78, 1, v73
	v_cndmask_b32_e64 v74, v74, v75, s[14:15]
	v_add_u32_e32 v75, 1, v4
	v_cndmask_b32_e64 v78, v78, v73, s[14:15]
	v_cndmask_b32_e64 v75, v4, v75, s[14:15]
	v_cmp_ge_i32_e64 s[16:17], v78, v29
	s_waitcnt lgkmcnt(0)
	v_cmp_lt_i32_e64 s[18:19], v76, v77
	v_cndmask_b32_e64 v4, v73, v4, s[14:15]
	v_cmp_lt_i32_e64 s[14:15], v75, v30
	s_or_b64 s[16:17], s[16:17], s[18:19]
	s_and_b64 s[14:15], s[14:15], s[16:17]
	v_cndmask_b32_e64 v75, v78, v75, s[14:15]
	s_barrier
	ds_write2_b32 v5, v2, v3 offset1:1
	v_lshlrev_b32_e32 v2, 2, v4
	v_lshlrev_b32_e32 v3, 2, v75
	s_waitcnt lgkmcnt(0)
	s_barrier
	ds_read_b32 v2, v2
	ds_read_b32 v3, v3
	v_cndmask_b32_e64 v73, v77, v76, s[14:15]
	s_waitcnt lgkmcnt(0)
	s_barrier
	ds_write2_b32 v5, v74, v73 offset1:1
	v_mov_b32_e32 v73, v48
	s_waitcnt lgkmcnt(0)
	s_barrier
	s_and_saveexec_b64 s[16:17], s[8:9]
	s_cbranch_execz .LBB23_46
; %bb.43:                               ;   in Loop: Header=BB23_2 Depth=1
	s_mov_b64 s[18:19], 0
	v_mov_b32_e32 v73, v48
	v_mov_b32_e32 v4, v42
.LBB23_44:                              ;   Parent Loop BB23_2 Depth=1
                                        ; =>  This Inner Loop Header: Depth=2
	v_sub_u32_e32 v74, v4, v73
	v_lshrrev_b32_e32 v75, 31, v74
	v_add_u32_e32 v74, v74, v75
	v_ashrrev_i32_e32 v74, 1, v74
	v_add_u32_e32 v74, v74, v73
	v_xad_u32 v76, v74, -1, v17
	v_lshl_add_u32 v75, v74, 2, v66
	v_lshl_add_u32 v76, v76, 2, v67
	ds_read_b32 v75, v75
	ds_read_b32 v76, v76
	v_add_u32_e32 v77, 1, v74
	s_waitcnt lgkmcnt(0)
	v_cmp_lt_i32_e64 s[14:15], v76, v75
	s_nop 1
	v_cndmask_b32_e64 v4, v4, v74, s[14:15]
	v_cndmask_b32_e64 v73, v77, v73, s[14:15]
	v_cmp_ge_i32_e64 s[14:15], v73, v4
	s_or_b64 s[18:19], s[14:15], s[18:19]
	s_andn2_b64 exec, exec, s[18:19]
	s_cbranch_execnz .LBB23_44
; %bb.45:                               ;   in Loop: Header=BB23_2 Depth=1
	s_or_b64 exec, exec, s[18:19]
.LBB23_46:                              ;   in Loop: Header=BB23_2 Depth=1
	s_or_b64 exec, exec, s[16:17]
	v_sub_u32_e32 v4, v68, v73
	v_lshl_add_u32 v79, v73, 2, v66
	v_lshlrev_b32_e32 v78, 2, v4
	ds_read_b32 v74, v79
	ds_read_b32 v75, v78
	v_add_u32_e32 v73, v73, v16
	v_cmp_le_i32_e64 s[16:17], v31, v73
	v_cmp_gt_i32_e64 s[14:15], v32, v4
                                        ; implicit-def: $vgpr76
                                        ; implicit-def: $vgpr77
	s_waitcnt lgkmcnt(0)
	v_cmp_lt_i32_e64 s[18:19], v75, v74
	s_or_b64 s[16:17], s[16:17], s[18:19]
	s_and_b64 s[14:15], s[14:15], s[16:17]
	s_xor_b64 s[16:17], s[14:15], -1
	s_and_saveexec_b64 s[18:19], s[16:17]
	s_xor_b64 s[16:17], exec, s[18:19]
	s_cbranch_execz .LBB23_48
; %bb.47:                               ;   in Loop: Header=BB23_2 Depth=1
	ds_read_b32 v77, v79 offset:4
	v_mov_b32_e32 v76, v75
                                        ; implicit-def: $vgpr78
.LBB23_48:                              ;   in Loop: Header=BB23_2 Depth=1
	s_andn2_saveexec_b64 s[16:17], s[16:17]
	s_cbranch_execz .LBB23_50
; %bb.49:                               ;   in Loop: Header=BB23_2 Depth=1
	ds_read_b32 v76, v78 offset:4
	s_waitcnt lgkmcnt(1)
	v_mov_b32_e32 v77, v74
.LBB23_50:                              ;   in Loop: Header=BB23_2 Depth=1
	s_or_b64 exec, exec, s[16:17]
	v_add_u32_e32 v78, 1, v73
	v_cndmask_b32_e64 v74, v74, v75, s[14:15]
	v_add_u32_e32 v75, 1, v4
	v_cndmask_b32_e64 v78, v78, v73, s[14:15]
	v_cndmask_b32_e64 v75, v4, v75, s[14:15]
	v_cmp_ge_i32_e64 s[16:17], v78, v31
	s_waitcnt lgkmcnt(0)
	v_cmp_lt_i32_e64 s[18:19], v76, v77
	v_cndmask_b32_e64 v4, v73, v4, s[14:15]
	v_cmp_lt_i32_e64 s[14:15], v75, v32
	s_or_b64 s[16:17], s[16:17], s[18:19]
	s_and_b64 s[14:15], s[14:15], s[16:17]
	v_cndmask_b32_e64 v75, v78, v75, s[14:15]
	s_barrier
	ds_write2_b32 v5, v2, v3 offset1:1
	v_lshlrev_b32_e32 v2, 2, v4
	v_lshlrev_b32_e32 v3, 2, v75
	s_waitcnt lgkmcnt(0)
	s_barrier
	ds_read_b32 v2, v2
	ds_read_b32 v3, v3
	v_cndmask_b32_e64 v73, v77, v76, s[14:15]
	s_waitcnt lgkmcnt(0)
	s_barrier
	ds_write2_b32 v5, v74, v73 offset1:1
	v_mov_b32_e32 v73, v54
	s_waitcnt lgkmcnt(0)
	s_barrier
	s_and_saveexec_b64 s[16:17], s[10:11]
	s_cbranch_execz .LBB23_54
; %bb.51:                               ;   in Loop: Header=BB23_2 Depth=1
	s_mov_b64 s[18:19], 0
	v_mov_b32_e32 v73, v54
	v_mov_b32_e32 v4, v55
.LBB23_52:                              ;   Parent Loop BB23_2 Depth=1
                                        ; =>  This Inner Loop Header: Depth=2
	v_sub_u32_e32 v74, v4, v73
	v_lshrrev_b32_e32 v75, 31, v74
	v_add_u32_e32 v74, v74, v75
	v_ashrrev_i32_e32 v74, 1, v74
	v_add_u32_e32 v74, v74, v73
	v_xad_u32 v76, v74, -1, v51
	v_lshl_add_u32 v75, v74, 2, v69
	v_lshl_add_u32 v76, v76, 2, v70
	ds_read_b32 v75, v75
	ds_read_b32 v76, v76
	v_add_u32_e32 v77, 1, v74
	s_waitcnt lgkmcnt(0)
	v_cmp_lt_i32_e64 s[14:15], v76, v75
	s_nop 1
	v_cndmask_b32_e64 v4, v4, v74, s[14:15]
	v_cndmask_b32_e64 v73, v77, v73, s[14:15]
	v_cmp_ge_i32_e64 s[14:15], v73, v4
	s_or_b64 s[18:19], s[14:15], s[18:19]
	s_andn2_b64 exec, exec, s[18:19]
	s_cbranch_execnz .LBB23_52
; %bb.53:                               ;   in Loop: Header=BB23_2 Depth=1
	s_or_b64 exec, exec, s[18:19]
.LBB23_54:                              ;   in Loop: Header=BB23_2 Depth=1
	s_or_b64 exec, exec, s[16:17]
	v_sub_u32_e32 v4, v71, v73
	v_lshl_add_u32 v79, v73, 2, v69
	v_lshlrev_b32_e32 v78, 2, v4
	ds_read_b32 v74, v79
	ds_read_b32 v75, v78
	v_add_u32_e32 v73, v73, v50
	v_cmp_le_i32_e64 s[16:17], v52, v73
	v_cmp_gt_i32_e64 s[14:15], v53, v4
                                        ; implicit-def: $vgpr76
                                        ; implicit-def: $vgpr77
	s_waitcnt lgkmcnt(0)
	v_cmp_lt_i32_e64 s[18:19], v75, v74
	s_or_b64 s[16:17], s[16:17], s[18:19]
	s_and_b64 s[14:15], s[14:15], s[16:17]
	s_xor_b64 s[16:17], s[14:15], -1
	s_and_saveexec_b64 s[18:19], s[16:17]
	s_xor_b64 s[16:17], exec, s[18:19]
	s_cbranch_execz .LBB23_56
; %bb.55:                               ;   in Loop: Header=BB23_2 Depth=1
	ds_read_b32 v77, v79 offset:4
	v_mov_b32_e32 v76, v75
                                        ; implicit-def: $vgpr78
.LBB23_56:                              ;   in Loop: Header=BB23_2 Depth=1
	s_andn2_saveexec_b64 s[16:17], s[16:17]
	s_cbranch_execz .LBB23_58
; %bb.57:                               ;   in Loop: Header=BB23_2 Depth=1
	ds_read_b32 v76, v78 offset:4
	s_waitcnt lgkmcnt(1)
	v_mov_b32_e32 v77, v74
.LBB23_58:                              ;   in Loop: Header=BB23_2 Depth=1
	s_or_b64 exec, exec, s[16:17]
	v_add_u32_e32 v78, 1, v73
	v_cndmask_b32_e64 v75, v74, v75, s[14:15]
	v_add_u32_e32 v74, 1, v4
	v_cndmask_b32_e64 v78, v78, v73, s[14:15]
	v_cndmask_b32_e64 v74, v4, v74, s[14:15]
	v_cmp_ge_i32_e64 s[16:17], v78, v52
	s_waitcnt lgkmcnt(0)
	v_cmp_lt_i32_e64 s[18:19], v76, v77
	v_cndmask_b32_e64 v4, v73, v4, s[14:15]
	v_cmp_lt_i32_e64 s[14:15], v74, v53
	s_or_b64 s[16:17], s[16:17], s[18:19]
	s_and_b64 s[14:15], s[14:15], s[16:17]
	v_cndmask_b32_e64 v73, v78, v74, s[14:15]
	s_barrier
	ds_write2_b32 v5, v2, v3 offset1:1
	v_lshlrev_b32_e32 v2, 2, v4
	s_waitcnt lgkmcnt(0)
	s_barrier
	v_lshlrev_b32_e32 v3, 2, v73
	ds_read_b32 v73, v2
	ds_read_b32 v74, v3
	v_cndmask_b32_e64 v76, v77, v76, s[14:15]
	v_mov_b32_e32 v2, v56
	s_waitcnt lgkmcnt(0)
	s_barrier
	ds_write2_b32 v5, v75, v76 offset1:1
	s_waitcnt lgkmcnt(0)
	s_barrier
	s_and_saveexec_b64 s[16:17], s[12:13]
	s_cbranch_execz .LBB23_62
; %bb.59:                               ;   in Loop: Header=BB23_2 Depth=1
	s_mov_b64 s[18:19], 0
	v_mov_b32_e32 v2, v56
	v_mov_b32_e32 v3, v57
.LBB23_60:                              ;   Parent Loop BB23_2 Depth=1
                                        ; =>  This Inner Loop Header: Depth=2
	v_sub_u32_e32 v4, v3, v2
	v_lshrrev_b32_e32 v75, 31, v4
	v_add_u32_e32 v4, v4, v75
	v_ashrrev_i32_e32 v4, 1, v4
	v_add_u32_e32 v4, v4, v2
	v_xad_u32 v76, v4, -1, v1
	v_mov_b32_e32 v77, 0x400
	v_lshlrev_b32_e32 v75, 2, v4
	v_lshl_add_u32 v76, v76, 2, v77
	ds_read_b32 v75, v75
	ds_read_b32 v76, v76
	v_add_u32_e32 v77, 1, v4
	s_waitcnt lgkmcnt(0)
	v_cmp_lt_i32_e64 s[14:15], v76, v75
	s_nop 1
	v_cndmask_b32_e64 v3, v3, v4, s[14:15]
	v_cndmask_b32_e64 v2, v77, v2, s[14:15]
	v_cmp_ge_i32_e64 s[14:15], v2, v3
	s_or_b64 s[18:19], s[14:15], s[18:19]
	s_andn2_b64 exec, exec, s[18:19]
	s_cbranch_execnz .LBB23_60
; %bb.61:                               ;   in Loop: Header=BB23_2 Depth=1
	s_or_b64 exec, exec, s[18:19]
.LBB23_62:                              ;   in Loop: Header=BB23_2 Depth=1
	s_or_b64 exec, exec, s[16:17]
	v_sub_u32_e32 v4, v72, v2
	v_lshlrev_b32_e32 v80, 2, v2
	v_lshlrev_b32_e32 v79, 2, v4
	ds_read_b32 v75, v80
	ds_read_b32 v76, v79
	v_cmp_le_i32_e64 s[16:17], v49, v2
	v_cmp_gt_i32_e64 s[14:15], s26, v4
                                        ; implicit-def: $vgpr78
                                        ; implicit-def: $vgpr3
                                        ; implicit-def: $vgpr77
	s_waitcnt lgkmcnt(0)
	v_cmp_lt_i32_e64 s[18:19], v76, v75
	s_or_b64 s[16:17], s[16:17], s[18:19]
	s_and_b64 s[14:15], s[14:15], s[16:17]
	s_xor_b64 s[16:17], s[14:15], -1
	s_and_saveexec_b64 s[18:19], s[16:17]
	s_xor_b64 s[16:17], exec, s[18:19]
	s_cbranch_execz .LBB23_64
; %bb.63:                               ;   in Loop: Header=BB23_2 Depth=1
	ds_read_b32 v3, v80 offset:4
	v_add_u32_e32 v77, 1, v2
	v_mov_b32_e32 v78, v76
                                        ; implicit-def: $vgpr79
.LBB23_64:                              ;   in Loop: Header=BB23_2 Depth=1
	s_andn2_saveexec_b64 s[16:17], s[16:17]
	s_cbranch_execz .LBB23_1
; %bb.65:                               ;   in Loop: Header=BB23_2 Depth=1
	ds_read_b32 v78, v79 offset:4
	v_mov_b32_e32 v77, v2
	v_add_u32_e32 v79, 1, v4
	s_waitcnt lgkmcnt(1)
	v_mov_b64_e32 v[2:3], v[4:5]
	v_mov_b32_e32 v4, v79
	v_mov_b32_e32 v3, v75
	s_branch .LBB23_1
.LBB23_66:
	s_add_u32 s0, s22, s24
	s_waitcnt lgkmcnt(1)
	v_add_u32_e32 v1, v2, v4
	s_addc_u32 s1, s23, s25
	v_lshlrev_b32_e32 v0, 2, v0
	s_waitcnt lgkmcnt(0)
	v_add_u32_e32 v2, v3, v73
	global_store_dword v0, v1, s[0:1]
	global_store_dword v0, v2, s[0:1] offset:1024
	s_endpgm
	.section	.rodata,"a",@progbits
	.p2align	6, 0x0
	.amdhsa_kernel _Z17sort_pairs_kernelIiLj256ELj2EN10test_utils4lessELj10EEvPKT_PS2_T2_
		.amdhsa_group_segment_fixed_size 2052
		.amdhsa_private_segment_fixed_size 0
		.amdhsa_kernarg_size 20
		.amdhsa_user_sgpr_count 2
		.amdhsa_user_sgpr_dispatch_ptr 0
		.amdhsa_user_sgpr_queue_ptr 0
		.amdhsa_user_sgpr_kernarg_segment_ptr 1
		.amdhsa_user_sgpr_dispatch_id 0
		.amdhsa_user_sgpr_kernarg_preload_length 0
		.amdhsa_user_sgpr_kernarg_preload_offset 0
		.amdhsa_user_sgpr_private_segment_size 0
		.amdhsa_uses_dynamic_stack 0
		.amdhsa_enable_private_segment 0
		.amdhsa_system_sgpr_workgroup_id_x 1
		.amdhsa_system_sgpr_workgroup_id_y 0
		.amdhsa_system_sgpr_workgroup_id_z 0
		.amdhsa_system_sgpr_workgroup_info 0
		.amdhsa_system_vgpr_workitem_id 0
		.amdhsa_next_free_vgpr 81
		.amdhsa_next_free_sgpr 28
		.amdhsa_accum_offset 84
		.amdhsa_reserve_vcc 1
		.amdhsa_float_round_mode_32 0
		.amdhsa_float_round_mode_16_64 0
		.amdhsa_float_denorm_mode_32 3
		.amdhsa_float_denorm_mode_16_64 3
		.amdhsa_dx10_clamp 1
		.amdhsa_ieee_mode 1
		.amdhsa_fp16_overflow 0
		.amdhsa_tg_split 0
		.amdhsa_exception_fp_ieee_invalid_op 0
		.amdhsa_exception_fp_denorm_src 0
		.amdhsa_exception_fp_ieee_div_zero 0
		.amdhsa_exception_fp_ieee_overflow 0
		.amdhsa_exception_fp_ieee_underflow 0
		.amdhsa_exception_fp_ieee_inexact 0
		.amdhsa_exception_int_div_zero 0
	.end_amdhsa_kernel
	.section	.text._Z17sort_pairs_kernelIiLj256ELj2EN10test_utils4lessELj10EEvPKT_PS2_T2_,"axG",@progbits,_Z17sort_pairs_kernelIiLj256ELj2EN10test_utils4lessELj10EEvPKT_PS2_T2_,comdat
.Lfunc_end23:
	.size	_Z17sort_pairs_kernelIiLj256ELj2EN10test_utils4lessELj10EEvPKT_PS2_T2_, .Lfunc_end23-_Z17sort_pairs_kernelIiLj256ELj2EN10test_utils4lessELj10EEvPKT_PS2_T2_
                                        ; -- End function
	.section	.AMDGPU.csdata,"",@progbits
; Kernel info:
; codeLenInByte = 4172
; NumSgprs: 34
; NumVgprs: 81
; NumAgprs: 0
; TotalNumVgprs: 81
; ScratchSize: 0
; MemoryBound: 0
; FloatMode: 240
; IeeeMode: 1
; LDSByteSize: 2052 bytes/workgroup (compile time only)
; SGPRBlocks: 4
; VGPRBlocks: 10
; NumSGPRsForWavesPerEU: 34
; NumVGPRsForWavesPerEU: 81
; AccumOffset: 84
; Occupancy: 5
; WaveLimiterHint : 1
; COMPUTE_PGM_RSRC2:SCRATCH_EN: 0
; COMPUTE_PGM_RSRC2:USER_SGPR: 2
; COMPUTE_PGM_RSRC2:TRAP_HANDLER: 0
; COMPUTE_PGM_RSRC2:TGID_X_EN: 1
; COMPUTE_PGM_RSRC2:TGID_Y_EN: 0
; COMPUTE_PGM_RSRC2:TGID_Z_EN: 0
; COMPUTE_PGM_RSRC2:TIDIG_COMP_CNT: 0
; COMPUTE_PGM_RSRC3_GFX90A:ACCUM_OFFSET: 20
; COMPUTE_PGM_RSRC3_GFX90A:TG_SPLIT: 0
	.section	.text._Z16sort_keys_kernelIiLj256ELj3EN10test_utils4lessELj10EEvPKT_PS2_T2_,"axG",@progbits,_Z16sort_keys_kernelIiLj256ELj3EN10test_utils4lessELj10EEvPKT_PS2_T2_,comdat
	.protected	_Z16sort_keys_kernelIiLj256ELj3EN10test_utils4lessELj10EEvPKT_PS2_T2_ ; -- Begin function _Z16sort_keys_kernelIiLj256ELj3EN10test_utils4lessELj10EEvPKT_PS2_T2_
	.globl	_Z16sort_keys_kernelIiLj256ELj3EN10test_utils4lessELj10EEvPKT_PS2_T2_
	.p2align	8
	.type	_Z16sort_keys_kernelIiLj256ELj3EN10test_utils4lessELj10EEvPKT_PS2_T2_,@function
_Z16sort_keys_kernelIiLj256ELj3EN10test_utils4lessELj10EEvPKT_PS2_T2_: ; @_Z16sort_keys_kernelIiLj256ELj3EN10test_utils4lessELj10EEvPKT_PS2_T2_
; %bb.0:
	s_load_dwordx4 s[20:23], s[0:1], 0x0
	s_mul_i32 s24, s2, 0x300
	s_mov_b32 s25, 0
	s_lshl_b64 s[26:27], s[24:25], 2
	v_lshlrev_b32_e32 v1, 2, v0
	s_waitcnt lgkmcnt(0)
	s_add_u32 s0, s20, s26
	s_addc_u32 s1, s21, s27
	global_load_dword v70, v1, s[0:1]
	global_load_dword v71, v1, s[0:1] offset:1024
	global_load_dword v72, v1, s[0:1] offset:2048
	v_and_b32_e32 v1, 0xfe, v0
	v_mul_u32_u24_e32 v4, 3, v1
	v_and_b32_e32 v1, 1, v0
	v_min_u32_e32 v2, 0x300, v4
	v_min_u32_e32 v56, 0x2fd, v4
	;; [unrolled: 1-line block ×3, first 2 shown]
	v_cmp_eq_u32_e32 vcc, 1, v1
	v_add_u32_e32 v3, 3, v56
	v_add_u32_e32 v4, 6, v4
	v_cndmask_b32_e64 v1, 0, 3, vcc
	v_sub_u32_e32 v5, v4, v3
	v_sub_u32_e32 v7, v1, v5
	v_cmp_ge_i32_e32 vcc, v1, v5
	v_and_b32_e32 v13, 3, v0
	v_and_b32_e32 v20, 7, v0
	v_cndmask_b32_e32 v5, 0, v7, vcc
	v_and_b32_e32 v7, 0xfc, v0
	v_mul_u32_u24_e32 v10, 3, v7
	v_min_u32_e32 v8, 0x300, v10
	v_min_u32_e32 v57, 0x2fa, v10
	;; [unrolled: 1-line block ×3, first 2 shown]
	v_add_u32_e32 v9, 6, v57
	v_add_u32_e32 v10, 12, v10
	v_mul_u32_u24_e32 v7, 3, v13
	v_sub_u32_e32 v11, v10, v9
	v_sub_u32_e32 v14, v7, v11
	v_cmp_ge_i32_e64 s[0:1], v7, v11
	v_and_b32_e32 v27, 15, v0
	v_and_b32_e32 v34, 31, v0
	v_cndmask_b32_e64 v11, 0, v14, s[0:1]
	v_and_b32_e32 v14, 0xf8, v0
	v_mul_u32_u24_e32 v17, 3, v14
	v_min_u32_e32 v15, 0x300, v17
	v_min_u32_e32 v58, 0x2f4, v17
	;; [unrolled: 1-line block ×3, first 2 shown]
	v_add_u32_e32 v16, 12, v58
	v_add_u32_e32 v17, 24, v17
	v_mul_u32_u24_e32 v14, 3, v20
	v_sub_u32_e32 v18, v17, v16
	v_sub_u32_e32 v21, v14, v18
	v_cmp_ge_i32_e64 s[2:3], v14, v18
	v_and_b32_e32 v41, 63, v0
	v_mov_b32_e32 v50, 0x60
	v_cndmask_b32_e64 v18, 0, v21, s[2:3]
	v_and_b32_e32 v21, 0xf0, v0
	v_mul_u32_u24_e32 v24, 3, v21
	v_min_u32_e32 v22, 0x300, v24
	v_min_u32_e32 v46, 0x2e8, v24
	v_min_u32_e32 v24, 0x2d0, v24
	v_add_u32_e32 v23, 24, v46
	v_add_u32_e32 v24, 48, v24
	v_mul_u32_u24_e32 v21, 3, v27
	v_sub_u32_e32 v25, v24, v23
	v_sub_u32_e32 v28, v21, v25
	v_cmp_ge_i32_e64 s[4:5], v21, v25
	v_and_b32_e32 v51, 0x7f, v0
	v_lshl_add_u32 v46, v46, 2, v50
	v_cndmask_b32_e64 v25, 0, v28, s[4:5]
	v_and_b32_e32 v28, 0xe0, v0
	v_mul_u32_u24_e32 v31, 3, v28
	v_min_u32_e32 v29, 0x300, v31
	v_min_u32_e32 v47, 0x2d0, v31
	;; [unrolled: 1-line block ×3, first 2 shown]
	v_add_u32_e32 v30, 48, v47
	v_add_u32_e32 v31, 0x60, v31
	v_mul_u32_u24_e32 v28, 3, v34
	v_sub_u32_e32 v32, v31, v30
	v_sub_u32_e32 v35, v28, v32
	v_cmp_ge_i32_e64 s[6:7], v28, v32
	v_mov_b32_e32 v50, 0xc0
	v_lshl_add_u32 v47, v47, 2, v50
	v_cndmask_b32_e64 v32, 0, v35, s[6:7]
	v_and_b32_e32 v35, 0xc0, v0
	v_mul_u32_u24_e32 v38, 3, v35
	v_min_u32_e32 v36, 0x300, v38
	v_min_u32_e32 v59, 0x2a0, v38
	;; [unrolled: 1-line block ×3, first 2 shown]
	v_add_u32_e32 v37, 0x60, v59
	v_add_u32_e32 v38, 0xc0, v38
	v_mul_u32_u24_e32 v35, 3, v41
	v_sub_u32_e32 v39, v38, v37
	v_sub_u32_e32 v42, v35, v39
	v_cmp_ge_i32_e64 s[8:9], v35, v39
	v_mov_b32_e32 v50, 0x300
	v_sub_u32_e32 v6, v3, v2
	v_cndmask_b32_e64 v39, 0, v42, s[8:9]
	v_and_b32_e32 v42, 0x80, v0
	v_mul_u32_u24_e32 v45, 3, v42
	v_min_u32_e32 v43, 0x300, v45
	v_min_u32_e32 v48, 0x240, v45
	;; [unrolled: 1-line block ×3, first 2 shown]
	v_add_u32_e32 v44, 0xc0, v48
	v_add_u32_e32 v45, 0x180, v45
	v_mul_u32_u24_e32 v42, 3, v51
	v_sub_u32_e32 v49, v45, v44
	v_lshl_add_u32 v48, v48, 2, v50
	v_sub_u32_e32 v50, v42, v49
	v_sub_u32_e32 v52, v44, v43
	v_cmp_ge_i32_e64 s[10:11], v42, v49
	v_sub_u32_e32 v12, v9, v8
	v_sub_u32_e32 v19, v16, v15
	;; [unrolled: 1-line block ×5, first 2 shown]
	v_cndmask_b32_e64 v49, 0, v50, s[10:11]
	v_min_i32_e32 v50, v42, v52
	v_mul_u32_u24_e32 v52, 3, v0
	v_mov_b32_e32 v53, 0x180
	v_min_i32_e32 v6, v1, v6
	v_min_i32_e32 v12, v7, v12
	;; [unrolled: 1-line block ×6, first 2 shown]
	v_sub_u32_e64 v54, v52, v53 clamp
	v_min_i32_e32 v55, 0x180, v52
	s_movk_i32 s28, 0x300
	v_cmp_lt_i32_e32 vcc, v5, v6
	v_cmp_lt_i32_e64 s[0:1], v11, v12
	v_mad_u32_u24 v13, v13, 3, v9
	v_cmp_lt_i32_e64 s[2:3], v18, v19
	v_mad_u32_u24 v20, v20, 3, v16
	;; [unrolled: 2-line block ×6, first 2 shown]
	v_cmp_lt_i32_e64 s[12:13], v54, v55
	v_lshl_add_u32 v56, v56, 2, 12
	v_lshl_add_u32 v57, v57, 2, 24
	v_lshl_add_u32 v58, v58, 2, 48
	v_lshl_add_u32 v59, v59, 2, v53
	v_lshlrev_b32_e32 v60, 2, v52
	v_lshlrev_b32_e32 v61, 2, v2
	v_add_u32_e32 v62, v3, v1
	v_lshlrev_b32_e32 v63, 2, v8
	v_lshlrev_b32_e32 v64, 2, v15
	;; [unrolled: 1-line block ×6, first 2 shown]
	v_mad_u32_u24 v69, v0, 3, v53
	s_branch .LBB24_2
.LBB24_1:                               ;   in Loop: Header=BB24_2 Depth=1
	s_or_b64 exec, exec, s[18:19]
	v_cndmask_b32_e64 v70, v70, v71, s[14:15]
	v_cndmask_b32_e64 v71, v74, v73, s[16:17]
	v_cmp_ge_i32_e64 s[16:17], v77, v53
	s_waitcnt lgkmcnt(0)
	v_cmp_lt_i32_e64 s[18:19], v78, v72
	v_cmp_gt_i32_e64 s[14:15], s28, v75
	s_or_b64 s[16:17], s[16:17], s[18:19]
	s_add_i32 s25, s25, 1
	s_and_b64 s[14:15], s[14:15], s[16:17]
	s_cmp_eq_u32 s25, 10
	v_cndmask_b32_e64 v72, v72, v78, s[14:15]
	s_cbranch_scc1 .LBB24_98
.LBB24_2:                               ; =>This Loop Header: Depth=1
                                        ;     Child Loop BB24_4 Depth 2
                                        ;     Child Loop BB24_16 Depth 2
                                        ;     Child Loop BB24_28 Depth 2
                                        ;     Child Loop BB24_40 Depth 2
                                        ;     Child Loop BB24_52 Depth 2
                                        ;     Child Loop BB24_64 Depth 2
                                        ;     Child Loop BB24_76 Depth 2
                                        ;     Child Loop BB24_88 Depth 2
	s_waitcnt vmcnt(1)
	v_cmp_lt_i32_e64 s[14:15], v71, v70
	v_min_i32_e32 v75, v71, v70
	s_nop 0
	v_cndmask_b32_e64 v73, v70, v71, s[14:15]
	v_cndmask_b32_e64 v74, v71, v70, s[14:15]
	v_max_i32_e32 v70, v71, v70
	s_waitcnt vmcnt(0)
	v_cmp_lt_i32_e64 s[14:15], v72, v70
	s_barrier
	s_nop 0
	v_cndmask_b32_e64 v71, v72, v70, s[14:15]
	v_cndmask_b32_e64 v74, v74, v72, s[14:15]
	v_min_i32_e32 v70, v72, v70
	v_cmp_lt_i32_e64 s[14:15], v72, v75
	s_nop 1
	v_cndmask_b32_e64 v70, v73, v70, s[14:15]
	v_cndmask_b32_e64 v72, v74, v75, s[14:15]
	ds_write2_b32 v60, v70, v72 offset1:1
	ds_write_b32 v60, v71 offset:8
	v_mov_b32_e32 v72, v5
	s_waitcnt lgkmcnt(0)
	s_barrier
	s_and_saveexec_b64 s[16:17], vcc
	s_cbranch_execz .LBB24_6
; %bb.3:                                ;   in Loop: Header=BB24_2 Depth=1
	s_mov_b64 s[18:19], 0
	v_mov_b32_e32 v72, v5
	v_mov_b32_e32 v70, v6
.LBB24_4:                               ;   Parent Loop BB24_2 Depth=1
                                        ; =>  This Inner Loop Header: Depth=2
	v_sub_u32_e32 v71, v70, v72
	v_lshrrev_b32_e32 v73, 31, v71
	v_add_u32_e32 v71, v71, v73
	v_ashrrev_i32_e32 v71, 1, v71
	v_add_u32_e32 v71, v71, v72
	v_xad_u32 v74, v71, -1, v1
	v_lshl_add_u32 v73, v71, 2, v61
	v_lshl_add_u32 v74, v74, 2, v56
	ds_read_b32 v73, v73
	ds_read_b32 v74, v74
	v_add_u32_e32 v75, 1, v71
	s_waitcnt lgkmcnt(0)
	v_cmp_lt_i32_e64 s[14:15], v74, v73
	s_nop 1
	v_cndmask_b32_e64 v70, v70, v71, s[14:15]
	v_cndmask_b32_e64 v72, v75, v72, s[14:15]
	v_cmp_ge_i32_e64 s[14:15], v72, v70
	s_or_b64 s[18:19], s[14:15], s[18:19]
	s_andn2_b64 exec, exec, s[18:19]
	s_cbranch_execnz .LBB24_4
; %bb.5:                                ;   in Loop: Header=BB24_2 Depth=1
	s_or_b64 exec, exec, s[18:19]
.LBB24_6:                               ;   in Loop: Header=BB24_2 Depth=1
	s_or_b64 exec, exec, s[16:17]
	v_sub_u32_e32 v74, v62, v72
	v_lshl_add_u32 v77, v72, 2, v61
	v_lshlrev_b32_e32 v76, 2, v74
	ds_read_b32 v70, v77
	ds_read_b32 v71, v76
	v_add_u32_e32 v75, v72, v2
	v_cmp_le_i32_e64 s[16:17], v3, v75
	v_cmp_gt_i32_e64 s[14:15], v4, v74
                                        ; implicit-def: $vgpr72
                                        ; implicit-def: $vgpr73
	s_waitcnt lgkmcnt(0)
	v_cmp_lt_i32_e64 s[18:19], v71, v70
	s_or_b64 s[16:17], s[16:17], s[18:19]
	s_and_b64 s[14:15], s[14:15], s[16:17]
	s_xor_b64 s[16:17], s[14:15], -1
	s_and_saveexec_b64 s[18:19], s[16:17]
	s_xor_b64 s[16:17], exec, s[18:19]
	s_cbranch_execz .LBB24_8
; %bb.7:                                ;   in Loop: Header=BB24_2 Depth=1
	ds_read_b32 v73, v77 offset:4
	v_mov_b32_e32 v72, v71
                                        ; implicit-def: $vgpr76
.LBB24_8:                               ;   in Loop: Header=BB24_2 Depth=1
	s_andn2_saveexec_b64 s[16:17], s[16:17]
	s_cbranch_execz .LBB24_10
; %bb.9:                                ;   in Loop: Header=BB24_2 Depth=1
	ds_read_b32 v72, v76 offset:4
	s_waitcnt lgkmcnt(1)
	v_mov_b32_e32 v73, v70
.LBB24_10:                              ;   in Loop: Header=BB24_2 Depth=1
	s_or_b64 exec, exec, s[16:17]
	v_add_u32_e32 v77, 1, v75
	v_add_u32_e32 v76, 1, v74
	v_cndmask_b32_e64 v75, v77, v75, s[14:15]
	v_cndmask_b32_e64 v74, v74, v76, s[14:15]
	v_cmp_ge_i32_e64 s[18:19], v75, v3
	s_waitcnt lgkmcnt(0)
	v_cmp_lt_i32_e64 s[20:21], v72, v73
	v_cmp_lt_i32_e64 s[16:17], v74, v4
	s_or_b64 s[18:19], s[18:19], s[20:21]
	s_and_b64 s[16:17], s[16:17], s[18:19]
	s_xor_b64 s[18:19], s[16:17], -1
                                        ; implicit-def: $vgpr76
	s_and_saveexec_b64 s[20:21], s[18:19]
	s_xor_b64 s[18:19], exec, s[20:21]
	s_cbranch_execz .LBB24_12
; %bb.11:                               ;   in Loop: Header=BB24_2 Depth=1
	v_lshlrev_b32_e32 v76, 2, v75
	ds_read_b32 v76, v76 offset:4
.LBB24_12:                              ;   in Loop: Header=BB24_2 Depth=1
	s_or_saveexec_b64 s[18:19], s[18:19]
	v_mov_b32_e32 v77, v72
	s_xor_b64 exec, exec, s[18:19]
	s_cbranch_execz .LBB24_14
; %bb.13:                               ;   in Loop: Header=BB24_2 Depth=1
	s_waitcnt lgkmcnt(0)
	v_lshlrev_b32_e32 v76, 2, v74
	ds_read_b32 v77, v76 offset:4
	v_mov_b32_e32 v76, v73
.LBB24_14:                              ;   in Loop: Header=BB24_2 Depth=1
	s_or_b64 exec, exec, s[18:19]
	v_cndmask_b32_e64 v72, v73, v72, s[16:17]
	v_add_u32_e32 v73, 1, v74
	v_add_u32_e32 v78, 1, v75
	v_cndmask_b32_e64 v73, v74, v73, s[16:17]
	v_cndmask_b32_e64 v74, v78, v75, s[16:17]
	v_cmp_ge_i32_e64 s[16:17], v74, v3
	s_waitcnt lgkmcnt(0)
	v_cmp_lt_i32_e64 s[18:19], v77, v76
	v_cndmask_b32_e64 v70, v70, v71, s[14:15]
	v_cmp_lt_i32_e64 s[14:15], v73, v4
	s_or_b64 s[16:17], s[16:17], s[18:19]
	s_and_b64 s[14:15], s[14:15], s[16:17]
	v_cndmask_b32_e64 v71, v76, v77, s[14:15]
	s_barrier
	ds_write2_b32 v60, v70, v72 offset1:1
	ds_write_b32 v60, v71 offset:8
	v_mov_b32_e32 v72, v11
	s_waitcnt lgkmcnt(0)
	s_barrier
	s_and_saveexec_b64 s[16:17], s[0:1]
	s_cbranch_execz .LBB24_18
; %bb.15:                               ;   in Loop: Header=BB24_2 Depth=1
	s_mov_b64 s[18:19], 0
	v_mov_b32_e32 v72, v11
	v_mov_b32_e32 v70, v12
.LBB24_16:                              ;   Parent Loop BB24_2 Depth=1
                                        ; =>  This Inner Loop Header: Depth=2
	v_sub_u32_e32 v71, v70, v72
	v_lshrrev_b32_e32 v73, 31, v71
	v_add_u32_e32 v71, v71, v73
	v_ashrrev_i32_e32 v71, 1, v71
	v_add_u32_e32 v71, v71, v72
	v_xad_u32 v74, v71, -1, v7
	v_lshl_add_u32 v73, v71, 2, v63
	v_lshl_add_u32 v74, v74, 2, v57
	ds_read_b32 v73, v73
	ds_read_b32 v74, v74
	v_add_u32_e32 v75, 1, v71
	s_waitcnt lgkmcnt(0)
	v_cmp_lt_i32_e64 s[14:15], v74, v73
	s_nop 1
	v_cndmask_b32_e64 v70, v70, v71, s[14:15]
	v_cndmask_b32_e64 v72, v75, v72, s[14:15]
	v_cmp_ge_i32_e64 s[14:15], v72, v70
	s_or_b64 s[18:19], s[14:15], s[18:19]
	s_andn2_b64 exec, exec, s[18:19]
	s_cbranch_execnz .LBB24_16
; %bb.17:                               ;   in Loop: Header=BB24_2 Depth=1
	s_or_b64 exec, exec, s[18:19]
.LBB24_18:                              ;   in Loop: Header=BB24_2 Depth=1
	s_or_b64 exec, exec, s[16:17]
	v_sub_u32_e32 v74, v13, v72
	v_lshl_add_u32 v77, v72, 2, v63
	v_lshlrev_b32_e32 v76, 2, v74
	ds_read_b32 v70, v77
	ds_read_b32 v71, v76
	v_add_u32_e32 v75, v72, v8
	v_cmp_le_i32_e64 s[16:17], v9, v75
	v_cmp_gt_i32_e64 s[14:15], v10, v74
                                        ; implicit-def: $vgpr72
                                        ; implicit-def: $vgpr73
	s_waitcnt lgkmcnt(0)
	v_cmp_lt_i32_e64 s[18:19], v71, v70
	s_or_b64 s[16:17], s[16:17], s[18:19]
	s_and_b64 s[14:15], s[14:15], s[16:17]
	s_xor_b64 s[16:17], s[14:15], -1
	s_and_saveexec_b64 s[18:19], s[16:17]
	s_xor_b64 s[16:17], exec, s[18:19]
	s_cbranch_execz .LBB24_20
; %bb.19:                               ;   in Loop: Header=BB24_2 Depth=1
	ds_read_b32 v73, v77 offset:4
	v_mov_b32_e32 v72, v71
                                        ; implicit-def: $vgpr76
.LBB24_20:                              ;   in Loop: Header=BB24_2 Depth=1
	s_andn2_saveexec_b64 s[16:17], s[16:17]
	s_cbranch_execz .LBB24_22
; %bb.21:                               ;   in Loop: Header=BB24_2 Depth=1
	ds_read_b32 v72, v76 offset:4
	s_waitcnt lgkmcnt(1)
	v_mov_b32_e32 v73, v70
.LBB24_22:                              ;   in Loop: Header=BB24_2 Depth=1
	s_or_b64 exec, exec, s[16:17]
	v_add_u32_e32 v77, 1, v75
	v_add_u32_e32 v76, 1, v74
	v_cndmask_b32_e64 v75, v77, v75, s[14:15]
	v_cndmask_b32_e64 v74, v74, v76, s[14:15]
	v_cmp_ge_i32_e64 s[18:19], v75, v9
	s_waitcnt lgkmcnt(0)
	v_cmp_lt_i32_e64 s[20:21], v72, v73
	v_cmp_lt_i32_e64 s[16:17], v74, v10
	s_or_b64 s[18:19], s[18:19], s[20:21]
	s_and_b64 s[16:17], s[16:17], s[18:19]
	s_xor_b64 s[18:19], s[16:17], -1
                                        ; implicit-def: $vgpr76
	s_and_saveexec_b64 s[20:21], s[18:19]
	s_xor_b64 s[18:19], exec, s[20:21]
	s_cbranch_execz .LBB24_24
; %bb.23:                               ;   in Loop: Header=BB24_2 Depth=1
	v_lshlrev_b32_e32 v76, 2, v75
	ds_read_b32 v76, v76 offset:4
.LBB24_24:                              ;   in Loop: Header=BB24_2 Depth=1
	s_or_saveexec_b64 s[18:19], s[18:19]
	v_mov_b32_e32 v77, v72
	s_xor_b64 exec, exec, s[18:19]
	s_cbranch_execz .LBB24_26
; %bb.25:                               ;   in Loop: Header=BB24_2 Depth=1
	s_waitcnt lgkmcnt(0)
	v_lshlrev_b32_e32 v76, 2, v74
	ds_read_b32 v77, v76 offset:4
	v_mov_b32_e32 v76, v73
.LBB24_26:                              ;   in Loop: Header=BB24_2 Depth=1
	s_or_b64 exec, exec, s[18:19]
	v_cndmask_b32_e64 v72, v73, v72, s[16:17]
	v_add_u32_e32 v73, 1, v74
	v_add_u32_e32 v78, 1, v75
	v_cndmask_b32_e64 v73, v74, v73, s[16:17]
	v_cndmask_b32_e64 v74, v78, v75, s[16:17]
	v_cmp_ge_i32_e64 s[16:17], v74, v9
	s_waitcnt lgkmcnt(0)
	v_cmp_lt_i32_e64 s[18:19], v77, v76
	v_cndmask_b32_e64 v70, v70, v71, s[14:15]
	v_cmp_lt_i32_e64 s[14:15], v73, v10
	s_or_b64 s[16:17], s[16:17], s[18:19]
	s_and_b64 s[14:15], s[14:15], s[16:17]
	v_cndmask_b32_e64 v71, v76, v77, s[14:15]
	s_barrier
	ds_write2_b32 v60, v70, v72 offset1:1
	ds_write_b32 v60, v71 offset:8
	v_mov_b32_e32 v72, v18
	s_waitcnt lgkmcnt(0)
	s_barrier
	s_and_saveexec_b64 s[16:17], s[2:3]
	s_cbranch_execz .LBB24_30
; %bb.27:                               ;   in Loop: Header=BB24_2 Depth=1
	s_mov_b64 s[18:19], 0
	v_mov_b32_e32 v72, v18
	v_mov_b32_e32 v70, v19
.LBB24_28:                              ;   Parent Loop BB24_2 Depth=1
                                        ; =>  This Inner Loop Header: Depth=2
	v_sub_u32_e32 v71, v70, v72
	v_lshrrev_b32_e32 v73, 31, v71
	v_add_u32_e32 v71, v71, v73
	v_ashrrev_i32_e32 v71, 1, v71
	v_add_u32_e32 v71, v71, v72
	v_xad_u32 v74, v71, -1, v14
	v_lshl_add_u32 v73, v71, 2, v64
	v_lshl_add_u32 v74, v74, 2, v58
	ds_read_b32 v73, v73
	ds_read_b32 v74, v74
	v_add_u32_e32 v75, 1, v71
	s_waitcnt lgkmcnt(0)
	v_cmp_lt_i32_e64 s[14:15], v74, v73
	s_nop 1
	v_cndmask_b32_e64 v70, v70, v71, s[14:15]
	v_cndmask_b32_e64 v72, v75, v72, s[14:15]
	v_cmp_ge_i32_e64 s[14:15], v72, v70
	s_or_b64 s[18:19], s[14:15], s[18:19]
	s_andn2_b64 exec, exec, s[18:19]
	s_cbranch_execnz .LBB24_28
; %bb.29:                               ;   in Loop: Header=BB24_2 Depth=1
	s_or_b64 exec, exec, s[18:19]
.LBB24_30:                              ;   in Loop: Header=BB24_2 Depth=1
	s_or_b64 exec, exec, s[16:17]
	v_sub_u32_e32 v74, v20, v72
	v_lshl_add_u32 v77, v72, 2, v64
	v_lshlrev_b32_e32 v76, 2, v74
	ds_read_b32 v70, v77
	ds_read_b32 v71, v76
	v_add_u32_e32 v75, v72, v15
	v_cmp_le_i32_e64 s[16:17], v16, v75
	v_cmp_gt_i32_e64 s[14:15], v17, v74
                                        ; implicit-def: $vgpr72
                                        ; implicit-def: $vgpr73
	s_waitcnt lgkmcnt(0)
	v_cmp_lt_i32_e64 s[18:19], v71, v70
	s_or_b64 s[16:17], s[16:17], s[18:19]
	s_and_b64 s[14:15], s[14:15], s[16:17]
	s_xor_b64 s[16:17], s[14:15], -1
	s_and_saveexec_b64 s[18:19], s[16:17]
	s_xor_b64 s[16:17], exec, s[18:19]
	s_cbranch_execz .LBB24_32
; %bb.31:                               ;   in Loop: Header=BB24_2 Depth=1
	ds_read_b32 v73, v77 offset:4
	v_mov_b32_e32 v72, v71
                                        ; implicit-def: $vgpr76
.LBB24_32:                              ;   in Loop: Header=BB24_2 Depth=1
	s_andn2_saveexec_b64 s[16:17], s[16:17]
	s_cbranch_execz .LBB24_34
; %bb.33:                               ;   in Loop: Header=BB24_2 Depth=1
	ds_read_b32 v72, v76 offset:4
	s_waitcnt lgkmcnt(1)
	v_mov_b32_e32 v73, v70
.LBB24_34:                              ;   in Loop: Header=BB24_2 Depth=1
	s_or_b64 exec, exec, s[16:17]
	v_add_u32_e32 v77, 1, v75
	v_add_u32_e32 v76, 1, v74
	v_cndmask_b32_e64 v75, v77, v75, s[14:15]
	v_cndmask_b32_e64 v74, v74, v76, s[14:15]
	v_cmp_ge_i32_e64 s[18:19], v75, v16
	s_waitcnt lgkmcnt(0)
	v_cmp_lt_i32_e64 s[20:21], v72, v73
	v_cmp_lt_i32_e64 s[16:17], v74, v17
	s_or_b64 s[18:19], s[18:19], s[20:21]
	s_and_b64 s[16:17], s[16:17], s[18:19]
	s_xor_b64 s[18:19], s[16:17], -1
                                        ; implicit-def: $vgpr76
	s_and_saveexec_b64 s[20:21], s[18:19]
	s_xor_b64 s[18:19], exec, s[20:21]
	s_cbranch_execz .LBB24_36
; %bb.35:                               ;   in Loop: Header=BB24_2 Depth=1
	v_lshlrev_b32_e32 v76, 2, v75
	ds_read_b32 v76, v76 offset:4
.LBB24_36:                              ;   in Loop: Header=BB24_2 Depth=1
	s_or_saveexec_b64 s[18:19], s[18:19]
	v_mov_b32_e32 v77, v72
	s_xor_b64 exec, exec, s[18:19]
	s_cbranch_execz .LBB24_38
; %bb.37:                               ;   in Loop: Header=BB24_2 Depth=1
	s_waitcnt lgkmcnt(0)
	v_lshlrev_b32_e32 v76, 2, v74
	ds_read_b32 v77, v76 offset:4
	v_mov_b32_e32 v76, v73
.LBB24_38:                              ;   in Loop: Header=BB24_2 Depth=1
	s_or_b64 exec, exec, s[18:19]
	v_cndmask_b32_e64 v72, v73, v72, s[16:17]
	v_add_u32_e32 v73, 1, v74
	v_add_u32_e32 v78, 1, v75
	v_cndmask_b32_e64 v73, v74, v73, s[16:17]
	v_cndmask_b32_e64 v74, v78, v75, s[16:17]
	v_cmp_ge_i32_e64 s[16:17], v74, v16
	s_waitcnt lgkmcnt(0)
	v_cmp_lt_i32_e64 s[18:19], v77, v76
	v_cndmask_b32_e64 v70, v70, v71, s[14:15]
	v_cmp_lt_i32_e64 s[14:15], v73, v17
	s_or_b64 s[16:17], s[16:17], s[18:19]
	s_and_b64 s[14:15], s[14:15], s[16:17]
	v_cndmask_b32_e64 v71, v76, v77, s[14:15]
	s_barrier
	ds_write2_b32 v60, v70, v72 offset1:1
	ds_write_b32 v60, v71 offset:8
	v_mov_b32_e32 v72, v25
	s_waitcnt lgkmcnt(0)
	s_barrier
	s_and_saveexec_b64 s[16:17], s[4:5]
	s_cbranch_execz .LBB24_42
; %bb.39:                               ;   in Loop: Header=BB24_2 Depth=1
	s_mov_b64 s[18:19], 0
	v_mov_b32_e32 v72, v25
	v_mov_b32_e32 v70, v26
.LBB24_40:                              ;   Parent Loop BB24_2 Depth=1
                                        ; =>  This Inner Loop Header: Depth=2
	v_sub_u32_e32 v71, v70, v72
	v_lshrrev_b32_e32 v73, 31, v71
	v_add_u32_e32 v71, v71, v73
	v_ashrrev_i32_e32 v71, 1, v71
	v_add_u32_e32 v71, v71, v72
	v_xad_u32 v74, v71, -1, v21
	v_lshl_add_u32 v73, v71, 2, v65
	v_lshl_add_u32 v74, v74, 2, v46
	ds_read_b32 v73, v73
	ds_read_b32 v74, v74
	v_add_u32_e32 v75, 1, v71
	s_waitcnt lgkmcnt(0)
	v_cmp_lt_i32_e64 s[14:15], v74, v73
	s_nop 1
	v_cndmask_b32_e64 v70, v70, v71, s[14:15]
	v_cndmask_b32_e64 v72, v75, v72, s[14:15]
	v_cmp_ge_i32_e64 s[14:15], v72, v70
	s_or_b64 s[18:19], s[14:15], s[18:19]
	s_andn2_b64 exec, exec, s[18:19]
	s_cbranch_execnz .LBB24_40
; %bb.41:                               ;   in Loop: Header=BB24_2 Depth=1
	s_or_b64 exec, exec, s[18:19]
.LBB24_42:                              ;   in Loop: Header=BB24_2 Depth=1
	s_or_b64 exec, exec, s[16:17]
	v_sub_u32_e32 v74, v27, v72
	v_lshl_add_u32 v77, v72, 2, v65
	v_lshlrev_b32_e32 v76, 2, v74
	ds_read_b32 v70, v77
	ds_read_b32 v71, v76
	v_add_u32_e32 v75, v72, v22
	v_cmp_le_i32_e64 s[16:17], v23, v75
	v_cmp_gt_i32_e64 s[14:15], v24, v74
                                        ; implicit-def: $vgpr72
                                        ; implicit-def: $vgpr73
	s_waitcnt lgkmcnt(0)
	v_cmp_lt_i32_e64 s[18:19], v71, v70
	s_or_b64 s[16:17], s[16:17], s[18:19]
	s_and_b64 s[14:15], s[14:15], s[16:17]
	s_xor_b64 s[16:17], s[14:15], -1
	s_and_saveexec_b64 s[18:19], s[16:17]
	s_xor_b64 s[16:17], exec, s[18:19]
	s_cbranch_execz .LBB24_44
; %bb.43:                               ;   in Loop: Header=BB24_2 Depth=1
	ds_read_b32 v73, v77 offset:4
	v_mov_b32_e32 v72, v71
                                        ; implicit-def: $vgpr76
.LBB24_44:                              ;   in Loop: Header=BB24_2 Depth=1
	s_andn2_saveexec_b64 s[16:17], s[16:17]
	s_cbranch_execz .LBB24_46
; %bb.45:                               ;   in Loop: Header=BB24_2 Depth=1
	ds_read_b32 v72, v76 offset:4
	s_waitcnt lgkmcnt(1)
	v_mov_b32_e32 v73, v70
.LBB24_46:                              ;   in Loop: Header=BB24_2 Depth=1
	s_or_b64 exec, exec, s[16:17]
	v_add_u32_e32 v77, 1, v75
	v_add_u32_e32 v76, 1, v74
	v_cndmask_b32_e64 v75, v77, v75, s[14:15]
	v_cndmask_b32_e64 v74, v74, v76, s[14:15]
	v_cmp_ge_i32_e64 s[18:19], v75, v23
	s_waitcnt lgkmcnt(0)
	v_cmp_lt_i32_e64 s[20:21], v72, v73
	v_cmp_lt_i32_e64 s[16:17], v74, v24
	s_or_b64 s[18:19], s[18:19], s[20:21]
	s_and_b64 s[16:17], s[16:17], s[18:19]
	s_xor_b64 s[18:19], s[16:17], -1
                                        ; implicit-def: $vgpr76
	s_and_saveexec_b64 s[20:21], s[18:19]
	s_xor_b64 s[18:19], exec, s[20:21]
	s_cbranch_execz .LBB24_48
; %bb.47:                               ;   in Loop: Header=BB24_2 Depth=1
	v_lshlrev_b32_e32 v76, 2, v75
	ds_read_b32 v76, v76 offset:4
.LBB24_48:                              ;   in Loop: Header=BB24_2 Depth=1
	s_or_saveexec_b64 s[18:19], s[18:19]
	v_mov_b32_e32 v77, v72
	s_xor_b64 exec, exec, s[18:19]
	s_cbranch_execz .LBB24_50
; %bb.49:                               ;   in Loop: Header=BB24_2 Depth=1
	s_waitcnt lgkmcnt(0)
	v_lshlrev_b32_e32 v76, 2, v74
	ds_read_b32 v77, v76 offset:4
	v_mov_b32_e32 v76, v73
.LBB24_50:                              ;   in Loop: Header=BB24_2 Depth=1
	s_or_b64 exec, exec, s[18:19]
	v_cndmask_b32_e64 v72, v73, v72, s[16:17]
	v_add_u32_e32 v73, 1, v74
	v_add_u32_e32 v78, 1, v75
	v_cndmask_b32_e64 v73, v74, v73, s[16:17]
	v_cndmask_b32_e64 v74, v78, v75, s[16:17]
	v_cmp_ge_i32_e64 s[16:17], v74, v23
	s_waitcnt lgkmcnt(0)
	v_cmp_lt_i32_e64 s[18:19], v77, v76
	v_cndmask_b32_e64 v70, v70, v71, s[14:15]
	v_cmp_lt_i32_e64 s[14:15], v73, v24
	s_or_b64 s[16:17], s[16:17], s[18:19]
	s_and_b64 s[14:15], s[14:15], s[16:17]
	v_cndmask_b32_e64 v71, v76, v77, s[14:15]
	s_barrier
	ds_write2_b32 v60, v70, v72 offset1:1
	ds_write_b32 v60, v71 offset:8
	v_mov_b32_e32 v72, v32
	s_waitcnt lgkmcnt(0)
	s_barrier
	s_and_saveexec_b64 s[16:17], s[6:7]
	s_cbranch_execz .LBB24_54
; %bb.51:                               ;   in Loop: Header=BB24_2 Depth=1
	s_mov_b64 s[18:19], 0
	v_mov_b32_e32 v72, v32
	v_mov_b32_e32 v70, v33
.LBB24_52:                              ;   Parent Loop BB24_2 Depth=1
                                        ; =>  This Inner Loop Header: Depth=2
	v_sub_u32_e32 v71, v70, v72
	v_lshrrev_b32_e32 v73, 31, v71
	v_add_u32_e32 v71, v71, v73
	v_ashrrev_i32_e32 v71, 1, v71
	v_add_u32_e32 v71, v71, v72
	v_xad_u32 v74, v71, -1, v28
	v_lshl_add_u32 v73, v71, 2, v66
	v_lshl_add_u32 v74, v74, 2, v47
	ds_read_b32 v73, v73
	ds_read_b32 v74, v74
	v_add_u32_e32 v75, 1, v71
	s_waitcnt lgkmcnt(0)
	v_cmp_lt_i32_e64 s[14:15], v74, v73
	s_nop 1
	v_cndmask_b32_e64 v70, v70, v71, s[14:15]
	v_cndmask_b32_e64 v72, v75, v72, s[14:15]
	v_cmp_ge_i32_e64 s[14:15], v72, v70
	s_or_b64 s[18:19], s[14:15], s[18:19]
	s_andn2_b64 exec, exec, s[18:19]
	s_cbranch_execnz .LBB24_52
; %bb.53:                               ;   in Loop: Header=BB24_2 Depth=1
	s_or_b64 exec, exec, s[18:19]
.LBB24_54:                              ;   in Loop: Header=BB24_2 Depth=1
	s_or_b64 exec, exec, s[16:17]
	v_sub_u32_e32 v74, v34, v72
	v_lshl_add_u32 v77, v72, 2, v66
	v_lshlrev_b32_e32 v76, 2, v74
	ds_read_b32 v70, v77
	ds_read_b32 v71, v76
	v_add_u32_e32 v75, v72, v29
	v_cmp_le_i32_e64 s[16:17], v30, v75
	v_cmp_gt_i32_e64 s[14:15], v31, v74
                                        ; implicit-def: $vgpr72
                                        ; implicit-def: $vgpr73
	s_waitcnt lgkmcnt(0)
	v_cmp_lt_i32_e64 s[18:19], v71, v70
	s_or_b64 s[16:17], s[16:17], s[18:19]
	s_and_b64 s[14:15], s[14:15], s[16:17]
	s_xor_b64 s[16:17], s[14:15], -1
	s_and_saveexec_b64 s[18:19], s[16:17]
	s_xor_b64 s[16:17], exec, s[18:19]
	s_cbranch_execz .LBB24_56
; %bb.55:                               ;   in Loop: Header=BB24_2 Depth=1
	ds_read_b32 v73, v77 offset:4
	v_mov_b32_e32 v72, v71
                                        ; implicit-def: $vgpr76
.LBB24_56:                              ;   in Loop: Header=BB24_2 Depth=1
	s_andn2_saveexec_b64 s[16:17], s[16:17]
	s_cbranch_execz .LBB24_58
; %bb.57:                               ;   in Loop: Header=BB24_2 Depth=1
	ds_read_b32 v72, v76 offset:4
	s_waitcnt lgkmcnt(1)
	v_mov_b32_e32 v73, v70
.LBB24_58:                              ;   in Loop: Header=BB24_2 Depth=1
	s_or_b64 exec, exec, s[16:17]
	v_add_u32_e32 v77, 1, v75
	v_add_u32_e32 v76, 1, v74
	v_cndmask_b32_e64 v75, v77, v75, s[14:15]
	v_cndmask_b32_e64 v74, v74, v76, s[14:15]
	v_cmp_ge_i32_e64 s[18:19], v75, v30
	s_waitcnt lgkmcnt(0)
	v_cmp_lt_i32_e64 s[20:21], v72, v73
	v_cmp_lt_i32_e64 s[16:17], v74, v31
	s_or_b64 s[18:19], s[18:19], s[20:21]
	s_and_b64 s[16:17], s[16:17], s[18:19]
	s_xor_b64 s[18:19], s[16:17], -1
                                        ; implicit-def: $vgpr76
	s_and_saveexec_b64 s[20:21], s[18:19]
	s_xor_b64 s[18:19], exec, s[20:21]
	s_cbranch_execz .LBB24_60
; %bb.59:                               ;   in Loop: Header=BB24_2 Depth=1
	v_lshlrev_b32_e32 v76, 2, v75
	ds_read_b32 v76, v76 offset:4
.LBB24_60:                              ;   in Loop: Header=BB24_2 Depth=1
	s_or_saveexec_b64 s[18:19], s[18:19]
	v_mov_b32_e32 v77, v72
	s_xor_b64 exec, exec, s[18:19]
	s_cbranch_execz .LBB24_62
; %bb.61:                               ;   in Loop: Header=BB24_2 Depth=1
	s_waitcnt lgkmcnt(0)
	v_lshlrev_b32_e32 v76, 2, v74
	ds_read_b32 v77, v76 offset:4
	v_mov_b32_e32 v76, v73
.LBB24_62:                              ;   in Loop: Header=BB24_2 Depth=1
	s_or_b64 exec, exec, s[18:19]
	v_cndmask_b32_e64 v72, v73, v72, s[16:17]
	v_add_u32_e32 v73, 1, v74
	v_add_u32_e32 v78, 1, v75
	v_cndmask_b32_e64 v73, v74, v73, s[16:17]
	v_cndmask_b32_e64 v74, v78, v75, s[16:17]
	v_cmp_ge_i32_e64 s[16:17], v74, v30
	s_waitcnt lgkmcnt(0)
	v_cmp_lt_i32_e64 s[18:19], v77, v76
	v_cndmask_b32_e64 v70, v70, v71, s[14:15]
	v_cmp_lt_i32_e64 s[14:15], v73, v31
	s_or_b64 s[16:17], s[16:17], s[18:19]
	s_and_b64 s[14:15], s[14:15], s[16:17]
	v_cndmask_b32_e64 v71, v76, v77, s[14:15]
	s_barrier
	ds_write2_b32 v60, v70, v72 offset1:1
	ds_write_b32 v60, v71 offset:8
	v_mov_b32_e32 v72, v39
	s_waitcnt lgkmcnt(0)
	s_barrier
	s_and_saveexec_b64 s[16:17], s[8:9]
	s_cbranch_execz .LBB24_66
; %bb.63:                               ;   in Loop: Header=BB24_2 Depth=1
	s_mov_b64 s[18:19], 0
	v_mov_b32_e32 v72, v39
	v_mov_b32_e32 v70, v40
.LBB24_64:                              ;   Parent Loop BB24_2 Depth=1
                                        ; =>  This Inner Loop Header: Depth=2
	v_sub_u32_e32 v71, v70, v72
	v_lshrrev_b32_e32 v73, 31, v71
	v_add_u32_e32 v71, v71, v73
	v_ashrrev_i32_e32 v71, 1, v71
	v_add_u32_e32 v71, v71, v72
	v_xad_u32 v74, v71, -1, v35
	v_lshl_add_u32 v73, v71, 2, v67
	v_lshl_add_u32 v74, v74, 2, v59
	ds_read_b32 v73, v73
	ds_read_b32 v74, v74
	v_add_u32_e32 v75, 1, v71
	s_waitcnt lgkmcnt(0)
	v_cmp_lt_i32_e64 s[14:15], v74, v73
	s_nop 1
	v_cndmask_b32_e64 v70, v70, v71, s[14:15]
	v_cndmask_b32_e64 v72, v75, v72, s[14:15]
	v_cmp_ge_i32_e64 s[14:15], v72, v70
	s_or_b64 s[18:19], s[14:15], s[18:19]
	s_andn2_b64 exec, exec, s[18:19]
	s_cbranch_execnz .LBB24_64
; %bb.65:                               ;   in Loop: Header=BB24_2 Depth=1
	s_or_b64 exec, exec, s[18:19]
.LBB24_66:                              ;   in Loop: Header=BB24_2 Depth=1
	s_or_b64 exec, exec, s[16:17]
	v_sub_u32_e32 v74, v41, v72
	v_lshl_add_u32 v77, v72, 2, v67
	v_lshlrev_b32_e32 v76, 2, v74
	ds_read_b32 v70, v77
	ds_read_b32 v71, v76
	v_add_u32_e32 v75, v72, v36
	v_cmp_le_i32_e64 s[16:17], v37, v75
	v_cmp_gt_i32_e64 s[14:15], v38, v74
                                        ; implicit-def: $vgpr72
                                        ; implicit-def: $vgpr73
	s_waitcnt lgkmcnt(0)
	v_cmp_lt_i32_e64 s[18:19], v71, v70
	s_or_b64 s[16:17], s[16:17], s[18:19]
	s_and_b64 s[14:15], s[14:15], s[16:17]
	s_xor_b64 s[16:17], s[14:15], -1
	s_and_saveexec_b64 s[18:19], s[16:17]
	s_xor_b64 s[16:17], exec, s[18:19]
	s_cbranch_execz .LBB24_68
; %bb.67:                               ;   in Loop: Header=BB24_2 Depth=1
	ds_read_b32 v73, v77 offset:4
	v_mov_b32_e32 v72, v71
                                        ; implicit-def: $vgpr76
.LBB24_68:                              ;   in Loop: Header=BB24_2 Depth=1
	s_andn2_saveexec_b64 s[16:17], s[16:17]
	s_cbranch_execz .LBB24_70
; %bb.69:                               ;   in Loop: Header=BB24_2 Depth=1
	ds_read_b32 v72, v76 offset:4
	s_waitcnt lgkmcnt(1)
	v_mov_b32_e32 v73, v70
.LBB24_70:                              ;   in Loop: Header=BB24_2 Depth=1
	s_or_b64 exec, exec, s[16:17]
	v_add_u32_e32 v77, 1, v75
	v_add_u32_e32 v76, 1, v74
	v_cndmask_b32_e64 v75, v77, v75, s[14:15]
	v_cndmask_b32_e64 v74, v74, v76, s[14:15]
	v_cmp_ge_i32_e64 s[18:19], v75, v37
	s_waitcnt lgkmcnt(0)
	v_cmp_lt_i32_e64 s[20:21], v72, v73
	v_cmp_lt_i32_e64 s[16:17], v74, v38
	s_or_b64 s[18:19], s[18:19], s[20:21]
	s_and_b64 s[16:17], s[16:17], s[18:19]
	s_xor_b64 s[18:19], s[16:17], -1
                                        ; implicit-def: $vgpr76
	s_and_saveexec_b64 s[20:21], s[18:19]
	s_xor_b64 s[18:19], exec, s[20:21]
	s_cbranch_execz .LBB24_72
; %bb.71:                               ;   in Loop: Header=BB24_2 Depth=1
	v_lshlrev_b32_e32 v76, 2, v75
	ds_read_b32 v76, v76 offset:4
.LBB24_72:                              ;   in Loop: Header=BB24_2 Depth=1
	s_or_saveexec_b64 s[18:19], s[18:19]
	v_mov_b32_e32 v77, v72
	s_xor_b64 exec, exec, s[18:19]
	s_cbranch_execz .LBB24_74
; %bb.73:                               ;   in Loop: Header=BB24_2 Depth=1
	s_waitcnt lgkmcnt(0)
	v_lshlrev_b32_e32 v76, 2, v74
	ds_read_b32 v77, v76 offset:4
	v_mov_b32_e32 v76, v73
.LBB24_74:                              ;   in Loop: Header=BB24_2 Depth=1
	s_or_b64 exec, exec, s[18:19]
	v_cndmask_b32_e64 v72, v73, v72, s[16:17]
	v_add_u32_e32 v73, 1, v74
	v_add_u32_e32 v78, 1, v75
	v_cndmask_b32_e64 v73, v74, v73, s[16:17]
	v_cndmask_b32_e64 v74, v78, v75, s[16:17]
	v_cmp_ge_i32_e64 s[16:17], v74, v37
	s_waitcnt lgkmcnt(0)
	v_cmp_lt_i32_e64 s[18:19], v77, v76
	v_cndmask_b32_e64 v70, v70, v71, s[14:15]
	v_cmp_lt_i32_e64 s[14:15], v73, v38
	s_or_b64 s[16:17], s[16:17], s[18:19]
	s_and_b64 s[14:15], s[14:15], s[16:17]
	v_cndmask_b32_e64 v71, v76, v77, s[14:15]
	s_barrier
	ds_write2_b32 v60, v70, v72 offset1:1
	ds_write_b32 v60, v71 offset:8
	v_mov_b32_e32 v72, v49
	s_waitcnt lgkmcnt(0)
	s_barrier
	s_and_saveexec_b64 s[16:17], s[10:11]
	s_cbranch_execz .LBB24_78
; %bb.75:                               ;   in Loop: Header=BB24_2 Depth=1
	s_mov_b64 s[18:19], 0
	v_mov_b32_e32 v72, v49
	v_mov_b32_e32 v70, v50
.LBB24_76:                              ;   Parent Loop BB24_2 Depth=1
                                        ; =>  This Inner Loop Header: Depth=2
	v_sub_u32_e32 v71, v70, v72
	v_lshrrev_b32_e32 v73, 31, v71
	v_add_u32_e32 v71, v71, v73
	v_ashrrev_i32_e32 v71, 1, v71
	v_add_u32_e32 v71, v71, v72
	v_xad_u32 v74, v71, -1, v42
	v_lshl_add_u32 v73, v71, 2, v68
	v_lshl_add_u32 v74, v74, 2, v48
	ds_read_b32 v73, v73
	ds_read_b32 v74, v74
	v_add_u32_e32 v75, 1, v71
	s_waitcnt lgkmcnt(0)
	v_cmp_lt_i32_e64 s[14:15], v74, v73
	s_nop 1
	v_cndmask_b32_e64 v70, v70, v71, s[14:15]
	v_cndmask_b32_e64 v72, v75, v72, s[14:15]
	v_cmp_ge_i32_e64 s[14:15], v72, v70
	s_or_b64 s[18:19], s[14:15], s[18:19]
	s_andn2_b64 exec, exec, s[18:19]
	s_cbranch_execnz .LBB24_76
; %bb.77:                               ;   in Loop: Header=BB24_2 Depth=1
	s_or_b64 exec, exec, s[18:19]
.LBB24_78:                              ;   in Loop: Header=BB24_2 Depth=1
	s_or_b64 exec, exec, s[16:17]
	v_sub_u32_e32 v74, v51, v72
	v_lshl_add_u32 v77, v72, 2, v68
	v_lshlrev_b32_e32 v76, 2, v74
	ds_read_b32 v70, v77
	ds_read_b32 v71, v76
	v_add_u32_e32 v75, v72, v43
	v_cmp_le_i32_e64 s[16:17], v44, v75
	v_cmp_gt_i32_e64 s[14:15], v45, v74
                                        ; implicit-def: $vgpr72
                                        ; implicit-def: $vgpr73
	s_waitcnt lgkmcnt(0)
	v_cmp_lt_i32_e64 s[18:19], v71, v70
	s_or_b64 s[16:17], s[16:17], s[18:19]
	s_and_b64 s[14:15], s[14:15], s[16:17]
	s_xor_b64 s[16:17], s[14:15], -1
	s_and_saveexec_b64 s[18:19], s[16:17]
	s_xor_b64 s[16:17], exec, s[18:19]
	s_cbranch_execz .LBB24_80
; %bb.79:                               ;   in Loop: Header=BB24_2 Depth=1
	ds_read_b32 v73, v77 offset:4
	v_mov_b32_e32 v72, v71
                                        ; implicit-def: $vgpr76
.LBB24_80:                              ;   in Loop: Header=BB24_2 Depth=1
	s_andn2_saveexec_b64 s[16:17], s[16:17]
	s_cbranch_execz .LBB24_82
; %bb.81:                               ;   in Loop: Header=BB24_2 Depth=1
	ds_read_b32 v72, v76 offset:4
	s_waitcnt lgkmcnt(1)
	v_mov_b32_e32 v73, v70
.LBB24_82:                              ;   in Loop: Header=BB24_2 Depth=1
	s_or_b64 exec, exec, s[16:17]
	v_add_u32_e32 v77, 1, v75
	v_add_u32_e32 v76, 1, v74
	v_cndmask_b32_e64 v75, v77, v75, s[14:15]
	v_cndmask_b32_e64 v74, v74, v76, s[14:15]
	v_cmp_ge_i32_e64 s[18:19], v75, v44
	s_waitcnt lgkmcnt(0)
	v_cmp_lt_i32_e64 s[20:21], v72, v73
	v_cmp_lt_i32_e64 s[16:17], v74, v45
	s_or_b64 s[18:19], s[18:19], s[20:21]
	s_and_b64 s[16:17], s[16:17], s[18:19]
	s_xor_b64 s[18:19], s[16:17], -1
                                        ; implicit-def: $vgpr76
	s_and_saveexec_b64 s[20:21], s[18:19]
	s_xor_b64 s[18:19], exec, s[20:21]
	s_cbranch_execz .LBB24_84
; %bb.83:                               ;   in Loop: Header=BB24_2 Depth=1
	v_lshlrev_b32_e32 v76, 2, v75
	ds_read_b32 v76, v76 offset:4
.LBB24_84:                              ;   in Loop: Header=BB24_2 Depth=1
	s_or_saveexec_b64 s[18:19], s[18:19]
	v_mov_b32_e32 v77, v72
	s_xor_b64 exec, exec, s[18:19]
	s_cbranch_execz .LBB24_86
; %bb.85:                               ;   in Loop: Header=BB24_2 Depth=1
	s_waitcnt lgkmcnt(0)
	v_lshlrev_b32_e32 v76, 2, v74
	ds_read_b32 v77, v76 offset:4
	v_mov_b32_e32 v76, v73
.LBB24_86:                              ;   in Loop: Header=BB24_2 Depth=1
	s_or_b64 exec, exec, s[18:19]
	v_cndmask_b32_e64 v72, v73, v72, s[16:17]
	v_add_u32_e32 v73, 1, v74
	v_add_u32_e32 v78, 1, v75
	v_cndmask_b32_e64 v73, v74, v73, s[16:17]
	v_cndmask_b32_e64 v74, v78, v75, s[16:17]
	v_cmp_ge_i32_e64 s[16:17], v74, v44
	s_waitcnt lgkmcnt(0)
	v_cmp_lt_i32_e64 s[18:19], v77, v76
	v_cndmask_b32_e64 v70, v70, v71, s[14:15]
	v_cmp_lt_i32_e64 s[14:15], v73, v45
	s_or_b64 s[16:17], s[16:17], s[18:19]
	s_and_b64 s[14:15], s[14:15], s[16:17]
	v_cndmask_b32_e64 v71, v76, v77, s[14:15]
	s_barrier
	ds_write2_b32 v60, v70, v72 offset1:1
	ds_write_b32 v60, v71 offset:8
	v_mov_b32_e32 v72, v54
	s_waitcnt lgkmcnt(0)
	s_barrier
	s_and_saveexec_b64 s[16:17], s[12:13]
	s_cbranch_execz .LBB24_90
; %bb.87:                               ;   in Loop: Header=BB24_2 Depth=1
	s_mov_b64 s[18:19], 0
	v_mov_b32_e32 v72, v54
	v_mov_b32_e32 v70, v55
.LBB24_88:                              ;   Parent Loop BB24_2 Depth=1
                                        ; =>  This Inner Loop Header: Depth=2
	v_sub_u32_e32 v71, v70, v72
	v_lshrrev_b32_e32 v73, 31, v71
	v_add_u32_e32 v71, v71, v73
	v_ashrrev_i32_e32 v71, 1, v71
	v_add_u32_e32 v71, v71, v72
	v_xad_u32 v74, v71, -1, v52
	v_mov_b32_e32 v75, 0x600
	v_lshlrev_b32_e32 v73, 2, v71
	v_lshl_add_u32 v74, v74, 2, v75
	ds_read_b32 v73, v73
	ds_read_b32 v74, v74
	v_add_u32_e32 v75, 1, v71
	s_waitcnt lgkmcnt(0)
	v_cmp_lt_i32_e64 s[14:15], v74, v73
	s_nop 1
	v_cndmask_b32_e64 v70, v70, v71, s[14:15]
	v_cndmask_b32_e64 v72, v75, v72, s[14:15]
	v_cmp_ge_i32_e64 s[14:15], v72, v70
	s_or_b64 s[18:19], s[14:15], s[18:19]
	s_andn2_b64 exec, exec, s[18:19]
	s_cbranch_execnz .LBB24_88
; %bb.89:                               ;   in Loop: Header=BB24_2 Depth=1
	s_or_b64 exec, exec, s[18:19]
.LBB24_90:                              ;   in Loop: Header=BB24_2 Depth=1
	s_or_b64 exec, exec, s[16:17]
	v_sub_u32_e32 v75, v69, v72
	v_lshlrev_b32_e32 v77, 2, v72
	v_lshlrev_b32_e32 v76, 2, v75
	ds_read_b32 v70, v77
	ds_read_b32 v71, v76
	v_cmp_le_i32_e64 s[16:17], v53, v72
	v_cmp_gt_i32_e64 s[14:15], s28, v75
                                        ; implicit-def: $vgpr73
                                        ; implicit-def: $vgpr74
	s_waitcnt lgkmcnt(0)
	v_cmp_lt_i32_e64 s[18:19], v71, v70
	s_or_b64 s[16:17], s[16:17], s[18:19]
	s_and_b64 s[14:15], s[14:15], s[16:17]
	s_xor_b64 s[16:17], s[14:15], -1
	s_and_saveexec_b64 s[18:19], s[16:17]
	s_xor_b64 s[16:17], exec, s[18:19]
	s_cbranch_execz .LBB24_92
; %bb.91:                               ;   in Loop: Header=BB24_2 Depth=1
	ds_read_b32 v74, v77 offset:4
	v_mov_b32_e32 v73, v71
                                        ; implicit-def: $vgpr76
.LBB24_92:                              ;   in Loop: Header=BB24_2 Depth=1
	s_andn2_saveexec_b64 s[16:17], s[16:17]
	s_cbranch_execz .LBB24_94
; %bb.93:                               ;   in Loop: Header=BB24_2 Depth=1
	ds_read_b32 v73, v76 offset:4
	s_waitcnt lgkmcnt(1)
	v_mov_b32_e32 v74, v70
.LBB24_94:                              ;   in Loop: Header=BB24_2 Depth=1
	s_or_b64 exec, exec, s[16:17]
	v_add_u32_e32 v76, 1, v75
	v_add_u32_e32 v77, 1, v72
	v_cndmask_b32_e64 v75, v75, v76, s[14:15]
	v_cndmask_b32_e64 v76, v77, v72, s[14:15]
	v_cmp_ge_i32_e64 s[18:19], v76, v53
	s_waitcnt lgkmcnt(0)
	v_cmp_lt_i32_e64 s[20:21], v73, v74
	v_cmp_gt_i32_e64 s[16:17], s28, v75
	s_or_b64 s[18:19], s[18:19], s[20:21]
	s_and_b64 s[16:17], s[16:17], s[18:19]
	s_xor_b64 s[18:19], s[16:17], -1
                                        ; implicit-def: $vgpr72
                                        ; implicit-def: $vgpr77
	s_and_saveexec_b64 s[20:21], s[18:19]
	s_xor_b64 s[18:19], exec, s[20:21]
	s_cbranch_execz .LBB24_96
; %bb.95:                               ;   in Loop: Header=BB24_2 Depth=1
	v_lshlrev_b32_e32 v72, 2, v76
	ds_read_b32 v72, v72 offset:4
	v_add_u32_e32 v77, 1, v76
                                        ; implicit-def: $vgpr76
.LBB24_96:                              ;   in Loop: Header=BB24_2 Depth=1
	s_or_saveexec_b64 s[18:19], s[18:19]
	v_mov_b32_e32 v78, v73
	s_xor_b64 exec, exec, s[18:19]
	s_cbranch_execz .LBB24_1
; %bb.97:                               ;   in Loop: Header=BB24_2 Depth=1
	s_waitcnt lgkmcnt(0)
	v_lshlrev_b32_e32 v72, 2, v75
	ds_read_b32 v78, v72 offset:4
	v_add_u32_e32 v75, 1, v75
	v_mov_b32_e32 v77, v76
	v_mov_b32_e32 v72, v74
	s_branch .LBB24_1
.LBB24_98:
	s_add_u32 s0, s22, s26
	s_addc_u32 s1, s23, s27
	v_lshlrev_b32_e32 v0, 2, v0
	global_store_dword v0, v70, s[0:1]
	global_store_dword v0, v71, s[0:1] offset:1024
	global_store_dword v0, v72, s[0:1] offset:2048
	s_endpgm
	.section	.rodata,"a",@progbits
	.p2align	6, 0x0
	.amdhsa_kernel _Z16sort_keys_kernelIiLj256ELj3EN10test_utils4lessELj10EEvPKT_PS2_T2_
		.amdhsa_group_segment_fixed_size 3076
		.amdhsa_private_segment_fixed_size 0
		.amdhsa_kernarg_size 20
		.amdhsa_user_sgpr_count 2
		.amdhsa_user_sgpr_dispatch_ptr 0
		.amdhsa_user_sgpr_queue_ptr 0
		.amdhsa_user_sgpr_kernarg_segment_ptr 1
		.amdhsa_user_sgpr_dispatch_id 0
		.amdhsa_user_sgpr_kernarg_preload_length 0
		.amdhsa_user_sgpr_kernarg_preload_offset 0
		.amdhsa_user_sgpr_private_segment_size 0
		.amdhsa_uses_dynamic_stack 0
		.amdhsa_enable_private_segment 0
		.amdhsa_system_sgpr_workgroup_id_x 1
		.amdhsa_system_sgpr_workgroup_id_y 0
		.amdhsa_system_sgpr_workgroup_id_z 0
		.amdhsa_system_sgpr_workgroup_info 0
		.amdhsa_system_vgpr_workitem_id 0
		.amdhsa_next_free_vgpr 79
		.amdhsa_next_free_sgpr 29
		.amdhsa_accum_offset 80
		.amdhsa_reserve_vcc 1
		.amdhsa_float_round_mode_32 0
		.amdhsa_float_round_mode_16_64 0
		.amdhsa_float_denorm_mode_32 3
		.amdhsa_float_denorm_mode_16_64 3
		.amdhsa_dx10_clamp 1
		.amdhsa_ieee_mode 1
		.amdhsa_fp16_overflow 0
		.amdhsa_tg_split 0
		.amdhsa_exception_fp_ieee_invalid_op 0
		.amdhsa_exception_fp_denorm_src 0
		.amdhsa_exception_fp_ieee_div_zero 0
		.amdhsa_exception_fp_ieee_overflow 0
		.amdhsa_exception_fp_ieee_underflow 0
		.amdhsa_exception_fp_ieee_inexact 0
		.amdhsa_exception_int_div_zero 0
	.end_amdhsa_kernel
	.section	.text._Z16sort_keys_kernelIiLj256ELj3EN10test_utils4lessELj10EEvPKT_PS2_T2_,"axG",@progbits,_Z16sort_keys_kernelIiLj256ELj3EN10test_utils4lessELj10EEvPKT_PS2_T2_,comdat
.Lfunc_end24:
	.size	_Z16sort_keys_kernelIiLj256ELj3EN10test_utils4lessELj10EEvPKT_PS2_T2_, .Lfunc_end24-_Z16sort_keys_kernelIiLj256ELj3EN10test_utils4lessELj10EEvPKT_PS2_T2_
                                        ; -- End function
	.section	.AMDGPU.csdata,"",@progbits
; Kernel info:
; codeLenInByte = 5216
; NumSgprs: 35
; NumVgprs: 79
; NumAgprs: 0
; TotalNumVgprs: 79
; ScratchSize: 0
; MemoryBound: 0
; FloatMode: 240
; IeeeMode: 1
; LDSByteSize: 3076 bytes/workgroup (compile time only)
; SGPRBlocks: 4
; VGPRBlocks: 9
; NumSGPRsForWavesPerEU: 35
; NumVGPRsForWavesPerEU: 79
; AccumOffset: 80
; Occupancy: 6
; WaveLimiterHint : 1
; COMPUTE_PGM_RSRC2:SCRATCH_EN: 0
; COMPUTE_PGM_RSRC2:USER_SGPR: 2
; COMPUTE_PGM_RSRC2:TRAP_HANDLER: 0
; COMPUTE_PGM_RSRC2:TGID_X_EN: 1
; COMPUTE_PGM_RSRC2:TGID_Y_EN: 0
; COMPUTE_PGM_RSRC2:TGID_Z_EN: 0
; COMPUTE_PGM_RSRC2:TIDIG_COMP_CNT: 0
; COMPUTE_PGM_RSRC3_GFX90A:ACCUM_OFFSET: 19
; COMPUTE_PGM_RSRC3_GFX90A:TG_SPLIT: 0
	.section	.text._Z17sort_pairs_kernelIiLj256ELj3EN10test_utils4lessELj10EEvPKT_PS2_T2_,"axG",@progbits,_Z17sort_pairs_kernelIiLj256ELj3EN10test_utils4lessELj10EEvPKT_PS2_T2_,comdat
	.protected	_Z17sort_pairs_kernelIiLj256ELj3EN10test_utils4lessELj10EEvPKT_PS2_T2_ ; -- Begin function _Z17sort_pairs_kernelIiLj256ELj3EN10test_utils4lessELj10EEvPKT_PS2_T2_
	.globl	_Z17sort_pairs_kernelIiLj256ELj3EN10test_utils4lessELj10EEvPKT_PS2_T2_
	.p2align	8
	.type	_Z17sort_pairs_kernelIiLj256ELj3EN10test_utils4lessELj10EEvPKT_PS2_T2_,@function
_Z17sort_pairs_kernelIiLj256ELj3EN10test_utils4lessELj10EEvPKT_PS2_T2_: ; @_Z17sort_pairs_kernelIiLj256ELj3EN10test_utils4lessELj10EEvPKT_PS2_T2_
; %bb.0:
	s_load_dwordx4 s[28:31], s[0:1], 0x0
	s_mul_i32 s36, s2, 0x300
	s_mov_b32 s37, 0
	s_lshl_b64 s[34:35], s[36:37], 2
	v_lshlrev_b32_e32 v1, 2, v0
	s_waitcnt lgkmcnt(0)
	s_add_u32 s0, s28, s34
	s_addc_u32 s1, s29, s35
	global_load_dword v75, v1, s[0:1]
	global_load_dword v76, v1, s[0:1] offset:1024
	global_load_dword v71, v1, s[0:1] offset:2048
	v_and_b32_e32 v1, 0xfe, v0
	v_mul_u32_u24_e32 v4, 3, v1
	v_and_b32_e32 v1, 1, v0
	v_min_u32_e32 v2, 0x300, v4
	v_min_u32_e32 v56, 0x2fd, v4
	v_min_u32_e32 v4, 0x2fa, v4
	v_cmp_eq_u32_e32 vcc, 1, v1
	v_add_u32_e32 v3, 3, v56
	v_add_u32_e32 v4, 6, v4
	v_cndmask_b32_e64 v1, 0, 3, vcc
	v_sub_u32_e32 v5, v4, v3
	v_sub_u32_e32 v7, v1, v5
	v_cmp_ge_i32_e32 vcc, v1, v5
	v_and_b32_e32 v13, 3, v0
	v_and_b32_e32 v20, 7, v0
	v_cndmask_b32_e32 v5, 0, v7, vcc
	v_and_b32_e32 v7, 0xfc, v0
	v_mul_u32_u24_e32 v10, 3, v7
	v_min_u32_e32 v8, 0x300, v10
	v_min_u32_e32 v57, 0x2fa, v10
	;; [unrolled: 1-line block ×3, first 2 shown]
	v_add_u32_e32 v9, 6, v57
	v_add_u32_e32 v10, 12, v10
	v_mul_u32_u24_e32 v7, 3, v13
	v_sub_u32_e32 v11, v10, v9
	v_sub_u32_e32 v14, v7, v11
	v_cmp_ge_i32_e64 s[0:1], v7, v11
	v_and_b32_e32 v27, 15, v0
	v_and_b32_e32 v34, 31, v0
	v_cndmask_b32_e64 v11, 0, v14, s[0:1]
	v_and_b32_e32 v14, 0xf8, v0
	v_mul_u32_u24_e32 v17, 3, v14
	v_min_u32_e32 v15, 0x300, v17
	v_min_u32_e32 v58, 0x2f4, v17
	;; [unrolled: 1-line block ×3, first 2 shown]
	v_add_u32_e32 v16, 12, v58
	v_add_u32_e32 v17, 24, v17
	v_mul_u32_u24_e32 v14, 3, v20
	v_sub_u32_e32 v18, v17, v16
	v_sub_u32_e32 v21, v14, v18
	v_cmp_ge_i32_e64 s[2:3], v14, v18
	v_and_b32_e32 v41, 63, v0
	v_mov_b32_e32 v50, 0x60
	v_cndmask_b32_e64 v18, 0, v21, s[2:3]
	v_and_b32_e32 v21, 0xf0, v0
	v_mul_u32_u24_e32 v24, 3, v21
	v_min_u32_e32 v22, 0x300, v24
	v_min_u32_e32 v46, 0x2e8, v24
	;; [unrolled: 1-line block ×3, first 2 shown]
	v_add_u32_e32 v23, 24, v46
	v_add_u32_e32 v24, 48, v24
	v_mul_u32_u24_e32 v21, 3, v27
	v_sub_u32_e32 v25, v24, v23
	v_sub_u32_e32 v28, v21, v25
	v_cmp_ge_i32_e64 s[4:5], v21, v25
	v_and_b32_e32 v51, 0x7f, v0
	v_lshl_add_u32 v46, v46, 2, v50
	v_cndmask_b32_e64 v25, 0, v28, s[4:5]
	v_and_b32_e32 v28, 0xe0, v0
	v_mul_u32_u24_e32 v31, 3, v28
	v_min_u32_e32 v29, 0x300, v31
	v_min_u32_e32 v47, 0x2d0, v31
	;; [unrolled: 1-line block ×3, first 2 shown]
	v_add_u32_e32 v30, 48, v47
	v_add_u32_e32 v31, 0x60, v31
	v_mul_u32_u24_e32 v28, 3, v34
	v_sub_u32_e32 v32, v31, v30
	v_sub_u32_e32 v35, v28, v32
	v_cmp_ge_i32_e64 s[6:7], v28, v32
	v_mov_b32_e32 v50, 0xc0
	v_lshl_add_u32 v47, v47, 2, v50
	v_cndmask_b32_e64 v32, 0, v35, s[6:7]
	v_and_b32_e32 v35, 0xc0, v0
	v_mul_u32_u24_e32 v38, 3, v35
	v_min_u32_e32 v36, 0x300, v38
	v_min_u32_e32 v59, 0x2a0, v38
	;; [unrolled: 1-line block ×3, first 2 shown]
	v_add_u32_e32 v37, 0x60, v59
	v_add_u32_e32 v38, 0xc0, v38
	v_mul_u32_u24_e32 v35, 3, v41
	v_sub_u32_e32 v39, v38, v37
	v_sub_u32_e32 v42, v35, v39
	v_cmp_ge_i32_e64 s[8:9], v35, v39
	v_mov_b32_e32 v50, 0x300
	v_sub_u32_e32 v6, v3, v2
	v_cndmask_b32_e64 v39, 0, v42, s[8:9]
	v_and_b32_e32 v42, 0x80, v0
	v_mul_u32_u24_e32 v45, 3, v42
	v_min_u32_e32 v43, 0x300, v45
	v_min_u32_e32 v48, 0x240, v45
	v_min_u32_e32 v45, 0x180, v45
	v_add_u32_e32 v44, 0xc0, v48
	v_add_u32_e32 v45, 0x180, v45
	v_mul_u32_u24_e32 v42, 3, v51
	v_sub_u32_e32 v49, v45, v44
	v_lshl_add_u32 v48, v48, 2, v50
	v_sub_u32_e32 v50, v42, v49
	v_sub_u32_e32 v52, v44, v43
	v_cmp_ge_i32_e64 s[10:11], v42, v49
	v_sub_u32_e32 v12, v9, v8
	v_sub_u32_e32 v19, v16, v15
	;; [unrolled: 1-line block ×5, first 2 shown]
	v_cndmask_b32_e64 v49, 0, v50, s[10:11]
	v_min_i32_e32 v50, v42, v52
	v_mul_u32_u24_e32 v52, 3, v0
	v_mov_b32_e32 v53, 0x180
	v_min_i32_e32 v6, v1, v6
	v_min_i32_e32 v12, v7, v12
	v_min_i32_e32 v19, v14, v19
	v_min_i32_e32 v26, v21, v26
	v_min_i32_e32 v33, v28, v33
	v_min_i32_e32 v40, v35, v40
	v_sub_u32_e64 v54, v52, v53 clamp
	v_min_i32_e32 v55, 0x180, v52
	s_movk_i32 s33, 0x300
	v_cmp_lt_i32_e32 vcc, v5, v6
	v_cmp_lt_i32_e64 s[0:1], v11, v12
	v_mad_u32_u24 v13, v13, 3, v9
	v_cmp_lt_i32_e64 s[2:3], v18, v19
	v_mad_u32_u24 v20, v20, 3, v16
	;; [unrolled: 2-line block ×6, first 2 shown]
	v_cmp_lt_i32_e64 s[12:13], v54, v55
	v_lshl_add_u32 v56, v56, 2, 12
	v_lshl_add_u32 v57, v57, 2, 24
	;; [unrolled: 1-line block ×4, first 2 shown]
	s_waitcnt vmcnt(2)
	v_add_u32_e32 v72, 1, v75
	s_waitcnt vmcnt(1)
	v_add_u32_e32 v74, 1, v76
	;; [unrolled: 2-line block ×3, first 2 shown]
	v_lshlrev_b32_e32 v60, 2, v52
	v_lshlrev_b32_e32 v61, 2, v2
	v_add_u32_e32 v62, v3, v1
	v_lshlrev_b32_e32 v63, 2, v8
	v_lshlrev_b32_e32 v64, 2, v15
	;; [unrolled: 1-line block ×6, first 2 shown]
	v_mad_u32_u24 v69, v0, 3, v53
	v_mov_b32_e32 v70, 0x600
	s_branch .LBB25_2
.LBB25_1:                               ;   in Loop: Header=BB25_2 Depth=1
	s_or_b64 exec, exec, s[18:19]
	v_cmp_ge_i32_e64 s[20:21], v82, v53
	s_waitcnt lgkmcnt(0)
	v_cmp_lt_i32_e64 s[22:23], v85, v83
	v_cmp_gt_i32_e64 s[18:19], s33, v80
	s_or_b64 s[20:21], s[20:21], s[22:23]
	v_cndmask_b32_e64 v79, v71, v79, s[14:15]
	s_and_b64 s[18:19], s[18:19], s[20:21]
	v_cndmask_b32_e64 v80, v82, v80, s[18:19]
	s_barrier
	ds_write2_b32 v60, v72, v73 offset1:1
	ds_write_b32 v60, v74 offset:8
	v_lshlrev_b32_e32 v72, 2, v79
	v_lshlrev_b32_e32 v73, 2, v84
	s_waitcnt lgkmcnt(0)
	s_barrier
	v_lshlrev_b32_e32 v79, 2, v80
	ds_read_b32 v72, v72
	ds_read_b32 v74, v73
	;; [unrolled: 1-line block ×3, first 2 shown]
	s_add_i32 s37, s37, 1
	v_cndmask_b32_e64 v71, v83, v85, s[18:19]
	v_cndmask_b32_e64 v75, v75, v76, s[14:15]
	s_cmp_eq_u32 s37, 10
	v_cndmask_b32_e64 v76, v78, v77, s[16:17]
	s_cbranch_scc1 .LBB25_98
.LBB25_2:                               ; =>This Loop Header: Depth=1
                                        ;     Child Loop BB25_4 Depth 2
                                        ;     Child Loop BB25_16 Depth 2
	;; [unrolled: 1-line block ×8, first 2 shown]
	v_cmp_lt_i32_e64 s[14:15], v76, v75
	s_barrier
	s_nop 0
	v_cndmask_b32_e64 v77, v75, v76, s[14:15]
	v_cndmask_b32_e64 v78, v76, v75, s[14:15]
	v_max_i32_e32 v75, v76, v75
	v_cmp_lt_i32_e64 s[16:17], v71, v75
	s_nop 1
	v_cndmask_b32_e64 v76, v71, v75, s[16:17]
	v_cndmask_b32_e64 v78, v78, v71, s[16:17]
	v_min_i32_e32 v71, v71, v75
	v_cmp_lt_i32_e64 s[18:19], v71, v77
	s_nop 1
	v_cndmask_b32_e64 v75, v78, v77, s[18:19]
	v_cndmask_b32_e64 v71, v77, v71, s[18:19]
	ds_write2_b32 v60, v71, v75 offset1:1
	ds_write_b32 v60, v76 offset:8
	v_mov_b32_e32 v76, v5
	s_waitcnt lgkmcnt(0)
	s_barrier
	s_and_saveexec_b64 s[22:23], vcc
	s_cbranch_execz .LBB25_6
; %bb.3:                                ;   in Loop: Header=BB25_2 Depth=1
	s_mov_b64 s[24:25], 0
	v_mov_b32_e32 v76, v5
	v_mov_b32_e32 v71, v6
.LBB25_4:                               ;   Parent Loop BB25_2 Depth=1
                                        ; =>  This Inner Loop Header: Depth=2
	v_sub_u32_e32 v75, v71, v76
	v_lshrrev_b32_e32 v77, 31, v75
	v_add_u32_e32 v75, v75, v77
	v_ashrrev_i32_e32 v75, 1, v75
	v_add_u32_e32 v75, v75, v76
	v_xad_u32 v78, v75, -1, v1
	v_lshl_add_u32 v77, v75, 2, v61
	v_lshl_add_u32 v78, v78, 2, v56
	ds_read_b32 v77, v77
	ds_read_b32 v78, v78
	v_add_u32_e32 v79, 1, v75
	s_waitcnt lgkmcnt(0)
	v_cmp_lt_i32_e64 s[20:21], v78, v77
	s_nop 1
	v_cndmask_b32_e64 v71, v71, v75, s[20:21]
	v_cndmask_b32_e64 v76, v79, v76, s[20:21]
	v_cmp_ge_i32_e64 s[20:21], v76, v71
	s_or_b64 s[24:25], s[20:21], s[24:25]
	s_andn2_b64 exec, exec, s[24:25]
	s_cbranch_execnz .LBB25_4
; %bb.5:                                ;   in Loop: Header=BB25_2 Depth=1
	s_or_b64 exec, exec, s[24:25]
.LBB25_6:                               ;   in Loop: Header=BB25_2 Depth=1
	s_or_b64 exec, exec, s[22:23]
	v_sub_u32_e32 v71, v62, v76
	v_lshl_add_u32 v81, v76, 2, v61
	v_lshlrev_b32_e32 v80, 2, v71
	ds_read_b32 v75, v81
	ds_read_b32 v77, v80
	v_add_u32_e32 v76, v76, v2
	v_cmp_le_i32_e64 s[22:23], v3, v76
	v_cmp_gt_i32_e64 s[20:21], v4, v71
                                        ; implicit-def: $vgpr78
                                        ; implicit-def: $vgpr79
	s_waitcnt lgkmcnt(0)
	v_cmp_lt_i32_e64 s[24:25], v77, v75
	s_or_b64 s[22:23], s[22:23], s[24:25]
	s_and_b64 s[20:21], s[20:21], s[22:23]
	s_xor_b64 s[22:23], s[20:21], -1
	s_and_saveexec_b64 s[24:25], s[22:23]
	s_xor_b64 s[22:23], exec, s[24:25]
	s_cbranch_execz .LBB25_8
; %bb.7:                                ;   in Loop: Header=BB25_2 Depth=1
	ds_read_b32 v79, v81 offset:4
	v_mov_b32_e32 v78, v77
                                        ; implicit-def: $vgpr80
.LBB25_8:                               ;   in Loop: Header=BB25_2 Depth=1
	s_andn2_saveexec_b64 s[22:23], s[22:23]
	s_cbranch_execz .LBB25_10
; %bb.9:                                ;   in Loop: Header=BB25_2 Depth=1
	ds_read_b32 v78, v80 offset:4
	s_waitcnt lgkmcnt(1)
	v_mov_b32_e32 v79, v75
.LBB25_10:                              ;   in Loop: Header=BB25_2 Depth=1
	s_or_b64 exec, exec, s[22:23]
	v_add_u32_e32 v81, 1, v76
	v_add_u32_e32 v80, 1, v71
	v_cndmask_b32_e64 v82, v81, v76, s[20:21]
	v_cndmask_b32_e64 v80, v71, v80, s[20:21]
	v_cmp_ge_i32_e64 s[24:25], v82, v3
	s_waitcnt lgkmcnt(0)
	v_cmp_lt_i32_e64 s[26:27], v78, v79
	v_cmp_lt_i32_e64 s[22:23], v80, v4
	s_or_b64 s[24:25], s[24:25], s[26:27]
	s_and_b64 s[22:23], s[22:23], s[24:25]
	s_xor_b64 s[24:25], s[22:23], -1
                                        ; implicit-def: $vgpr81
	s_and_saveexec_b64 s[26:27], s[24:25]
	s_xor_b64 s[24:25], exec, s[26:27]
	s_cbranch_execz .LBB25_12
; %bb.11:                               ;   in Loop: Header=BB25_2 Depth=1
	v_lshlrev_b32_e32 v81, 2, v82
	ds_read_b32 v81, v81 offset:4
.LBB25_12:                              ;   in Loop: Header=BB25_2 Depth=1
	s_or_saveexec_b64 s[24:25], s[24:25]
	v_mov_b32_e32 v83, v78
	s_xor_b64 exec, exec, s[24:25]
	s_cbranch_execz .LBB25_14
; %bb.13:                               ;   in Loop: Header=BB25_2 Depth=1
	s_waitcnt lgkmcnt(0)
	v_lshlrev_b32_e32 v81, 2, v80
	ds_read_b32 v83, v81 offset:4
	v_mov_b32_e32 v81, v79
.LBB25_14:                              ;   in Loop: Header=BB25_2 Depth=1
	s_or_b64 exec, exec, s[24:25]
	v_add_u32_e32 v84, 1, v82
	v_cndmask_b32_e64 v71, v76, v71, s[20:21]
	v_cndmask_b32_e64 v76, v72, v74, s[14:15]
	;; [unrolled: 1-line block ×4, first 2 shown]
	v_add_u32_e32 v79, 1, v80
	v_cndmask_b32_e64 v84, v84, v82, s[22:23]
	v_cndmask_b32_e64 v74, v73, v72, s[16:17]
	;; [unrolled: 1-line block ×6, first 2 shown]
	v_cmp_ge_i32_e64 s[16:17], v84, v3
	s_waitcnt lgkmcnt(0)
	v_cmp_lt_i32_e64 s[18:19], v83, v81
	v_cmp_lt_i32_e64 s[14:15], v79, v4
	s_or_b64 s[16:17], s[16:17], s[18:19]
	s_and_b64 s[14:15], s[14:15], s[16:17]
	v_cndmask_b32_e64 v80, v82, v80, s[22:23]
	v_cndmask_b32_e64 v75, v75, v77, s[20:21]
	;; [unrolled: 1-line block ×3, first 2 shown]
	s_barrier
	ds_write2_b32 v60, v72, v73 offset1:1
	ds_write_b32 v60, v74 offset:8
	v_lshlrev_b32_e32 v71, 2, v71
	v_lshlrev_b32_e32 v72, 2, v80
	;; [unrolled: 1-line block ×3, first 2 shown]
	s_waitcnt lgkmcnt(0)
	s_barrier
	ds_read_b32 v71, v71
	ds_read_b32 v72, v72
	ds_read_b32 v73, v73
	v_cndmask_b32_e64 v76, v81, v83, s[14:15]
	s_waitcnt lgkmcnt(0)
	s_barrier
	ds_write2_b32 v60, v75, v78 offset1:1
	ds_write_b32 v60, v76 offset:8
	v_mov_b32_e32 v76, v11
	s_waitcnt lgkmcnt(0)
	s_barrier
	s_and_saveexec_b64 s[16:17], s[0:1]
	s_cbranch_execz .LBB25_18
; %bb.15:                               ;   in Loop: Header=BB25_2 Depth=1
	s_mov_b64 s[18:19], 0
	v_mov_b32_e32 v76, v11
	v_mov_b32_e32 v74, v12
.LBB25_16:                              ;   Parent Loop BB25_2 Depth=1
                                        ; =>  This Inner Loop Header: Depth=2
	v_sub_u32_e32 v75, v74, v76
	v_lshrrev_b32_e32 v77, 31, v75
	v_add_u32_e32 v75, v75, v77
	v_ashrrev_i32_e32 v75, 1, v75
	v_add_u32_e32 v75, v75, v76
	v_xad_u32 v78, v75, -1, v7
	v_lshl_add_u32 v77, v75, 2, v63
	v_lshl_add_u32 v78, v78, 2, v57
	ds_read_b32 v77, v77
	ds_read_b32 v78, v78
	v_add_u32_e32 v79, 1, v75
	s_waitcnt lgkmcnt(0)
	v_cmp_lt_i32_e64 s[14:15], v78, v77
	s_nop 1
	v_cndmask_b32_e64 v74, v74, v75, s[14:15]
	v_cndmask_b32_e64 v76, v79, v76, s[14:15]
	v_cmp_ge_i32_e64 s[14:15], v76, v74
	s_or_b64 s[18:19], s[14:15], s[18:19]
	s_andn2_b64 exec, exec, s[18:19]
	s_cbranch_execnz .LBB25_16
; %bb.17:                               ;   in Loop: Header=BB25_2 Depth=1
	s_or_b64 exec, exec, s[18:19]
.LBB25_18:                              ;   in Loop: Header=BB25_2 Depth=1
	s_or_b64 exec, exec, s[16:17]
	v_sub_u32_e32 v74, v13, v76
	v_lshl_add_u32 v81, v76, 2, v63
	v_lshlrev_b32_e32 v80, 2, v74
	ds_read_b32 v75, v81
	ds_read_b32 v77, v80
	v_add_u32_e32 v76, v76, v8
	v_cmp_le_i32_e64 s[16:17], v9, v76
	v_cmp_gt_i32_e64 s[14:15], v10, v74
                                        ; implicit-def: $vgpr78
                                        ; implicit-def: $vgpr79
	s_waitcnt lgkmcnt(0)
	v_cmp_lt_i32_e64 s[18:19], v77, v75
	s_or_b64 s[16:17], s[16:17], s[18:19]
	s_and_b64 s[14:15], s[14:15], s[16:17]
	s_xor_b64 s[16:17], s[14:15], -1
	s_and_saveexec_b64 s[18:19], s[16:17]
	s_xor_b64 s[16:17], exec, s[18:19]
	s_cbranch_execz .LBB25_20
; %bb.19:                               ;   in Loop: Header=BB25_2 Depth=1
	ds_read_b32 v79, v81 offset:4
	v_mov_b32_e32 v78, v77
                                        ; implicit-def: $vgpr80
.LBB25_20:                              ;   in Loop: Header=BB25_2 Depth=1
	s_andn2_saveexec_b64 s[16:17], s[16:17]
	s_cbranch_execz .LBB25_22
; %bb.21:                               ;   in Loop: Header=BB25_2 Depth=1
	ds_read_b32 v78, v80 offset:4
	s_waitcnt lgkmcnt(1)
	v_mov_b32_e32 v79, v75
.LBB25_22:                              ;   in Loop: Header=BB25_2 Depth=1
	s_or_b64 exec, exec, s[16:17]
	v_add_u32_e32 v81, 1, v76
	v_add_u32_e32 v80, 1, v74
	v_cndmask_b32_e64 v81, v81, v76, s[14:15]
	v_cndmask_b32_e64 v80, v74, v80, s[14:15]
	v_cmp_ge_i32_e64 s[18:19], v81, v9
	s_waitcnt lgkmcnt(0)
	v_cmp_lt_i32_e64 s[20:21], v78, v79
	v_cmp_lt_i32_e64 s[16:17], v80, v10
	s_or_b64 s[18:19], s[18:19], s[20:21]
	s_and_b64 s[16:17], s[16:17], s[18:19]
	s_xor_b64 s[18:19], s[16:17], -1
                                        ; implicit-def: $vgpr82
	s_and_saveexec_b64 s[20:21], s[18:19]
	s_xor_b64 s[18:19], exec, s[20:21]
	s_cbranch_execz .LBB25_24
; %bb.23:                               ;   in Loop: Header=BB25_2 Depth=1
	v_lshlrev_b32_e32 v82, 2, v81
	ds_read_b32 v82, v82 offset:4
.LBB25_24:                              ;   in Loop: Header=BB25_2 Depth=1
	s_or_saveexec_b64 s[18:19], s[18:19]
	v_mov_b32_e32 v83, v78
	s_xor_b64 exec, exec, s[18:19]
	s_cbranch_execz .LBB25_26
; %bb.25:                               ;   in Loop: Header=BB25_2 Depth=1
	s_waitcnt lgkmcnt(0)
	v_lshlrev_b32_e32 v82, 2, v80
	ds_read_b32 v83, v82 offset:4
	v_mov_b32_e32 v82, v79
.LBB25_26:                              ;   in Loop: Header=BB25_2 Depth=1
	s_or_b64 exec, exec, s[18:19]
	v_add_u32_e32 v84, 1, v81
	v_cndmask_b32_e64 v78, v79, v78, s[16:17]
	v_add_u32_e32 v79, 1, v80
	v_cndmask_b32_e64 v84, v84, v81, s[16:17]
	v_cndmask_b32_e64 v79, v80, v79, s[16:17]
	v_cndmask_b32_e64 v80, v81, v80, s[16:17]
	v_cmp_ge_i32_e64 s[16:17], v84, v9
	s_waitcnt lgkmcnt(0)
	v_cmp_lt_i32_e64 s[18:19], v83, v82
	v_cndmask_b32_e64 v75, v75, v77, s[14:15]
	v_cndmask_b32_e64 v74, v76, v74, s[14:15]
	v_cmp_lt_i32_e64 s[14:15], v79, v10
	s_or_b64 s[16:17], s[16:17], s[18:19]
	s_and_b64 s[14:15], s[14:15], s[16:17]
	v_cndmask_b32_e64 v77, v84, v79, s[14:15]
	s_barrier
	ds_write2_b32 v60, v71, v72 offset1:1
	ds_write_b32 v60, v73 offset:8
	v_lshlrev_b32_e32 v71, 2, v74
	v_lshlrev_b32_e32 v72, 2, v80
	;; [unrolled: 1-line block ×3, first 2 shown]
	s_waitcnt lgkmcnt(0)
	s_barrier
	ds_read_b32 v71, v71
	ds_read_b32 v72, v72
	;; [unrolled: 1-line block ×3, first 2 shown]
	v_cndmask_b32_e64 v76, v82, v83, s[14:15]
	s_waitcnt lgkmcnt(0)
	s_barrier
	ds_write2_b32 v60, v75, v78 offset1:1
	ds_write_b32 v60, v76 offset:8
	v_mov_b32_e32 v76, v18
	s_waitcnt lgkmcnt(0)
	s_barrier
	s_and_saveexec_b64 s[16:17], s[2:3]
	s_cbranch_execz .LBB25_30
; %bb.27:                               ;   in Loop: Header=BB25_2 Depth=1
	s_mov_b64 s[18:19], 0
	v_mov_b32_e32 v76, v18
	v_mov_b32_e32 v74, v19
.LBB25_28:                              ;   Parent Loop BB25_2 Depth=1
                                        ; =>  This Inner Loop Header: Depth=2
	v_sub_u32_e32 v75, v74, v76
	v_lshrrev_b32_e32 v77, 31, v75
	v_add_u32_e32 v75, v75, v77
	v_ashrrev_i32_e32 v75, 1, v75
	v_add_u32_e32 v75, v75, v76
	v_xad_u32 v78, v75, -1, v14
	v_lshl_add_u32 v77, v75, 2, v64
	v_lshl_add_u32 v78, v78, 2, v58
	ds_read_b32 v77, v77
	ds_read_b32 v78, v78
	v_add_u32_e32 v79, 1, v75
	s_waitcnt lgkmcnt(0)
	v_cmp_lt_i32_e64 s[14:15], v78, v77
	s_nop 1
	v_cndmask_b32_e64 v74, v74, v75, s[14:15]
	v_cndmask_b32_e64 v76, v79, v76, s[14:15]
	v_cmp_ge_i32_e64 s[14:15], v76, v74
	s_or_b64 s[18:19], s[14:15], s[18:19]
	s_andn2_b64 exec, exec, s[18:19]
	s_cbranch_execnz .LBB25_28
; %bb.29:                               ;   in Loop: Header=BB25_2 Depth=1
	s_or_b64 exec, exec, s[18:19]
.LBB25_30:                              ;   in Loop: Header=BB25_2 Depth=1
	s_or_b64 exec, exec, s[16:17]
	v_sub_u32_e32 v74, v20, v76
	v_lshl_add_u32 v81, v76, 2, v64
	v_lshlrev_b32_e32 v80, 2, v74
	ds_read_b32 v75, v81
	ds_read_b32 v77, v80
	v_add_u32_e32 v76, v76, v15
	v_cmp_le_i32_e64 s[16:17], v16, v76
	v_cmp_gt_i32_e64 s[14:15], v17, v74
                                        ; implicit-def: $vgpr78
                                        ; implicit-def: $vgpr79
	s_waitcnt lgkmcnt(0)
	v_cmp_lt_i32_e64 s[18:19], v77, v75
	s_or_b64 s[16:17], s[16:17], s[18:19]
	s_and_b64 s[14:15], s[14:15], s[16:17]
	s_xor_b64 s[16:17], s[14:15], -1
	s_and_saveexec_b64 s[18:19], s[16:17]
	s_xor_b64 s[16:17], exec, s[18:19]
	s_cbranch_execz .LBB25_32
; %bb.31:                               ;   in Loop: Header=BB25_2 Depth=1
	ds_read_b32 v79, v81 offset:4
	v_mov_b32_e32 v78, v77
                                        ; implicit-def: $vgpr80
.LBB25_32:                              ;   in Loop: Header=BB25_2 Depth=1
	s_andn2_saveexec_b64 s[16:17], s[16:17]
	s_cbranch_execz .LBB25_34
; %bb.33:                               ;   in Loop: Header=BB25_2 Depth=1
	ds_read_b32 v78, v80 offset:4
	s_waitcnt lgkmcnt(1)
	v_mov_b32_e32 v79, v75
.LBB25_34:                              ;   in Loop: Header=BB25_2 Depth=1
	s_or_b64 exec, exec, s[16:17]
	v_add_u32_e32 v81, 1, v76
	v_add_u32_e32 v80, 1, v74
	v_cndmask_b32_e64 v81, v81, v76, s[14:15]
	v_cndmask_b32_e64 v80, v74, v80, s[14:15]
	v_cmp_ge_i32_e64 s[18:19], v81, v16
	s_waitcnt lgkmcnt(0)
	v_cmp_lt_i32_e64 s[20:21], v78, v79
	v_cmp_lt_i32_e64 s[16:17], v80, v17
	s_or_b64 s[18:19], s[18:19], s[20:21]
	s_and_b64 s[16:17], s[16:17], s[18:19]
	s_xor_b64 s[18:19], s[16:17], -1
                                        ; implicit-def: $vgpr82
	s_and_saveexec_b64 s[20:21], s[18:19]
	s_xor_b64 s[18:19], exec, s[20:21]
	s_cbranch_execz .LBB25_36
; %bb.35:                               ;   in Loop: Header=BB25_2 Depth=1
	v_lshlrev_b32_e32 v82, 2, v81
	ds_read_b32 v82, v82 offset:4
.LBB25_36:                              ;   in Loop: Header=BB25_2 Depth=1
	s_or_saveexec_b64 s[18:19], s[18:19]
	v_mov_b32_e32 v83, v78
	s_xor_b64 exec, exec, s[18:19]
	s_cbranch_execz .LBB25_38
; %bb.37:                               ;   in Loop: Header=BB25_2 Depth=1
	s_waitcnt lgkmcnt(0)
	v_lshlrev_b32_e32 v82, 2, v80
	ds_read_b32 v83, v82 offset:4
	v_mov_b32_e32 v82, v79
.LBB25_38:                              ;   in Loop: Header=BB25_2 Depth=1
	s_or_b64 exec, exec, s[18:19]
	v_add_u32_e32 v84, 1, v81
	v_cndmask_b32_e64 v78, v79, v78, s[16:17]
	v_add_u32_e32 v79, 1, v80
	v_cndmask_b32_e64 v84, v84, v81, s[16:17]
	v_cndmask_b32_e64 v79, v80, v79, s[16:17]
	;; [unrolled: 1-line block ×3, first 2 shown]
	v_cmp_ge_i32_e64 s[16:17], v84, v16
	s_waitcnt lgkmcnt(0)
	v_cmp_lt_i32_e64 s[18:19], v83, v82
	v_cndmask_b32_e64 v75, v75, v77, s[14:15]
	v_cndmask_b32_e64 v74, v76, v74, s[14:15]
	v_cmp_lt_i32_e64 s[14:15], v79, v17
	s_or_b64 s[16:17], s[16:17], s[18:19]
	s_and_b64 s[14:15], s[14:15], s[16:17]
	v_cndmask_b32_e64 v77, v84, v79, s[14:15]
	s_barrier
	ds_write2_b32 v60, v71, v72 offset1:1
	ds_write_b32 v60, v73 offset:8
	v_lshlrev_b32_e32 v71, 2, v74
	v_lshlrev_b32_e32 v72, 2, v80
	;; [unrolled: 1-line block ×3, first 2 shown]
	s_waitcnt lgkmcnt(0)
	s_barrier
	ds_read_b32 v71, v71
	ds_read_b32 v72, v72
	;; [unrolled: 1-line block ×3, first 2 shown]
	v_cndmask_b32_e64 v76, v82, v83, s[14:15]
	s_waitcnt lgkmcnt(0)
	s_barrier
	ds_write2_b32 v60, v75, v78 offset1:1
	ds_write_b32 v60, v76 offset:8
	v_mov_b32_e32 v76, v25
	s_waitcnt lgkmcnt(0)
	s_barrier
	s_and_saveexec_b64 s[16:17], s[4:5]
	s_cbranch_execz .LBB25_42
; %bb.39:                               ;   in Loop: Header=BB25_2 Depth=1
	s_mov_b64 s[18:19], 0
	v_mov_b32_e32 v76, v25
	v_mov_b32_e32 v74, v26
.LBB25_40:                              ;   Parent Loop BB25_2 Depth=1
                                        ; =>  This Inner Loop Header: Depth=2
	v_sub_u32_e32 v75, v74, v76
	v_lshrrev_b32_e32 v77, 31, v75
	v_add_u32_e32 v75, v75, v77
	v_ashrrev_i32_e32 v75, 1, v75
	v_add_u32_e32 v75, v75, v76
	v_xad_u32 v78, v75, -1, v21
	v_lshl_add_u32 v77, v75, 2, v65
	v_lshl_add_u32 v78, v78, 2, v46
	ds_read_b32 v77, v77
	ds_read_b32 v78, v78
	v_add_u32_e32 v79, 1, v75
	s_waitcnt lgkmcnt(0)
	v_cmp_lt_i32_e64 s[14:15], v78, v77
	s_nop 1
	v_cndmask_b32_e64 v74, v74, v75, s[14:15]
	v_cndmask_b32_e64 v76, v79, v76, s[14:15]
	v_cmp_ge_i32_e64 s[14:15], v76, v74
	s_or_b64 s[18:19], s[14:15], s[18:19]
	s_andn2_b64 exec, exec, s[18:19]
	s_cbranch_execnz .LBB25_40
; %bb.41:                               ;   in Loop: Header=BB25_2 Depth=1
	s_or_b64 exec, exec, s[18:19]
.LBB25_42:                              ;   in Loop: Header=BB25_2 Depth=1
	s_or_b64 exec, exec, s[16:17]
	v_sub_u32_e32 v74, v27, v76
	v_lshl_add_u32 v81, v76, 2, v65
	v_lshlrev_b32_e32 v80, 2, v74
	ds_read_b32 v75, v81
	ds_read_b32 v77, v80
	v_add_u32_e32 v76, v76, v22
	v_cmp_le_i32_e64 s[16:17], v23, v76
	v_cmp_gt_i32_e64 s[14:15], v24, v74
                                        ; implicit-def: $vgpr78
                                        ; implicit-def: $vgpr79
	s_waitcnt lgkmcnt(0)
	v_cmp_lt_i32_e64 s[18:19], v77, v75
	s_or_b64 s[16:17], s[16:17], s[18:19]
	s_and_b64 s[14:15], s[14:15], s[16:17]
	s_xor_b64 s[16:17], s[14:15], -1
	s_and_saveexec_b64 s[18:19], s[16:17]
	s_xor_b64 s[16:17], exec, s[18:19]
	s_cbranch_execz .LBB25_44
; %bb.43:                               ;   in Loop: Header=BB25_2 Depth=1
	ds_read_b32 v79, v81 offset:4
	v_mov_b32_e32 v78, v77
                                        ; implicit-def: $vgpr80
.LBB25_44:                              ;   in Loop: Header=BB25_2 Depth=1
	s_andn2_saveexec_b64 s[16:17], s[16:17]
	s_cbranch_execz .LBB25_46
; %bb.45:                               ;   in Loop: Header=BB25_2 Depth=1
	ds_read_b32 v78, v80 offset:4
	s_waitcnt lgkmcnt(1)
	v_mov_b32_e32 v79, v75
.LBB25_46:                              ;   in Loop: Header=BB25_2 Depth=1
	s_or_b64 exec, exec, s[16:17]
	v_add_u32_e32 v81, 1, v76
	v_add_u32_e32 v80, 1, v74
	v_cndmask_b32_e64 v81, v81, v76, s[14:15]
	v_cndmask_b32_e64 v80, v74, v80, s[14:15]
	v_cmp_ge_i32_e64 s[18:19], v81, v23
	s_waitcnt lgkmcnt(0)
	v_cmp_lt_i32_e64 s[20:21], v78, v79
	v_cmp_lt_i32_e64 s[16:17], v80, v24
	s_or_b64 s[18:19], s[18:19], s[20:21]
	s_and_b64 s[16:17], s[16:17], s[18:19]
	s_xor_b64 s[18:19], s[16:17], -1
                                        ; implicit-def: $vgpr82
	s_and_saveexec_b64 s[20:21], s[18:19]
	s_xor_b64 s[18:19], exec, s[20:21]
	s_cbranch_execz .LBB25_48
; %bb.47:                               ;   in Loop: Header=BB25_2 Depth=1
	v_lshlrev_b32_e32 v82, 2, v81
	ds_read_b32 v82, v82 offset:4
.LBB25_48:                              ;   in Loop: Header=BB25_2 Depth=1
	s_or_saveexec_b64 s[18:19], s[18:19]
	v_mov_b32_e32 v83, v78
	s_xor_b64 exec, exec, s[18:19]
	s_cbranch_execz .LBB25_50
; %bb.49:                               ;   in Loop: Header=BB25_2 Depth=1
	s_waitcnt lgkmcnt(0)
	v_lshlrev_b32_e32 v82, 2, v80
	ds_read_b32 v83, v82 offset:4
	v_mov_b32_e32 v82, v79
.LBB25_50:                              ;   in Loop: Header=BB25_2 Depth=1
	s_or_b64 exec, exec, s[18:19]
	v_add_u32_e32 v84, 1, v81
	v_cndmask_b32_e64 v78, v79, v78, s[16:17]
	v_add_u32_e32 v79, 1, v80
	v_cndmask_b32_e64 v84, v84, v81, s[16:17]
	v_cndmask_b32_e64 v79, v80, v79, s[16:17]
	;; [unrolled: 1-line block ×3, first 2 shown]
	v_cmp_ge_i32_e64 s[16:17], v84, v23
	s_waitcnt lgkmcnt(0)
	v_cmp_lt_i32_e64 s[18:19], v83, v82
	v_cndmask_b32_e64 v75, v75, v77, s[14:15]
	v_cndmask_b32_e64 v74, v76, v74, s[14:15]
	v_cmp_lt_i32_e64 s[14:15], v79, v24
	s_or_b64 s[16:17], s[16:17], s[18:19]
	s_and_b64 s[14:15], s[14:15], s[16:17]
	v_cndmask_b32_e64 v77, v84, v79, s[14:15]
	s_barrier
	ds_write2_b32 v60, v71, v72 offset1:1
	ds_write_b32 v60, v73 offset:8
	v_lshlrev_b32_e32 v71, 2, v74
	v_lshlrev_b32_e32 v72, 2, v80
	;; [unrolled: 1-line block ×3, first 2 shown]
	s_waitcnt lgkmcnt(0)
	s_barrier
	ds_read_b32 v71, v71
	ds_read_b32 v72, v72
	;; [unrolled: 1-line block ×3, first 2 shown]
	v_cndmask_b32_e64 v76, v82, v83, s[14:15]
	s_waitcnt lgkmcnt(0)
	s_barrier
	ds_write2_b32 v60, v75, v78 offset1:1
	ds_write_b32 v60, v76 offset:8
	v_mov_b32_e32 v76, v32
	s_waitcnt lgkmcnt(0)
	s_barrier
	s_and_saveexec_b64 s[16:17], s[6:7]
	s_cbranch_execz .LBB25_54
; %bb.51:                               ;   in Loop: Header=BB25_2 Depth=1
	s_mov_b64 s[18:19], 0
	v_mov_b32_e32 v76, v32
	v_mov_b32_e32 v74, v33
.LBB25_52:                              ;   Parent Loop BB25_2 Depth=1
                                        ; =>  This Inner Loop Header: Depth=2
	v_sub_u32_e32 v75, v74, v76
	v_lshrrev_b32_e32 v77, 31, v75
	v_add_u32_e32 v75, v75, v77
	v_ashrrev_i32_e32 v75, 1, v75
	v_add_u32_e32 v75, v75, v76
	v_xad_u32 v78, v75, -1, v28
	v_lshl_add_u32 v77, v75, 2, v66
	v_lshl_add_u32 v78, v78, 2, v47
	ds_read_b32 v77, v77
	ds_read_b32 v78, v78
	v_add_u32_e32 v79, 1, v75
	s_waitcnt lgkmcnt(0)
	v_cmp_lt_i32_e64 s[14:15], v78, v77
	s_nop 1
	v_cndmask_b32_e64 v74, v74, v75, s[14:15]
	v_cndmask_b32_e64 v76, v79, v76, s[14:15]
	v_cmp_ge_i32_e64 s[14:15], v76, v74
	s_or_b64 s[18:19], s[14:15], s[18:19]
	s_andn2_b64 exec, exec, s[18:19]
	s_cbranch_execnz .LBB25_52
; %bb.53:                               ;   in Loop: Header=BB25_2 Depth=1
	s_or_b64 exec, exec, s[18:19]
.LBB25_54:                              ;   in Loop: Header=BB25_2 Depth=1
	s_or_b64 exec, exec, s[16:17]
	v_sub_u32_e32 v74, v34, v76
	v_lshl_add_u32 v81, v76, 2, v66
	v_lshlrev_b32_e32 v80, 2, v74
	ds_read_b32 v75, v81
	ds_read_b32 v77, v80
	v_add_u32_e32 v76, v76, v29
	v_cmp_le_i32_e64 s[16:17], v30, v76
	v_cmp_gt_i32_e64 s[14:15], v31, v74
                                        ; implicit-def: $vgpr78
                                        ; implicit-def: $vgpr79
	s_waitcnt lgkmcnt(0)
	v_cmp_lt_i32_e64 s[18:19], v77, v75
	s_or_b64 s[16:17], s[16:17], s[18:19]
	s_and_b64 s[14:15], s[14:15], s[16:17]
	s_xor_b64 s[16:17], s[14:15], -1
	s_and_saveexec_b64 s[18:19], s[16:17]
	s_xor_b64 s[16:17], exec, s[18:19]
	s_cbranch_execz .LBB25_56
; %bb.55:                               ;   in Loop: Header=BB25_2 Depth=1
	ds_read_b32 v79, v81 offset:4
	v_mov_b32_e32 v78, v77
                                        ; implicit-def: $vgpr80
.LBB25_56:                              ;   in Loop: Header=BB25_2 Depth=1
	s_andn2_saveexec_b64 s[16:17], s[16:17]
	s_cbranch_execz .LBB25_58
; %bb.57:                               ;   in Loop: Header=BB25_2 Depth=1
	ds_read_b32 v78, v80 offset:4
	s_waitcnt lgkmcnt(1)
	v_mov_b32_e32 v79, v75
.LBB25_58:                              ;   in Loop: Header=BB25_2 Depth=1
	s_or_b64 exec, exec, s[16:17]
	v_add_u32_e32 v81, 1, v76
	v_add_u32_e32 v80, 1, v74
	v_cndmask_b32_e64 v81, v81, v76, s[14:15]
	v_cndmask_b32_e64 v80, v74, v80, s[14:15]
	v_cmp_ge_i32_e64 s[18:19], v81, v30
	s_waitcnt lgkmcnt(0)
	v_cmp_lt_i32_e64 s[20:21], v78, v79
	v_cmp_lt_i32_e64 s[16:17], v80, v31
	s_or_b64 s[18:19], s[18:19], s[20:21]
	s_and_b64 s[16:17], s[16:17], s[18:19]
	s_xor_b64 s[18:19], s[16:17], -1
                                        ; implicit-def: $vgpr82
	s_and_saveexec_b64 s[20:21], s[18:19]
	s_xor_b64 s[18:19], exec, s[20:21]
	s_cbranch_execz .LBB25_60
; %bb.59:                               ;   in Loop: Header=BB25_2 Depth=1
	v_lshlrev_b32_e32 v82, 2, v81
	ds_read_b32 v82, v82 offset:4
.LBB25_60:                              ;   in Loop: Header=BB25_2 Depth=1
	s_or_saveexec_b64 s[18:19], s[18:19]
	v_mov_b32_e32 v83, v78
	s_xor_b64 exec, exec, s[18:19]
	s_cbranch_execz .LBB25_62
; %bb.61:                               ;   in Loop: Header=BB25_2 Depth=1
	s_waitcnt lgkmcnt(0)
	v_lshlrev_b32_e32 v82, 2, v80
	ds_read_b32 v83, v82 offset:4
	v_mov_b32_e32 v82, v79
.LBB25_62:                              ;   in Loop: Header=BB25_2 Depth=1
	s_or_b64 exec, exec, s[18:19]
	v_add_u32_e32 v84, 1, v81
	v_cndmask_b32_e64 v78, v79, v78, s[16:17]
	v_add_u32_e32 v79, 1, v80
	v_cndmask_b32_e64 v84, v84, v81, s[16:17]
	v_cndmask_b32_e64 v79, v80, v79, s[16:17]
	;; [unrolled: 1-line block ×3, first 2 shown]
	v_cmp_ge_i32_e64 s[16:17], v84, v30
	s_waitcnt lgkmcnt(0)
	v_cmp_lt_i32_e64 s[18:19], v83, v82
	v_cndmask_b32_e64 v75, v75, v77, s[14:15]
	v_cndmask_b32_e64 v74, v76, v74, s[14:15]
	v_cmp_lt_i32_e64 s[14:15], v79, v31
	s_or_b64 s[16:17], s[16:17], s[18:19]
	s_and_b64 s[14:15], s[14:15], s[16:17]
	v_cndmask_b32_e64 v77, v84, v79, s[14:15]
	s_barrier
	ds_write2_b32 v60, v71, v72 offset1:1
	ds_write_b32 v60, v73 offset:8
	v_lshlrev_b32_e32 v71, 2, v74
	v_lshlrev_b32_e32 v72, 2, v80
	;; [unrolled: 1-line block ×3, first 2 shown]
	s_waitcnt lgkmcnt(0)
	s_barrier
	ds_read_b32 v71, v71
	ds_read_b32 v72, v72
	ds_read_b32 v73, v73
	v_cndmask_b32_e64 v76, v82, v83, s[14:15]
	s_waitcnt lgkmcnt(0)
	s_barrier
	ds_write2_b32 v60, v75, v78 offset1:1
	ds_write_b32 v60, v76 offset:8
	v_mov_b32_e32 v76, v39
	s_waitcnt lgkmcnt(0)
	s_barrier
	s_and_saveexec_b64 s[16:17], s[8:9]
	s_cbranch_execz .LBB25_66
; %bb.63:                               ;   in Loop: Header=BB25_2 Depth=1
	s_mov_b64 s[18:19], 0
	v_mov_b32_e32 v76, v39
	v_mov_b32_e32 v74, v40
.LBB25_64:                              ;   Parent Loop BB25_2 Depth=1
                                        ; =>  This Inner Loop Header: Depth=2
	v_sub_u32_e32 v75, v74, v76
	v_lshrrev_b32_e32 v77, 31, v75
	v_add_u32_e32 v75, v75, v77
	v_ashrrev_i32_e32 v75, 1, v75
	v_add_u32_e32 v75, v75, v76
	v_xad_u32 v78, v75, -1, v35
	v_lshl_add_u32 v77, v75, 2, v67
	v_lshl_add_u32 v78, v78, 2, v59
	ds_read_b32 v77, v77
	ds_read_b32 v78, v78
	v_add_u32_e32 v79, 1, v75
	s_waitcnt lgkmcnt(0)
	v_cmp_lt_i32_e64 s[14:15], v78, v77
	s_nop 1
	v_cndmask_b32_e64 v74, v74, v75, s[14:15]
	v_cndmask_b32_e64 v76, v79, v76, s[14:15]
	v_cmp_ge_i32_e64 s[14:15], v76, v74
	s_or_b64 s[18:19], s[14:15], s[18:19]
	s_andn2_b64 exec, exec, s[18:19]
	s_cbranch_execnz .LBB25_64
; %bb.65:                               ;   in Loop: Header=BB25_2 Depth=1
	s_or_b64 exec, exec, s[18:19]
.LBB25_66:                              ;   in Loop: Header=BB25_2 Depth=1
	s_or_b64 exec, exec, s[16:17]
	v_sub_u32_e32 v74, v41, v76
	v_lshl_add_u32 v81, v76, 2, v67
	v_lshlrev_b32_e32 v80, 2, v74
	ds_read_b32 v75, v81
	ds_read_b32 v77, v80
	v_add_u32_e32 v76, v76, v36
	v_cmp_le_i32_e64 s[16:17], v37, v76
	v_cmp_gt_i32_e64 s[14:15], v38, v74
                                        ; implicit-def: $vgpr78
                                        ; implicit-def: $vgpr79
	s_waitcnt lgkmcnt(0)
	v_cmp_lt_i32_e64 s[18:19], v77, v75
	s_or_b64 s[16:17], s[16:17], s[18:19]
	s_and_b64 s[14:15], s[14:15], s[16:17]
	s_xor_b64 s[16:17], s[14:15], -1
	s_and_saveexec_b64 s[18:19], s[16:17]
	s_xor_b64 s[16:17], exec, s[18:19]
	s_cbranch_execz .LBB25_68
; %bb.67:                               ;   in Loop: Header=BB25_2 Depth=1
	ds_read_b32 v79, v81 offset:4
	v_mov_b32_e32 v78, v77
                                        ; implicit-def: $vgpr80
.LBB25_68:                              ;   in Loop: Header=BB25_2 Depth=1
	s_andn2_saveexec_b64 s[16:17], s[16:17]
	s_cbranch_execz .LBB25_70
; %bb.69:                               ;   in Loop: Header=BB25_2 Depth=1
	ds_read_b32 v78, v80 offset:4
	s_waitcnt lgkmcnt(1)
	v_mov_b32_e32 v79, v75
.LBB25_70:                              ;   in Loop: Header=BB25_2 Depth=1
	s_or_b64 exec, exec, s[16:17]
	v_add_u32_e32 v81, 1, v76
	v_add_u32_e32 v80, 1, v74
	v_cndmask_b32_e64 v81, v81, v76, s[14:15]
	v_cndmask_b32_e64 v80, v74, v80, s[14:15]
	v_cmp_ge_i32_e64 s[18:19], v81, v37
	s_waitcnt lgkmcnt(0)
	v_cmp_lt_i32_e64 s[20:21], v78, v79
	v_cmp_lt_i32_e64 s[16:17], v80, v38
	s_or_b64 s[18:19], s[18:19], s[20:21]
	s_and_b64 s[16:17], s[16:17], s[18:19]
	s_xor_b64 s[18:19], s[16:17], -1
                                        ; implicit-def: $vgpr82
	s_and_saveexec_b64 s[20:21], s[18:19]
	s_xor_b64 s[18:19], exec, s[20:21]
	s_cbranch_execz .LBB25_72
; %bb.71:                               ;   in Loop: Header=BB25_2 Depth=1
	v_lshlrev_b32_e32 v82, 2, v81
	ds_read_b32 v82, v82 offset:4
.LBB25_72:                              ;   in Loop: Header=BB25_2 Depth=1
	s_or_saveexec_b64 s[18:19], s[18:19]
	v_mov_b32_e32 v83, v78
	s_xor_b64 exec, exec, s[18:19]
	s_cbranch_execz .LBB25_74
; %bb.73:                               ;   in Loop: Header=BB25_2 Depth=1
	s_waitcnt lgkmcnt(0)
	v_lshlrev_b32_e32 v82, 2, v80
	ds_read_b32 v83, v82 offset:4
	v_mov_b32_e32 v82, v79
.LBB25_74:                              ;   in Loop: Header=BB25_2 Depth=1
	s_or_b64 exec, exec, s[18:19]
	v_add_u32_e32 v84, 1, v81
	v_cndmask_b32_e64 v78, v79, v78, s[16:17]
	v_add_u32_e32 v79, 1, v80
	v_cndmask_b32_e64 v84, v84, v81, s[16:17]
	v_cndmask_b32_e64 v79, v80, v79, s[16:17]
	;; [unrolled: 1-line block ×3, first 2 shown]
	v_cmp_ge_i32_e64 s[16:17], v84, v37
	s_waitcnt lgkmcnt(0)
	v_cmp_lt_i32_e64 s[18:19], v83, v82
	v_cndmask_b32_e64 v75, v75, v77, s[14:15]
	v_cndmask_b32_e64 v74, v76, v74, s[14:15]
	v_cmp_lt_i32_e64 s[14:15], v79, v38
	s_or_b64 s[16:17], s[16:17], s[18:19]
	s_and_b64 s[14:15], s[14:15], s[16:17]
	v_cndmask_b32_e64 v77, v84, v79, s[14:15]
	s_barrier
	ds_write2_b32 v60, v71, v72 offset1:1
	ds_write_b32 v60, v73 offset:8
	v_lshlrev_b32_e32 v71, 2, v74
	v_lshlrev_b32_e32 v72, 2, v80
	;; [unrolled: 1-line block ×3, first 2 shown]
	s_waitcnt lgkmcnt(0)
	s_barrier
	ds_read_b32 v71, v71
	ds_read_b32 v72, v72
	;; [unrolled: 1-line block ×3, first 2 shown]
	v_cndmask_b32_e64 v76, v82, v83, s[14:15]
	s_waitcnt lgkmcnt(0)
	s_barrier
	ds_write2_b32 v60, v75, v78 offset1:1
	ds_write_b32 v60, v76 offset:8
	v_mov_b32_e32 v76, v49
	s_waitcnt lgkmcnt(0)
	s_barrier
	s_and_saveexec_b64 s[16:17], s[10:11]
	s_cbranch_execz .LBB25_78
; %bb.75:                               ;   in Loop: Header=BB25_2 Depth=1
	s_mov_b64 s[18:19], 0
	v_mov_b32_e32 v76, v49
	v_mov_b32_e32 v74, v50
.LBB25_76:                              ;   Parent Loop BB25_2 Depth=1
                                        ; =>  This Inner Loop Header: Depth=2
	v_sub_u32_e32 v75, v74, v76
	v_lshrrev_b32_e32 v77, 31, v75
	v_add_u32_e32 v75, v75, v77
	v_ashrrev_i32_e32 v75, 1, v75
	v_add_u32_e32 v75, v75, v76
	v_xad_u32 v78, v75, -1, v42
	v_lshl_add_u32 v77, v75, 2, v68
	v_lshl_add_u32 v78, v78, 2, v48
	ds_read_b32 v77, v77
	ds_read_b32 v78, v78
	v_add_u32_e32 v79, 1, v75
	s_waitcnt lgkmcnt(0)
	v_cmp_lt_i32_e64 s[14:15], v78, v77
	s_nop 1
	v_cndmask_b32_e64 v74, v74, v75, s[14:15]
	v_cndmask_b32_e64 v76, v79, v76, s[14:15]
	v_cmp_ge_i32_e64 s[14:15], v76, v74
	s_or_b64 s[18:19], s[14:15], s[18:19]
	s_andn2_b64 exec, exec, s[18:19]
	s_cbranch_execnz .LBB25_76
; %bb.77:                               ;   in Loop: Header=BB25_2 Depth=1
	s_or_b64 exec, exec, s[18:19]
.LBB25_78:                              ;   in Loop: Header=BB25_2 Depth=1
	s_or_b64 exec, exec, s[16:17]
	v_sub_u32_e32 v74, v51, v76
	v_lshl_add_u32 v81, v76, 2, v68
	v_lshlrev_b32_e32 v80, 2, v74
	ds_read_b32 v75, v81
	ds_read_b32 v77, v80
	v_add_u32_e32 v76, v76, v43
	v_cmp_le_i32_e64 s[16:17], v44, v76
	v_cmp_gt_i32_e64 s[14:15], v45, v74
                                        ; implicit-def: $vgpr78
                                        ; implicit-def: $vgpr79
	s_waitcnt lgkmcnt(0)
	v_cmp_lt_i32_e64 s[18:19], v77, v75
	s_or_b64 s[16:17], s[16:17], s[18:19]
	s_and_b64 s[14:15], s[14:15], s[16:17]
	s_xor_b64 s[16:17], s[14:15], -1
	s_and_saveexec_b64 s[18:19], s[16:17]
	s_xor_b64 s[16:17], exec, s[18:19]
	s_cbranch_execz .LBB25_80
; %bb.79:                               ;   in Loop: Header=BB25_2 Depth=1
	ds_read_b32 v79, v81 offset:4
	v_mov_b32_e32 v78, v77
                                        ; implicit-def: $vgpr80
.LBB25_80:                              ;   in Loop: Header=BB25_2 Depth=1
	s_andn2_saveexec_b64 s[16:17], s[16:17]
	s_cbranch_execz .LBB25_82
; %bb.81:                               ;   in Loop: Header=BB25_2 Depth=1
	ds_read_b32 v78, v80 offset:4
	s_waitcnt lgkmcnt(1)
	v_mov_b32_e32 v79, v75
.LBB25_82:                              ;   in Loop: Header=BB25_2 Depth=1
	s_or_b64 exec, exec, s[16:17]
	v_add_u32_e32 v81, 1, v76
	v_add_u32_e32 v80, 1, v74
	v_cndmask_b32_e64 v81, v81, v76, s[14:15]
	v_cndmask_b32_e64 v80, v74, v80, s[14:15]
	v_cmp_ge_i32_e64 s[18:19], v81, v44
	s_waitcnt lgkmcnt(0)
	v_cmp_lt_i32_e64 s[20:21], v78, v79
	v_cmp_lt_i32_e64 s[16:17], v80, v45
	s_or_b64 s[18:19], s[18:19], s[20:21]
	s_and_b64 s[16:17], s[16:17], s[18:19]
	s_xor_b64 s[18:19], s[16:17], -1
                                        ; implicit-def: $vgpr82
	s_and_saveexec_b64 s[20:21], s[18:19]
	s_xor_b64 s[18:19], exec, s[20:21]
	s_cbranch_execz .LBB25_84
; %bb.83:                               ;   in Loop: Header=BB25_2 Depth=1
	v_lshlrev_b32_e32 v82, 2, v81
	ds_read_b32 v82, v82 offset:4
.LBB25_84:                              ;   in Loop: Header=BB25_2 Depth=1
	s_or_saveexec_b64 s[18:19], s[18:19]
	v_mov_b32_e32 v83, v78
	s_xor_b64 exec, exec, s[18:19]
	s_cbranch_execz .LBB25_86
; %bb.85:                               ;   in Loop: Header=BB25_2 Depth=1
	s_waitcnt lgkmcnt(0)
	v_lshlrev_b32_e32 v82, 2, v80
	ds_read_b32 v83, v82 offset:4
	v_mov_b32_e32 v82, v79
.LBB25_86:                              ;   in Loop: Header=BB25_2 Depth=1
	s_or_b64 exec, exec, s[18:19]
	v_add_u32_e32 v84, 1, v81
	v_cndmask_b32_e64 v78, v79, v78, s[16:17]
	v_add_u32_e32 v79, 1, v80
	v_cndmask_b32_e64 v84, v84, v81, s[16:17]
	v_cndmask_b32_e64 v79, v80, v79, s[16:17]
	;; [unrolled: 1-line block ×3, first 2 shown]
	v_cmp_ge_i32_e64 s[16:17], v84, v44
	s_waitcnt lgkmcnt(0)
	v_cmp_lt_i32_e64 s[18:19], v83, v82
	v_cndmask_b32_e64 v75, v75, v77, s[14:15]
	v_cndmask_b32_e64 v74, v76, v74, s[14:15]
	v_cmp_lt_i32_e64 s[14:15], v79, v45
	s_or_b64 s[16:17], s[16:17], s[18:19]
	s_and_b64 s[14:15], s[14:15], s[16:17]
	v_cndmask_b32_e64 v77, v84, v79, s[14:15]
	s_barrier
	ds_write2_b32 v60, v71, v72 offset1:1
	ds_write_b32 v60, v73 offset:8
	v_lshlrev_b32_e32 v71, 2, v74
	v_lshlrev_b32_e32 v73, 2, v80
	;; [unrolled: 1-line block ×3, first 2 shown]
	s_waitcnt lgkmcnt(0)
	s_barrier
	ds_read_b32 v72, v71
	ds_read_b32 v73, v73
	;; [unrolled: 1-line block ×3, first 2 shown]
	v_mov_b32_e32 v71, v54
	v_cndmask_b32_e64 v76, v82, v83, s[14:15]
	s_waitcnt lgkmcnt(0)
	s_barrier
	ds_write2_b32 v60, v75, v78 offset1:1
	ds_write_b32 v60, v76 offset:8
	s_waitcnt lgkmcnt(0)
	s_barrier
	s_and_saveexec_b64 s[16:17], s[12:13]
	s_cbranch_execz .LBB25_90
; %bb.87:                               ;   in Loop: Header=BB25_2 Depth=1
	s_mov_b64 s[18:19], 0
	v_mov_b32_e32 v71, v54
	v_mov_b32_e32 v75, v55
.LBB25_88:                              ;   Parent Loop BB25_2 Depth=1
                                        ; =>  This Inner Loop Header: Depth=2
	v_sub_u32_e32 v76, v75, v71
	v_lshrrev_b32_e32 v77, 31, v76
	v_add_u32_e32 v76, v76, v77
	v_ashrrev_i32_e32 v76, 1, v76
	v_add_u32_e32 v76, v76, v71
	v_xad_u32 v78, v76, -1, v52
	v_lshlrev_b32_e32 v77, 2, v76
	v_lshl_add_u32 v78, v78, 2, v70
	ds_read_b32 v77, v77
	ds_read_b32 v78, v78
	v_add_u32_e32 v79, 1, v76
	s_waitcnt lgkmcnt(0)
	v_cmp_lt_i32_e64 s[14:15], v78, v77
	s_nop 1
	v_cndmask_b32_e64 v75, v75, v76, s[14:15]
	v_cndmask_b32_e64 v71, v79, v71, s[14:15]
	v_cmp_ge_i32_e64 s[14:15], v71, v75
	s_or_b64 s[18:19], s[14:15], s[18:19]
	s_andn2_b64 exec, exec, s[18:19]
	s_cbranch_execnz .LBB25_88
; %bb.89:                               ;   in Loop: Header=BB25_2 Depth=1
	s_or_b64 exec, exec, s[18:19]
.LBB25_90:                              ;   in Loop: Header=BB25_2 Depth=1
	s_or_b64 exec, exec, s[16:17]
	v_sub_u32_e32 v79, v69, v71
	v_lshlrev_b32_e32 v81, 2, v71
	v_lshlrev_b32_e32 v80, 2, v79
	ds_read_b32 v75, v81
	ds_read_b32 v76, v80
	v_cmp_le_i32_e64 s[16:17], v53, v71
	v_cmp_gt_i32_e64 s[14:15], s33, v79
                                        ; implicit-def: $vgpr77
                                        ; implicit-def: $vgpr78
	s_waitcnt lgkmcnt(0)
	v_cmp_lt_i32_e64 s[18:19], v76, v75
	s_or_b64 s[16:17], s[16:17], s[18:19]
	s_and_b64 s[14:15], s[14:15], s[16:17]
	s_xor_b64 s[16:17], s[14:15], -1
	s_and_saveexec_b64 s[18:19], s[16:17]
	s_xor_b64 s[16:17], exec, s[18:19]
	s_cbranch_execz .LBB25_92
; %bb.91:                               ;   in Loop: Header=BB25_2 Depth=1
	ds_read_b32 v78, v81 offset:4
	v_mov_b32_e32 v77, v76
                                        ; implicit-def: $vgpr80
.LBB25_92:                              ;   in Loop: Header=BB25_2 Depth=1
	s_andn2_saveexec_b64 s[16:17], s[16:17]
	s_cbranch_execz .LBB25_94
; %bb.93:                               ;   in Loop: Header=BB25_2 Depth=1
	ds_read_b32 v77, v80 offset:4
	s_waitcnt lgkmcnt(1)
	v_mov_b32_e32 v78, v75
.LBB25_94:                              ;   in Loop: Header=BB25_2 Depth=1
	s_or_b64 exec, exec, s[16:17]
	v_add_u32_e32 v81, 1, v71
	v_add_u32_e32 v80, 1, v79
	v_cndmask_b32_e64 v81, v81, v71, s[14:15]
	v_cndmask_b32_e64 v80, v79, v80, s[14:15]
	v_cmp_ge_i32_e64 s[18:19], v81, v53
	s_waitcnt lgkmcnt(0)
	v_cmp_lt_i32_e64 s[20:21], v77, v78
	v_cmp_gt_i32_e64 s[16:17], s33, v80
	s_or_b64 s[18:19], s[18:19], s[20:21]
	s_and_b64 s[16:17], s[16:17], s[18:19]
	s_xor_b64 s[18:19], s[16:17], -1
                                        ; implicit-def: $vgpr83
                                        ; implicit-def: $vgpr82
	s_and_saveexec_b64 s[20:21], s[18:19]
	s_xor_b64 s[18:19], exec, s[20:21]
	s_cbranch_execz .LBB25_96
; %bb.95:                               ;   in Loop: Header=BB25_2 Depth=1
	v_lshlrev_b32_e32 v82, 2, v81
	ds_read_b32 v83, v82 offset:4
	v_add_u32_e32 v82, 1, v81
.LBB25_96:                              ;   in Loop: Header=BB25_2 Depth=1
	s_or_saveexec_b64 s[18:19], s[18:19]
	v_mov_b32_e32 v84, v81
	v_mov_b32_e32 v85, v77
	s_xor_b64 exec, exec, s[18:19]
	s_cbranch_execz .LBB25_1
; %bb.97:                               ;   in Loop: Header=BB25_2 Depth=1
	v_lshlrev_b32_e32 v82, 2, v80
	ds_read_b32 v85, v82 offset:4
	s_waitcnt lgkmcnt(1)
	v_add_u32_e32 v83, 1, v80
	v_mov_b32_e32 v84, v80
	v_mov_b32_e32 v82, v81
	;; [unrolled: 1-line block ×4, first 2 shown]
	s_branch .LBB25_1
.LBB25_98:
	s_add_u32 s0, s30, s34
	s_waitcnt lgkmcnt(2)
	v_add_u32_e32 v1, v75, v72
	s_addc_u32 s1, s31, s35
	v_lshlrev_b32_e32 v0, 2, v0
	s_waitcnt lgkmcnt(1)
	v_add_u32_e32 v2, v76, v74
	s_waitcnt lgkmcnt(0)
	v_add_u32_e32 v3, v71, v73
	global_store_dword v0, v1, s[0:1]
	global_store_dword v0, v2, s[0:1] offset:1024
	global_store_dword v0, v3, s[0:1] offset:2048
	s_endpgm
	.section	.rodata,"a",@progbits
	.p2align	6, 0x0
	.amdhsa_kernel _Z17sort_pairs_kernelIiLj256ELj3EN10test_utils4lessELj10EEvPKT_PS2_T2_
		.amdhsa_group_segment_fixed_size 3076
		.amdhsa_private_segment_fixed_size 0
		.amdhsa_kernarg_size 20
		.amdhsa_user_sgpr_count 2
		.amdhsa_user_sgpr_dispatch_ptr 0
		.amdhsa_user_sgpr_queue_ptr 0
		.amdhsa_user_sgpr_kernarg_segment_ptr 1
		.amdhsa_user_sgpr_dispatch_id 0
		.amdhsa_user_sgpr_kernarg_preload_length 0
		.amdhsa_user_sgpr_kernarg_preload_offset 0
		.amdhsa_user_sgpr_private_segment_size 0
		.amdhsa_uses_dynamic_stack 0
		.amdhsa_enable_private_segment 0
		.amdhsa_system_sgpr_workgroup_id_x 1
		.amdhsa_system_sgpr_workgroup_id_y 0
		.amdhsa_system_sgpr_workgroup_id_z 0
		.amdhsa_system_sgpr_workgroup_info 0
		.amdhsa_system_vgpr_workitem_id 0
		.amdhsa_next_free_vgpr 86
		.amdhsa_next_free_sgpr 38
		.amdhsa_accum_offset 88
		.amdhsa_reserve_vcc 1
		.amdhsa_float_round_mode_32 0
		.amdhsa_float_round_mode_16_64 0
		.amdhsa_float_denorm_mode_32 3
		.amdhsa_float_denorm_mode_16_64 3
		.amdhsa_dx10_clamp 1
		.amdhsa_ieee_mode 1
		.amdhsa_fp16_overflow 0
		.amdhsa_tg_split 0
		.amdhsa_exception_fp_ieee_invalid_op 0
		.amdhsa_exception_fp_denorm_src 0
		.amdhsa_exception_fp_ieee_div_zero 0
		.amdhsa_exception_fp_ieee_overflow 0
		.amdhsa_exception_fp_ieee_underflow 0
		.amdhsa_exception_fp_ieee_inexact 0
		.amdhsa_exception_int_div_zero 0
	.end_amdhsa_kernel
	.section	.text._Z17sort_pairs_kernelIiLj256ELj3EN10test_utils4lessELj10EEvPKT_PS2_T2_,"axG",@progbits,_Z17sort_pairs_kernelIiLj256ELj3EN10test_utils4lessELj10EEvPKT_PS2_T2_,comdat
.Lfunc_end25:
	.size	_Z17sort_pairs_kernelIiLj256ELj3EN10test_utils4lessELj10EEvPKT_PS2_T2_, .Lfunc_end25-_Z17sort_pairs_kernelIiLj256ELj3EN10test_utils4lessELj10EEvPKT_PS2_T2_
                                        ; -- End function
	.section	.AMDGPU.csdata,"",@progbits
; Kernel info:
; codeLenInByte = 6036
; NumSgprs: 44
; NumVgprs: 86
; NumAgprs: 0
; TotalNumVgprs: 86
; ScratchSize: 0
; MemoryBound: 0
; FloatMode: 240
; IeeeMode: 1
; LDSByteSize: 3076 bytes/workgroup (compile time only)
; SGPRBlocks: 5
; VGPRBlocks: 10
; NumSGPRsForWavesPerEU: 44
; NumVGPRsForWavesPerEU: 86
; AccumOffset: 88
; Occupancy: 5
; WaveLimiterHint : 1
; COMPUTE_PGM_RSRC2:SCRATCH_EN: 0
; COMPUTE_PGM_RSRC2:USER_SGPR: 2
; COMPUTE_PGM_RSRC2:TRAP_HANDLER: 0
; COMPUTE_PGM_RSRC2:TGID_X_EN: 1
; COMPUTE_PGM_RSRC2:TGID_Y_EN: 0
; COMPUTE_PGM_RSRC2:TGID_Z_EN: 0
; COMPUTE_PGM_RSRC2:TIDIG_COMP_CNT: 0
; COMPUTE_PGM_RSRC3_GFX90A:ACCUM_OFFSET: 21
; COMPUTE_PGM_RSRC3_GFX90A:TG_SPLIT: 0
	.section	.text._Z16sort_keys_kernelIiLj256ELj4EN10test_utils4lessELj10EEvPKT_PS2_T2_,"axG",@progbits,_Z16sort_keys_kernelIiLj256ELj4EN10test_utils4lessELj10EEvPKT_PS2_T2_,comdat
	.protected	_Z16sort_keys_kernelIiLj256ELj4EN10test_utils4lessELj10EEvPKT_PS2_T2_ ; -- Begin function _Z16sort_keys_kernelIiLj256ELj4EN10test_utils4lessELj10EEvPKT_PS2_T2_
	.globl	_Z16sort_keys_kernelIiLj256ELj4EN10test_utils4lessELj10EEvPKT_PS2_T2_
	.p2align	8
	.type	_Z16sort_keys_kernelIiLj256ELj4EN10test_utils4lessELj10EEvPKT_PS2_T2_,@function
_Z16sort_keys_kernelIiLj256ELj4EN10test_utils4lessELj10EEvPKT_PS2_T2_: ; @_Z16sort_keys_kernelIiLj256ELj4EN10test_utils4lessELj10EEvPKT_PS2_T2_
; %bb.0:
	s_load_dwordx4 s[24:27], s[0:1], 0x0
	s_lshl_b32 s28, s2, 10
	s_mov_b32 s29, 0
	s_lshl_b64 s[30:31], s[28:29], 2
	v_lshlrev_b32_e32 v1, 2, v0
	s_waitcnt lgkmcnt(0)
	s_add_u32 s0, s24, s30
	s_addc_u32 s1, s25, s31
	global_load_dword v71, v1, s[0:1]
	global_load_dword v72, v1, s[0:1] offset:1024
	global_load_dword v70, v1, s[0:1] offset:2048
	;; [unrolled: 1-line block ×3, first 2 shown]
	v_and_b32_e32 v21, 0x3e0, v1
	v_or_b32_e32 v23, 16, v21
	v_add_u32_e32 v24, 32, v21
	v_and_b32_e32 v22, 28, v1
	v_sub_u32_e32 v26, v24, v23
	v_sub_u32_e32 v28, v22, v26
	v_cmp_ge_i32_e64 s[2:3], v22, v26
	v_and_b32_e32 v29, 60, v1
	v_and_b32_e32 v35, 0x7c, v1
	v_cndmask_b32_e64 v26, 0, v28, s[2:3]
	v_and_b32_e32 v28, 0x3c0, v1
	v_or_b32_e32 v30, 32, v28
	v_add_u32_e32 v31, 64, v28
	v_sub_u32_e32 v32, v31, v30
	v_sub_u32_e32 v34, v29, v32
	v_cmp_ge_i32_e64 s[4:5], v29, v32
	v_and_b32_e32 v3, 0x3f8, v1
	v_and_b32_e32 v12, 0x3f0, v1
	v_cndmask_b32_e64 v32, 0, v34, s[4:5]
	v_and_b32_e32 v34, 0x380, v1
	v_or_b32_e32 v36, 64, v34
	v_add_u32_e32 v37, 0x80, v34
	v_sub_u32_e32 v38, v37, v36
	v_sub_u32_e32 v40, v35, v38
	v_cmp_ge_i32_e64 s[6:7], v35, v38
	v_and_b32_e32 v47, 0x200, v1
	v_or_b32_e32 v5, 4, v3
	v_cndmask_b32_e64 v38, 0, v40, s[6:7]
	v_and_b32_e32 v40, 0x300, v1
	v_or_b32_e32 v42, 0x80, v40
	v_add_u32_e32 v43, 0x100, v40
	v_add_u32_e32 v6, 8, v3
	v_or_b32_e32 v14, 8, v12
	v_add_u32_e32 v15, 16, v12
	v_and_b32_e32 v41, 0xfc, v1
	v_sub_u32_e32 v44, v43, v42
	v_or_b32_e32 v49, 0x100, v47
	v_add_u32_e32 v50, 0x200, v47
	v_and_b32_e32 v4, 4, v1
	v_sub_u32_e32 v9, v6, v5
	v_and_b32_e32 v13, 12, v1
	v_sub_u32_e32 v18, v15, v14
	v_sub_u32_e32 v46, v41, v44
	v_cmp_ge_i32_e64 s[8:9], v41, v44
	v_and_b32_e32 v48, 0x1fc, v1
	v_sub_u32_e32 v51, v50, v49
	v_sub_u32_e32 v10, v5, v3
	;; [unrolled: 1-line block ×3, first 2 shown]
	v_cmp_ge_i32_e32 vcc, v4, v9
	v_sub_u32_e32 v19, v14, v12
	v_sub_u32_e32 v20, v13, v18
	v_cmp_ge_i32_e64 s[0:1], v13, v18
	v_sub_u32_e32 v27, v23, v21
	v_sub_u32_e32 v33, v30, v28
	;; [unrolled: 1-line block ×4, first 2 shown]
	v_cndmask_b32_e64 v44, 0, v46, s[8:9]
	v_mov_b32_e32 v46, 0x200
	v_sub_u32_e32 v52, v49, v47
	v_sub_u32_e32 v53, v48, v51
	v_cmp_ge_i32_e64 s[10:11], v48, v51
	v_cndmask_b32_e32 v9, 0, v11, vcc
	v_min_i32_e32 v10, v4, v10
	v_cndmask_b32_e64 v18, 0, v20, s[0:1]
	v_min_i32_e32 v19, v13, v19
	v_min_i32_e32 v27, v22, v27
	;; [unrolled: 1-line block ×5, first 2 shown]
	v_cndmask_b32_e64 v51, 0, v53, s[10:11]
	v_min_i32_e32 v52, v48, v52
	v_sub_u32_e64 v53, v1, v46 clamp
	v_min_i32_e32 v54, 0x200, v1
	v_lshlrev_b32_e32 v2, 4, v0
	v_lshlrev_b32_e32 v7, 2, v3
	;; [unrolled: 1-line block ×3, first 2 shown]
	v_cmp_lt_i32_e32 vcc, v9, v10
	v_add_u32_e32 v11, v5, v4
	v_lshlrev_b32_e32 v16, 2, v12
	v_lshlrev_b32_e32 v17, 2, v14
	v_cmp_lt_i32_e64 s[0:1], v18, v19
	v_add_u32_e32 v20, v14, v13
	v_lshlrev_b32_e32 v25, 2, v21
	v_cmp_lt_i32_e64 s[2:3], v26, v27
	v_cmp_lt_i32_e64 s[4:5], v32, v33
	;; [unrolled: 1-line block ×6, first 2 shown]
	s_movk_i32 s24, 0x400
	v_lshlrev_b32_e32 v55, 2, v23
	v_add_u32_e32 v56, v23, v22
	v_lshlrev_b32_e32 v57, 2, v28
	v_lshlrev_b32_e32 v58, 2, v30
	v_add_u32_e32 v59, v30, v29
	v_lshlrev_b32_e32 v60, 2, v34
	v_lshlrev_b32_e32 v61, 2, v36
	v_add_u32_e32 v62, v36, v35
	v_lshlrev_b32_e32 v63, 2, v40
	v_lshlrev_b32_e32 v64, 2, v42
	v_add_u32_e32 v65, v42, v41
	v_lshlrev_b32_e32 v66, 2, v47
	v_lshlrev_b32_e32 v67, 2, v49
	v_add_u32_e32 v68, v49, v48
	v_add_u32_e32 v69, 0x200, v1
	s_branch .LBB26_2
.LBB26_1:                               ;   in Loop: Header=BB26_2 Depth=1
	s_or_b64 exec, exec, s[20:21]
	v_cndmask_b32_e64 v71, v70, v71, s[14:15]
	v_cndmask_b32_e64 v72, v73, v72, s[16:17]
	;; [unrolled: 1-line block ×3, first 2 shown]
	v_cmp_ge_i32_e64 s[16:17], v79, v46
	s_waitcnt lgkmcnt(0)
	v_cmp_lt_i32_e64 s[18:19], v80, v77
	v_cmp_gt_i32_e64 s[14:15], s24, v76
	s_or_b64 s[16:17], s[16:17], s[18:19]
	s_add_i32 s29, s29, 1
	s_and_b64 s[14:15], s[14:15], s[16:17]
	s_cmp_eq_u32 s29, 10
	v_cndmask_b32_e64 v73, v77, v80, s[14:15]
	s_cbranch_scc1 .LBB26_130
.LBB26_2:                               ; =>This Loop Header: Depth=1
                                        ;     Child Loop BB26_4 Depth 2
                                        ;     Child Loop BB26_20 Depth 2
	;; [unrolled: 1-line block ×8, first 2 shown]
	s_waitcnt vmcnt(2)
	v_cmp_lt_i32_e64 s[14:15], v72, v71
	v_min_i32_e32 v76, v72, v71
	s_waitcnt vmcnt(0)
	v_max_i32_e32 v78, v73, v70
	v_cndmask_b32_e64 v74, v71, v72, s[14:15]
	v_cndmask_b32_e64 v75, v72, v71, s[14:15]
	v_cmp_lt_i32_e64 s[14:15], v73, v70
	v_max_i32_e32 v71, v72, v71
	s_nop 0
	v_cndmask_b32_e64 v72, v73, v70, s[14:15]
	v_cndmask_b32_e64 v77, v70, v73, s[14:15]
	v_min_i32_e32 v70, v73, v70
	v_cmp_lt_i32_e64 s[14:15], v70, v71
	v_min_i32_e32 v79, v70, v71
	s_barrier
	v_cndmask_b32_e64 v73, v77, v71, s[14:15]
	v_cndmask_b32_e64 v75, v75, v70, s[14:15]
	v_cmp_lt_i32_e64 s[14:15], v70, v76
	v_max_i32_e32 v77, v70, v71
	s_nop 0
	v_cndmask_b32_e64 v70, v74, v79, s[14:15]
	v_cndmask_b32_e64 v74, v75, v76, s[14:15]
	;; [unrolled: 1-line block ×3, first 2 shown]
	v_cmp_gt_i32_e64 s[14:15], v71, v78
	s_nop 1
	v_cndmask_b32_e64 v71, v72, v77, s[14:15]
	v_cndmask_b32_e64 v72, v73, v78, s[14:15]
	;; [unrolled: 1-line block ×3, first 2 shown]
	v_cmp_lt_i32_e64 s[14:15], v73, v75
	s_nop 1
	v_cndmask_b32_e64 v72, v72, v75, s[14:15]
	v_cndmask_b32_e64 v73, v74, v73, s[14:15]
	ds_write2_b32 v2, v70, v73 offset1:1
	ds_write2_b32 v2, v72, v71 offset0:2 offset1:3
	v_mov_b32_e32 v72, v9
	s_waitcnt lgkmcnt(0)
	s_barrier
	s_and_saveexec_b64 s[16:17], vcc
	s_cbranch_execz .LBB26_6
; %bb.3:                                ;   in Loop: Header=BB26_2 Depth=1
	s_mov_b64 s[18:19], 0
	v_mov_b32_e32 v72, v9
	v_mov_b32_e32 v70, v10
.LBB26_4:                               ;   Parent Loop BB26_2 Depth=1
                                        ; =>  This Inner Loop Header: Depth=2
	v_sub_u32_e32 v71, v70, v72
	v_lshrrev_b32_e32 v73, 31, v71
	v_add_u32_e32 v71, v71, v73
	v_ashrrev_i32_e32 v71, 1, v71
	v_add_u32_e32 v71, v71, v72
	v_xad_u32 v74, v71, -1, v4
	v_lshl_add_u32 v73, v71, 2, v7
	v_lshl_add_u32 v74, v74, 2, v8
	ds_read_b32 v73, v73
	ds_read_b32 v74, v74
	v_add_u32_e32 v75, 1, v71
	s_waitcnt lgkmcnt(0)
	v_cmp_lt_i32_e64 s[14:15], v74, v73
	s_nop 1
	v_cndmask_b32_e64 v70, v70, v71, s[14:15]
	v_cndmask_b32_e64 v72, v75, v72, s[14:15]
	v_cmp_ge_i32_e64 s[14:15], v72, v70
	s_or_b64 s[18:19], s[14:15], s[18:19]
	s_andn2_b64 exec, exec, s[18:19]
	s_cbranch_execnz .LBB26_4
; %bb.5:                                ;   in Loop: Header=BB26_2 Depth=1
	s_or_b64 exec, exec, s[18:19]
.LBB26_6:                               ;   in Loop: Header=BB26_2 Depth=1
	s_or_b64 exec, exec, s[16:17]
	v_sub_u32_e32 v74, v11, v72
	v_lshl_add_u32 v77, v72, 2, v7
	v_lshlrev_b32_e32 v76, 2, v74
	ds_read_b32 v70, v77
	ds_read_b32 v71, v76
	v_add_u32_e32 v75, v72, v3
	v_cmp_le_i32_e64 s[16:17], v5, v75
	v_cmp_gt_i32_e64 s[14:15], v6, v74
                                        ; implicit-def: $vgpr72
                                        ; implicit-def: $vgpr73
	s_waitcnt lgkmcnt(0)
	v_cmp_lt_i32_e64 s[18:19], v71, v70
	s_or_b64 s[16:17], s[16:17], s[18:19]
	s_and_b64 s[14:15], s[14:15], s[16:17]
	s_xor_b64 s[16:17], s[14:15], -1
	s_and_saveexec_b64 s[18:19], s[16:17]
	s_xor_b64 s[16:17], exec, s[18:19]
	s_cbranch_execz .LBB26_8
; %bb.7:                                ;   in Loop: Header=BB26_2 Depth=1
	ds_read_b32 v73, v77 offset:4
	v_mov_b32_e32 v72, v71
                                        ; implicit-def: $vgpr76
.LBB26_8:                               ;   in Loop: Header=BB26_2 Depth=1
	s_andn2_saveexec_b64 s[16:17], s[16:17]
	s_cbranch_execz .LBB26_10
; %bb.9:                                ;   in Loop: Header=BB26_2 Depth=1
	ds_read_b32 v72, v76 offset:4
	s_waitcnt lgkmcnt(1)
	v_mov_b32_e32 v73, v70
.LBB26_10:                              ;   in Loop: Header=BB26_2 Depth=1
	s_or_b64 exec, exec, s[16:17]
	v_add_u32_e32 v77, 1, v75
	v_add_u32_e32 v76, 1, v74
	v_cndmask_b32_e64 v77, v77, v75, s[14:15]
	v_cndmask_b32_e64 v76, v74, v76, s[14:15]
	v_cmp_ge_i32_e64 s[18:19], v77, v5
	s_waitcnt lgkmcnt(0)
	v_cmp_lt_i32_e64 s[20:21], v72, v73
	v_cmp_lt_i32_e64 s[16:17], v76, v6
	s_or_b64 s[18:19], s[18:19], s[20:21]
	s_and_b64 s[16:17], s[16:17], s[18:19]
	s_xor_b64 s[18:19], s[16:17], -1
                                        ; implicit-def: $vgpr74
	s_and_saveexec_b64 s[20:21], s[18:19]
	s_xor_b64 s[18:19], exec, s[20:21]
	s_cbranch_execz .LBB26_12
; %bb.11:                               ;   in Loop: Header=BB26_2 Depth=1
	v_lshlrev_b32_e32 v74, 2, v77
	ds_read_b32 v74, v74 offset:4
.LBB26_12:                              ;   in Loop: Header=BB26_2 Depth=1
	s_or_saveexec_b64 s[18:19], s[18:19]
	v_mov_b32_e32 v75, v72
	s_xor_b64 exec, exec, s[18:19]
	s_cbranch_execz .LBB26_14
; %bb.13:                               ;   in Loop: Header=BB26_2 Depth=1
	s_waitcnt lgkmcnt(0)
	v_lshlrev_b32_e32 v74, 2, v76
	ds_read_b32 v75, v74 offset:4
	v_mov_b32_e32 v74, v73
.LBB26_14:                              ;   in Loop: Header=BB26_2 Depth=1
	s_or_b64 exec, exec, s[18:19]
	v_add_u32_e32 v79, 1, v77
	v_add_u32_e32 v78, 1, v76
	v_cndmask_b32_e64 v77, v79, v77, s[16:17]
	v_cndmask_b32_e64 v76, v76, v78, s[16:17]
	v_cmp_ge_i32_e64 s[20:21], v77, v5
	s_waitcnt lgkmcnt(0)
	v_cmp_lt_i32_e64 s[22:23], v75, v74
	v_cmp_lt_i32_e64 s[18:19], v76, v6
	s_or_b64 s[20:21], s[20:21], s[22:23]
	s_and_b64 s[18:19], s[18:19], s[20:21]
	s_xor_b64 s[20:21], s[18:19], -1
                                        ; implicit-def: $vgpr78
	s_and_saveexec_b64 s[22:23], s[20:21]
	s_xor_b64 s[20:21], exec, s[22:23]
	s_cbranch_execz .LBB26_16
; %bb.15:                               ;   in Loop: Header=BB26_2 Depth=1
	v_lshlrev_b32_e32 v78, 2, v77
	ds_read_b32 v78, v78 offset:4
.LBB26_16:                              ;   in Loop: Header=BB26_2 Depth=1
	s_or_saveexec_b64 s[20:21], s[20:21]
	v_mov_b32_e32 v79, v75
	s_xor_b64 exec, exec, s[20:21]
	s_cbranch_execz .LBB26_18
; %bb.17:                               ;   in Loop: Header=BB26_2 Depth=1
	s_waitcnt lgkmcnt(0)
	v_lshlrev_b32_e32 v78, 2, v76
	ds_read_b32 v79, v78 offset:4
	v_mov_b32_e32 v78, v74
.LBB26_18:                              ;   in Loop: Header=BB26_2 Depth=1
	s_or_b64 exec, exec, s[20:21]
	v_cndmask_b32_e64 v74, v74, v75, s[18:19]
	v_add_u32_e32 v75, 1, v76
	v_add_u32_e32 v80, 1, v77
	v_cndmask_b32_e64 v75, v76, v75, s[18:19]
	v_cndmask_b32_e64 v76, v80, v77, s[18:19]
	v_cndmask_b32_e64 v72, v73, v72, s[16:17]
	v_cmp_ge_i32_e64 s[16:17], v76, v5
	s_waitcnt lgkmcnt(0)
	v_cmp_lt_i32_e64 s[18:19], v79, v78
	v_cndmask_b32_e64 v70, v70, v71, s[14:15]
	v_cmp_lt_i32_e64 s[14:15], v75, v6
	s_or_b64 s[16:17], s[16:17], s[18:19]
	s_and_b64 s[14:15], s[14:15], s[16:17]
	v_cndmask_b32_e64 v71, v78, v79, s[14:15]
	s_barrier
	ds_write2_b32 v2, v70, v72 offset1:1
	ds_write2_b32 v2, v74, v71 offset0:2 offset1:3
	v_mov_b32_e32 v72, v18
	s_waitcnt lgkmcnt(0)
	s_barrier
	s_and_saveexec_b64 s[16:17], s[0:1]
	s_cbranch_execz .LBB26_22
; %bb.19:                               ;   in Loop: Header=BB26_2 Depth=1
	s_mov_b64 s[18:19], 0
	v_mov_b32_e32 v72, v18
	v_mov_b32_e32 v70, v19
.LBB26_20:                              ;   Parent Loop BB26_2 Depth=1
                                        ; =>  This Inner Loop Header: Depth=2
	v_sub_u32_e32 v71, v70, v72
	v_lshrrev_b32_e32 v73, 31, v71
	v_add_u32_e32 v71, v71, v73
	v_ashrrev_i32_e32 v71, 1, v71
	v_add_u32_e32 v71, v71, v72
	v_xad_u32 v74, v71, -1, v13
	v_lshl_add_u32 v73, v71, 2, v16
	v_lshl_add_u32 v74, v74, 2, v17
	ds_read_b32 v73, v73
	ds_read_b32 v74, v74
	v_add_u32_e32 v75, 1, v71
	s_waitcnt lgkmcnt(0)
	v_cmp_lt_i32_e64 s[14:15], v74, v73
	s_nop 1
	v_cndmask_b32_e64 v70, v70, v71, s[14:15]
	v_cndmask_b32_e64 v72, v75, v72, s[14:15]
	v_cmp_ge_i32_e64 s[14:15], v72, v70
	s_or_b64 s[18:19], s[14:15], s[18:19]
	s_andn2_b64 exec, exec, s[18:19]
	s_cbranch_execnz .LBB26_20
; %bb.21:                               ;   in Loop: Header=BB26_2 Depth=1
	s_or_b64 exec, exec, s[18:19]
.LBB26_22:                              ;   in Loop: Header=BB26_2 Depth=1
	s_or_b64 exec, exec, s[16:17]
	v_sub_u32_e32 v74, v20, v72
	v_lshl_add_u32 v77, v72, 2, v16
	v_lshlrev_b32_e32 v76, 2, v74
	ds_read_b32 v70, v77
	ds_read_b32 v71, v76
	v_add_u32_e32 v75, v72, v12
	v_cmp_le_i32_e64 s[16:17], v14, v75
	v_cmp_gt_i32_e64 s[14:15], v15, v74
                                        ; implicit-def: $vgpr72
                                        ; implicit-def: $vgpr73
	s_waitcnt lgkmcnt(0)
	v_cmp_lt_i32_e64 s[18:19], v71, v70
	s_or_b64 s[16:17], s[16:17], s[18:19]
	s_and_b64 s[14:15], s[14:15], s[16:17]
	s_xor_b64 s[16:17], s[14:15], -1
	s_and_saveexec_b64 s[18:19], s[16:17]
	s_xor_b64 s[16:17], exec, s[18:19]
	s_cbranch_execz .LBB26_24
; %bb.23:                               ;   in Loop: Header=BB26_2 Depth=1
	ds_read_b32 v73, v77 offset:4
	v_mov_b32_e32 v72, v71
                                        ; implicit-def: $vgpr76
.LBB26_24:                              ;   in Loop: Header=BB26_2 Depth=1
	s_andn2_saveexec_b64 s[16:17], s[16:17]
	s_cbranch_execz .LBB26_26
; %bb.25:                               ;   in Loop: Header=BB26_2 Depth=1
	ds_read_b32 v72, v76 offset:4
	s_waitcnt lgkmcnt(1)
	v_mov_b32_e32 v73, v70
.LBB26_26:                              ;   in Loop: Header=BB26_2 Depth=1
	s_or_b64 exec, exec, s[16:17]
	v_add_u32_e32 v77, 1, v75
	v_add_u32_e32 v76, 1, v74
	v_cndmask_b32_e64 v77, v77, v75, s[14:15]
	v_cndmask_b32_e64 v76, v74, v76, s[14:15]
	v_cmp_ge_i32_e64 s[18:19], v77, v14
	s_waitcnt lgkmcnt(0)
	v_cmp_lt_i32_e64 s[20:21], v72, v73
	v_cmp_lt_i32_e64 s[16:17], v76, v15
	s_or_b64 s[18:19], s[18:19], s[20:21]
	s_and_b64 s[16:17], s[16:17], s[18:19]
	s_xor_b64 s[18:19], s[16:17], -1
                                        ; implicit-def: $vgpr74
	s_and_saveexec_b64 s[20:21], s[18:19]
	s_xor_b64 s[18:19], exec, s[20:21]
	s_cbranch_execz .LBB26_28
; %bb.27:                               ;   in Loop: Header=BB26_2 Depth=1
	v_lshlrev_b32_e32 v74, 2, v77
	ds_read_b32 v74, v74 offset:4
.LBB26_28:                              ;   in Loop: Header=BB26_2 Depth=1
	s_or_saveexec_b64 s[18:19], s[18:19]
	v_mov_b32_e32 v75, v72
	s_xor_b64 exec, exec, s[18:19]
	s_cbranch_execz .LBB26_30
; %bb.29:                               ;   in Loop: Header=BB26_2 Depth=1
	s_waitcnt lgkmcnt(0)
	v_lshlrev_b32_e32 v74, 2, v76
	ds_read_b32 v75, v74 offset:4
	v_mov_b32_e32 v74, v73
.LBB26_30:                              ;   in Loop: Header=BB26_2 Depth=1
	s_or_b64 exec, exec, s[18:19]
	v_add_u32_e32 v79, 1, v77
	v_add_u32_e32 v78, 1, v76
	v_cndmask_b32_e64 v77, v79, v77, s[16:17]
	v_cndmask_b32_e64 v76, v76, v78, s[16:17]
	v_cmp_ge_i32_e64 s[20:21], v77, v14
	s_waitcnt lgkmcnt(0)
	v_cmp_lt_i32_e64 s[22:23], v75, v74
	v_cmp_lt_i32_e64 s[18:19], v76, v15
	s_or_b64 s[20:21], s[20:21], s[22:23]
	s_and_b64 s[18:19], s[18:19], s[20:21]
	s_xor_b64 s[20:21], s[18:19], -1
                                        ; implicit-def: $vgpr78
	s_and_saveexec_b64 s[22:23], s[20:21]
	s_xor_b64 s[20:21], exec, s[22:23]
	s_cbranch_execz .LBB26_32
; %bb.31:                               ;   in Loop: Header=BB26_2 Depth=1
	v_lshlrev_b32_e32 v78, 2, v77
	ds_read_b32 v78, v78 offset:4
.LBB26_32:                              ;   in Loop: Header=BB26_2 Depth=1
	s_or_saveexec_b64 s[20:21], s[20:21]
	v_mov_b32_e32 v79, v75
	s_xor_b64 exec, exec, s[20:21]
	s_cbranch_execz .LBB26_34
; %bb.33:                               ;   in Loop: Header=BB26_2 Depth=1
	s_waitcnt lgkmcnt(0)
	v_lshlrev_b32_e32 v78, 2, v76
	ds_read_b32 v79, v78 offset:4
	v_mov_b32_e32 v78, v74
.LBB26_34:                              ;   in Loop: Header=BB26_2 Depth=1
	s_or_b64 exec, exec, s[20:21]
	v_cndmask_b32_e64 v74, v74, v75, s[18:19]
	v_add_u32_e32 v75, 1, v76
	v_add_u32_e32 v80, 1, v77
	v_cndmask_b32_e64 v75, v76, v75, s[18:19]
	v_cndmask_b32_e64 v76, v80, v77, s[18:19]
	;; [unrolled: 1-line block ×3, first 2 shown]
	v_cmp_ge_i32_e64 s[16:17], v76, v14
	s_waitcnt lgkmcnt(0)
	v_cmp_lt_i32_e64 s[18:19], v79, v78
	v_cndmask_b32_e64 v70, v70, v71, s[14:15]
	v_cmp_lt_i32_e64 s[14:15], v75, v15
	s_or_b64 s[16:17], s[16:17], s[18:19]
	s_and_b64 s[14:15], s[14:15], s[16:17]
	v_cndmask_b32_e64 v71, v78, v79, s[14:15]
	s_barrier
	ds_write2_b32 v2, v70, v72 offset1:1
	ds_write2_b32 v2, v74, v71 offset0:2 offset1:3
	v_mov_b32_e32 v72, v26
	s_waitcnt lgkmcnt(0)
	s_barrier
	s_and_saveexec_b64 s[16:17], s[2:3]
	s_cbranch_execz .LBB26_38
; %bb.35:                               ;   in Loop: Header=BB26_2 Depth=1
	s_mov_b64 s[18:19], 0
	v_mov_b32_e32 v72, v26
	v_mov_b32_e32 v70, v27
.LBB26_36:                              ;   Parent Loop BB26_2 Depth=1
                                        ; =>  This Inner Loop Header: Depth=2
	v_sub_u32_e32 v71, v70, v72
	v_lshrrev_b32_e32 v73, 31, v71
	v_add_u32_e32 v71, v71, v73
	v_ashrrev_i32_e32 v71, 1, v71
	v_add_u32_e32 v71, v71, v72
	v_xad_u32 v74, v71, -1, v22
	v_lshl_add_u32 v73, v71, 2, v25
	v_lshl_add_u32 v74, v74, 2, v55
	ds_read_b32 v73, v73
	ds_read_b32 v74, v74
	v_add_u32_e32 v75, 1, v71
	s_waitcnt lgkmcnt(0)
	v_cmp_lt_i32_e64 s[14:15], v74, v73
	s_nop 1
	v_cndmask_b32_e64 v70, v70, v71, s[14:15]
	v_cndmask_b32_e64 v72, v75, v72, s[14:15]
	v_cmp_ge_i32_e64 s[14:15], v72, v70
	s_or_b64 s[18:19], s[14:15], s[18:19]
	s_andn2_b64 exec, exec, s[18:19]
	s_cbranch_execnz .LBB26_36
; %bb.37:                               ;   in Loop: Header=BB26_2 Depth=1
	s_or_b64 exec, exec, s[18:19]
.LBB26_38:                              ;   in Loop: Header=BB26_2 Depth=1
	s_or_b64 exec, exec, s[16:17]
	v_sub_u32_e32 v74, v56, v72
	v_lshl_add_u32 v77, v72, 2, v25
	v_lshlrev_b32_e32 v76, 2, v74
	ds_read_b32 v70, v77
	ds_read_b32 v71, v76
	v_add_u32_e32 v75, v72, v21
	v_cmp_le_i32_e64 s[16:17], v23, v75
	v_cmp_gt_i32_e64 s[14:15], v24, v74
                                        ; implicit-def: $vgpr72
                                        ; implicit-def: $vgpr73
	s_waitcnt lgkmcnt(0)
	v_cmp_lt_i32_e64 s[18:19], v71, v70
	s_or_b64 s[16:17], s[16:17], s[18:19]
	s_and_b64 s[14:15], s[14:15], s[16:17]
	s_xor_b64 s[16:17], s[14:15], -1
	s_and_saveexec_b64 s[18:19], s[16:17]
	s_xor_b64 s[16:17], exec, s[18:19]
	s_cbranch_execz .LBB26_40
; %bb.39:                               ;   in Loop: Header=BB26_2 Depth=1
	ds_read_b32 v73, v77 offset:4
	v_mov_b32_e32 v72, v71
                                        ; implicit-def: $vgpr76
.LBB26_40:                              ;   in Loop: Header=BB26_2 Depth=1
	s_andn2_saveexec_b64 s[16:17], s[16:17]
	s_cbranch_execz .LBB26_42
; %bb.41:                               ;   in Loop: Header=BB26_2 Depth=1
	ds_read_b32 v72, v76 offset:4
	s_waitcnt lgkmcnt(1)
	v_mov_b32_e32 v73, v70
.LBB26_42:                              ;   in Loop: Header=BB26_2 Depth=1
	s_or_b64 exec, exec, s[16:17]
	v_add_u32_e32 v77, 1, v75
	v_add_u32_e32 v76, 1, v74
	v_cndmask_b32_e64 v77, v77, v75, s[14:15]
	v_cndmask_b32_e64 v76, v74, v76, s[14:15]
	v_cmp_ge_i32_e64 s[18:19], v77, v23
	s_waitcnt lgkmcnt(0)
	v_cmp_lt_i32_e64 s[20:21], v72, v73
	v_cmp_lt_i32_e64 s[16:17], v76, v24
	s_or_b64 s[18:19], s[18:19], s[20:21]
	s_and_b64 s[16:17], s[16:17], s[18:19]
	s_xor_b64 s[18:19], s[16:17], -1
                                        ; implicit-def: $vgpr74
	s_and_saveexec_b64 s[20:21], s[18:19]
	s_xor_b64 s[18:19], exec, s[20:21]
	s_cbranch_execz .LBB26_44
; %bb.43:                               ;   in Loop: Header=BB26_2 Depth=1
	v_lshlrev_b32_e32 v74, 2, v77
	ds_read_b32 v74, v74 offset:4
.LBB26_44:                              ;   in Loop: Header=BB26_2 Depth=1
	s_or_saveexec_b64 s[18:19], s[18:19]
	v_mov_b32_e32 v75, v72
	s_xor_b64 exec, exec, s[18:19]
	s_cbranch_execz .LBB26_46
; %bb.45:                               ;   in Loop: Header=BB26_2 Depth=1
	s_waitcnt lgkmcnt(0)
	v_lshlrev_b32_e32 v74, 2, v76
	ds_read_b32 v75, v74 offset:4
	v_mov_b32_e32 v74, v73
.LBB26_46:                              ;   in Loop: Header=BB26_2 Depth=1
	s_or_b64 exec, exec, s[18:19]
	v_add_u32_e32 v79, 1, v77
	v_add_u32_e32 v78, 1, v76
	v_cndmask_b32_e64 v77, v79, v77, s[16:17]
	v_cndmask_b32_e64 v76, v76, v78, s[16:17]
	v_cmp_ge_i32_e64 s[20:21], v77, v23
	s_waitcnt lgkmcnt(0)
	v_cmp_lt_i32_e64 s[22:23], v75, v74
	v_cmp_lt_i32_e64 s[18:19], v76, v24
	s_or_b64 s[20:21], s[20:21], s[22:23]
	s_and_b64 s[18:19], s[18:19], s[20:21]
	s_xor_b64 s[20:21], s[18:19], -1
                                        ; implicit-def: $vgpr78
	s_and_saveexec_b64 s[22:23], s[20:21]
	s_xor_b64 s[20:21], exec, s[22:23]
	s_cbranch_execz .LBB26_48
; %bb.47:                               ;   in Loop: Header=BB26_2 Depth=1
	v_lshlrev_b32_e32 v78, 2, v77
	ds_read_b32 v78, v78 offset:4
.LBB26_48:                              ;   in Loop: Header=BB26_2 Depth=1
	s_or_saveexec_b64 s[20:21], s[20:21]
	v_mov_b32_e32 v79, v75
	s_xor_b64 exec, exec, s[20:21]
	s_cbranch_execz .LBB26_50
; %bb.49:                               ;   in Loop: Header=BB26_2 Depth=1
	s_waitcnt lgkmcnt(0)
	v_lshlrev_b32_e32 v78, 2, v76
	ds_read_b32 v79, v78 offset:4
	v_mov_b32_e32 v78, v74
.LBB26_50:                              ;   in Loop: Header=BB26_2 Depth=1
	s_or_b64 exec, exec, s[20:21]
	v_cndmask_b32_e64 v74, v74, v75, s[18:19]
	v_add_u32_e32 v75, 1, v76
	v_add_u32_e32 v80, 1, v77
	v_cndmask_b32_e64 v75, v76, v75, s[18:19]
	v_cndmask_b32_e64 v76, v80, v77, s[18:19]
	;; [unrolled: 1-line block ×3, first 2 shown]
	v_cmp_ge_i32_e64 s[16:17], v76, v23
	s_waitcnt lgkmcnt(0)
	v_cmp_lt_i32_e64 s[18:19], v79, v78
	v_cndmask_b32_e64 v70, v70, v71, s[14:15]
	v_cmp_lt_i32_e64 s[14:15], v75, v24
	s_or_b64 s[16:17], s[16:17], s[18:19]
	s_and_b64 s[14:15], s[14:15], s[16:17]
	v_cndmask_b32_e64 v71, v78, v79, s[14:15]
	s_barrier
	ds_write2_b32 v2, v70, v72 offset1:1
	ds_write2_b32 v2, v74, v71 offset0:2 offset1:3
	v_mov_b32_e32 v72, v32
	s_waitcnt lgkmcnt(0)
	s_barrier
	s_and_saveexec_b64 s[16:17], s[4:5]
	s_cbranch_execz .LBB26_54
; %bb.51:                               ;   in Loop: Header=BB26_2 Depth=1
	s_mov_b64 s[18:19], 0
	v_mov_b32_e32 v72, v32
	v_mov_b32_e32 v70, v33
.LBB26_52:                              ;   Parent Loop BB26_2 Depth=1
                                        ; =>  This Inner Loop Header: Depth=2
	v_sub_u32_e32 v71, v70, v72
	v_lshrrev_b32_e32 v73, 31, v71
	v_add_u32_e32 v71, v71, v73
	v_ashrrev_i32_e32 v71, 1, v71
	v_add_u32_e32 v71, v71, v72
	v_xad_u32 v74, v71, -1, v29
	v_lshl_add_u32 v73, v71, 2, v57
	v_lshl_add_u32 v74, v74, 2, v58
	ds_read_b32 v73, v73
	ds_read_b32 v74, v74
	v_add_u32_e32 v75, 1, v71
	s_waitcnt lgkmcnt(0)
	v_cmp_lt_i32_e64 s[14:15], v74, v73
	s_nop 1
	v_cndmask_b32_e64 v70, v70, v71, s[14:15]
	v_cndmask_b32_e64 v72, v75, v72, s[14:15]
	v_cmp_ge_i32_e64 s[14:15], v72, v70
	s_or_b64 s[18:19], s[14:15], s[18:19]
	s_andn2_b64 exec, exec, s[18:19]
	s_cbranch_execnz .LBB26_52
; %bb.53:                               ;   in Loop: Header=BB26_2 Depth=1
	s_or_b64 exec, exec, s[18:19]
.LBB26_54:                              ;   in Loop: Header=BB26_2 Depth=1
	s_or_b64 exec, exec, s[16:17]
	v_sub_u32_e32 v74, v59, v72
	v_lshl_add_u32 v77, v72, 2, v57
	v_lshlrev_b32_e32 v76, 2, v74
	ds_read_b32 v70, v77
	ds_read_b32 v71, v76
	v_add_u32_e32 v75, v72, v28
	v_cmp_le_i32_e64 s[16:17], v30, v75
	v_cmp_gt_i32_e64 s[14:15], v31, v74
                                        ; implicit-def: $vgpr72
                                        ; implicit-def: $vgpr73
	s_waitcnt lgkmcnt(0)
	v_cmp_lt_i32_e64 s[18:19], v71, v70
	s_or_b64 s[16:17], s[16:17], s[18:19]
	s_and_b64 s[14:15], s[14:15], s[16:17]
	s_xor_b64 s[16:17], s[14:15], -1
	s_and_saveexec_b64 s[18:19], s[16:17]
	s_xor_b64 s[16:17], exec, s[18:19]
	s_cbranch_execz .LBB26_56
; %bb.55:                               ;   in Loop: Header=BB26_2 Depth=1
	ds_read_b32 v73, v77 offset:4
	v_mov_b32_e32 v72, v71
                                        ; implicit-def: $vgpr76
.LBB26_56:                              ;   in Loop: Header=BB26_2 Depth=1
	s_andn2_saveexec_b64 s[16:17], s[16:17]
	s_cbranch_execz .LBB26_58
; %bb.57:                               ;   in Loop: Header=BB26_2 Depth=1
	ds_read_b32 v72, v76 offset:4
	s_waitcnt lgkmcnt(1)
	v_mov_b32_e32 v73, v70
.LBB26_58:                              ;   in Loop: Header=BB26_2 Depth=1
	s_or_b64 exec, exec, s[16:17]
	v_add_u32_e32 v77, 1, v75
	v_add_u32_e32 v76, 1, v74
	v_cndmask_b32_e64 v77, v77, v75, s[14:15]
	v_cndmask_b32_e64 v76, v74, v76, s[14:15]
	v_cmp_ge_i32_e64 s[18:19], v77, v30
	s_waitcnt lgkmcnt(0)
	v_cmp_lt_i32_e64 s[20:21], v72, v73
	v_cmp_lt_i32_e64 s[16:17], v76, v31
	s_or_b64 s[18:19], s[18:19], s[20:21]
	s_and_b64 s[16:17], s[16:17], s[18:19]
	s_xor_b64 s[18:19], s[16:17], -1
                                        ; implicit-def: $vgpr74
	s_and_saveexec_b64 s[20:21], s[18:19]
	s_xor_b64 s[18:19], exec, s[20:21]
	s_cbranch_execz .LBB26_60
; %bb.59:                               ;   in Loop: Header=BB26_2 Depth=1
	v_lshlrev_b32_e32 v74, 2, v77
	ds_read_b32 v74, v74 offset:4
.LBB26_60:                              ;   in Loop: Header=BB26_2 Depth=1
	s_or_saveexec_b64 s[18:19], s[18:19]
	v_mov_b32_e32 v75, v72
	s_xor_b64 exec, exec, s[18:19]
	s_cbranch_execz .LBB26_62
; %bb.61:                               ;   in Loop: Header=BB26_2 Depth=1
	s_waitcnt lgkmcnt(0)
	v_lshlrev_b32_e32 v74, 2, v76
	ds_read_b32 v75, v74 offset:4
	v_mov_b32_e32 v74, v73
.LBB26_62:                              ;   in Loop: Header=BB26_2 Depth=1
	s_or_b64 exec, exec, s[18:19]
	v_add_u32_e32 v79, 1, v77
	v_add_u32_e32 v78, 1, v76
	v_cndmask_b32_e64 v77, v79, v77, s[16:17]
	v_cndmask_b32_e64 v76, v76, v78, s[16:17]
	v_cmp_ge_i32_e64 s[20:21], v77, v30
	s_waitcnt lgkmcnt(0)
	v_cmp_lt_i32_e64 s[22:23], v75, v74
	v_cmp_lt_i32_e64 s[18:19], v76, v31
	s_or_b64 s[20:21], s[20:21], s[22:23]
	s_and_b64 s[18:19], s[18:19], s[20:21]
	s_xor_b64 s[20:21], s[18:19], -1
                                        ; implicit-def: $vgpr78
	s_and_saveexec_b64 s[22:23], s[20:21]
	s_xor_b64 s[20:21], exec, s[22:23]
	s_cbranch_execz .LBB26_64
; %bb.63:                               ;   in Loop: Header=BB26_2 Depth=1
	v_lshlrev_b32_e32 v78, 2, v77
	ds_read_b32 v78, v78 offset:4
.LBB26_64:                              ;   in Loop: Header=BB26_2 Depth=1
	s_or_saveexec_b64 s[20:21], s[20:21]
	v_mov_b32_e32 v79, v75
	s_xor_b64 exec, exec, s[20:21]
	s_cbranch_execz .LBB26_66
; %bb.65:                               ;   in Loop: Header=BB26_2 Depth=1
	s_waitcnt lgkmcnt(0)
	v_lshlrev_b32_e32 v78, 2, v76
	ds_read_b32 v79, v78 offset:4
	v_mov_b32_e32 v78, v74
.LBB26_66:                              ;   in Loop: Header=BB26_2 Depth=1
	s_or_b64 exec, exec, s[20:21]
	v_cndmask_b32_e64 v74, v74, v75, s[18:19]
	v_add_u32_e32 v75, 1, v76
	v_add_u32_e32 v80, 1, v77
	v_cndmask_b32_e64 v75, v76, v75, s[18:19]
	v_cndmask_b32_e64 v76, v80, v77, s[18:19]
	;; [unrolled: 1-line block ×3, first 2 shown]
	v_cmp_ge_i32_e64 s[16:17], v76, v30
	s_waitcnt lgkmcnt(0)
	v_cmp_lt_i32_e64 s[18:19], v79, v78
	v_cndmask_b32_e64 v70, v70, v71, s[14:15]
	v_cmp_lt_i32_e64 s[14:15], v75, v31
	s_or_b64 s[16:17], s[16:17], s[18:19]
	s_and_b64 s[14:15], s[14:15], s[16:17]
	v_cndmask_b32_e64 v71, v78, v79, s[14:15]
	s_barrier
	ds_write2_b32 v2, v70, v72 offset1:1
	ds_write2_b32 v2, v74, v71 offset0:2 offset1:3
	v_mov_b32_e32 v72, v38
	s_waitcnt lgkmcnt(0)
	s_barrier
	s_and_saveexec_b64 s[16:17], s[6:7]
	s_cbranch_execz .LBB26_70
; %bb.67:                               ;   in Loop: Header=BB26_2 Depth=1
	s_mov_b64 s[18:19], 0
	v_mov_b32_e32 v72, v38
	v_mov_b32_e32 v70, v39
.LBB26_68:                              ;   Parent Loop BB26_2 Depth=1
                                        ; =>  This Inner Loop Header: Depth=2
	v_sub_u32_e32 v71, v70, v72
	v_lshrrev_b32_e32 v73, 31, v71
	v_add_u32_e32 v71, v71, v73
	v_ashrrev_i32_e32 v71, 1, v71
	v_add_u32_e32 v71, v71, v72
	v_xad_u32 v74, v71, -1, v35
	v_lshl_add_u32 v73, v71, 2, v60
	v_lshl_add_u32 v74, v74, 2, v61
	ds_read_b32 v73, v73
	ds_read_b32 v74, v74
	v_add_u32_e32 v75, 1, v71
	s_waitcnt lgkmcnt(0)
	v_cmp_lt_i32_e64 s[14:15], v74, v73
	s_nop 1
	v_cndmask_b32_e64 v70, v70, v71, s[14:15]
	v_cndmask_b32_e64 v72, v75, v72, s[14:15]
	v_cmp_ge_i32_e64 s[14:15], v72, v70
	s_or_b64 s[18:19], s[14:15], s[18:19]
	s_andn2_b64 exec, exec, s[18:19]
	s_cbranch_execnz .LBB26_68
; %bb.69:                               ;   in Loop: Header=BB26_2 Depth=1
	s_or_b64 exec, exec, s[18:19]
.LBB26_70:                              ;   in Loop: Header=BB26_2 Depth=1
	s_or_b64 exec, exec, s[16:17]
	v_sub_u32_e32 v74, v62, v72
	v_lshl_add_u32 v77, v72, 2, v60
	v_lshlrev_b32_e32 v76, 2, v74
	ds_read_b32 v70, v77
	ds_read_b32 v71, v76
	v_add_u32_e32 v75, v72, v34
	v_cmp_le_i32_e64 s[16:17], v36, v75
	v_cmp_gt_i32_e64 s[14:15], v37, v74
                                        ; implicit-def: $vgpr72
                                        ; implicit-def: $vgpr73
	s_waitcnt lgkmcnt(0)
	v_cmp_lt_i32_e64 s[18:19], v71, v70
	s_or_b64 s[16:17], s[16:17], s[18:19]
	s_and_b64 s[14:15], s[14:15], s[16:17]
	s_xor_b64 s[16:17], s[14:15], -1
	s_and_saveexec_b64 s[18:19], s[16:17]
	s_xor_b64 s[16:17], exec, s[18:19]
	s_cbranch_execz .LBB26_72
; %bb.71:                               ;   in Loop: Header=BB26_2 Depth=1
	ds_read_b32 v73, v77 offset:4
	v_mov_b32_e32 v72, v71
                                        ; implicit-def: $vgpr76
.LBB26_72:                              ;   in Loop: Header=BB26_2 Depth=1
	s_andn2_saveexec_b64 s[16:17], s[16:17]
	s_cbranch_execz .LBB26_74
; %bb.73:                               ;   in Loop: Header=BB26_2 Depth=1
	ds_read_b32 v72, v76 offset:4
	s_waitcnt lgkmcnt(1)
	v_mov_b32_e32 v73, v70
.LBB26_74:                              ;   in Loop: Header=BB26_2 Depth=1
	s_or_b64 exec, exec, s[16:17]
	v_add_u32_e32 v77, 1, v75
	v_add_u32_e32 v76, 1, v74
	v_cndmask_b32_e64 v77, v77, v75, s[14:15]
	v_cndmask_b32_e64 v76, v74, v76, s[14:15]
	v_cmp_ge_i32_e64 s[18:19], v77, v36
	s_waitcnt lgkmcnt(0)
	v_cmp_lt_i32_e64 s[20:21], v72, v73
	v_cmp_lt_i32_e64 s[16:17], v76, v37
	s_or_b64 s[18:19], s[18:19], s[20:21]
	s_and_b64 s[16:17], s[16:17], s[18:19]
	s_xor_b64 s[18:19], s[16:17], -1
                                        ; implicit-def: $vgpr74
	s_and_saveexec_b64 s[20:21], s[18:19]
	s_xor_b64 s[18:19], exec, s[20:21]
	s_cbranch_execz .LBB26_76
; %bb.75:                               ;   in Loop: Header=BB26_2 Depth=1
	v_lshlrev_b32_e32 v74, 2, v77
	ds_read_b32 v74, v74 offset:4
.LBB26_76:                              ;   in Loop: Header=BB26_2 Depth=1
	s_or_saveexec_b64 s[18:19], s[18:19]
	v_mov_b32_e32 v75, v72
	s_xor_b64 exec, exec, s[18:19]
	s_cbranch_execz .LBB26_78
; %bb.77:                               ;   in Loop: Header=BB26_2 Depth=1
	s_waitcnt lgkmcnt(0)
	v_lshlrev_b32_e32 v74, 2, v76
	ds_read_b32 v75, v74 offset:4
	v_mov_b32_e32 v74, v73
.LBB26_78:                              ;   in Loop: Header=BB26_2 Depth=1
	s_or_b64 exec, exec, s[18:19]
	v_add_u32_e32 v79, 1, v77
	v_add_u32_e32 v78, 1, v76
	v_cndmask_b32_e64 v77, v79, v77, s[16:17]
	v_cndmask_b32_e64 v76, v76, v78, s[16:17]
	v_cmp_ge_i32_e64 s[20:21], v77, v36
	s_waitcnt lgkmcnt(0)
	v_cmp_lt_i32_e64 s[22:23], v75, v74
	v_cmp_lt_i32_e64 s[18:19], v76, v37
	s_or_b64 s[20:21], s[20:21], s[22:23]
	s_and_b64 s[18:19], s[18:19], s[20:21]
	s_xor_b64 s[20:21], s[18:19], -1
                                        ; implicit-def: $vgpr78
	s_and_saveexec_b64 s[22:23], s[20:21]
	s_xor_b64 s[20:21], exec, s[22:23]
	s_cbranch_execz .LBB26_80
; %bb.79:                               ;   in Loop: Header=BB26_2 Depth=1
	v_lshlrev_b32_e32 v78, 2, v77
	ds_read_b32 v78, v78 offset:4
.LBB26_80:                              ;   in Loop: Header=BB26_2 Depth=1
	s_or_saveexec_b64 s[20:21], s[20:21]
	v_mov_b32_e32 v79, v75
	s_xor_b64 exec, exec, s[20:21]
	s_cbranch_execz .LBB26_82
; %bb.81:                               ;   in Loop: Header=BB26_2 Depth=1
	s_waitcnt lgkmcnt(0)
	v_lshlrev_b32_e32 v78, 2, v76
	ds_read_b32 v79, v78 offset:4
	v_mov_b32_e32 v78, v74
.LBB26_82:                              ;   in Loop: Header=BB26_2 Depth=1
	s_or_b64 exec, exec, s[20:21]
	v_cndmask_b32_e64 v74, v74, v75, s[18:19]
	v_add_u32_e32 v75, 1, v76
	v_add_u32_e32 v80, 1, v77
	v_cndmask_b32_e64 v75, v76, v75, s[18:19]
	v_cndmask_b32_e64 v76, v80, v77, s[18:19]
	;; [unrolled: 1-line block ×3, first 2 shown]
	v_cmp_ge_i32_e64 s[16:17], v76, v36
	s_waitcnt lgkmcnt(0)
	v_cmp_lt_i32_e64 s[18:19], v79, v78
	v_cndmask_b32_e64 v70, v70, v71, s[14:15]
	v_cmp_lt_i32_e64 s[14:15], v75, v37
	s_or_b64 s[16:17], s[16:17], s[18:19]
	s_and_b64 s[14:15], s[14:15], s[16:17]
	v_cndmask_b32_e64 v71, v78, v79, s[14:15]
	s_barrier
	ds_write2_b32 v2, v70, v72 offset1:1
	ds_write2_b32 v2, v74, v71 offset0:2 offset1:3
	v_mov_b32_e32 v72, v44
	s_waitcnt lgkmcnt(0)
	s_barrier
	s_and_saveexec_b64 s[16:17], s[8:9]
	s_cbranch_execz .LBB26_86
; %bb.83:                               ;   in Loop: Header=BB26_2 Depth=1
	s_mov_b64 s[18:19], 0
	v_mov_b32_e32 v72, v44
	v_mov_b32_e32 v70, v45
.LBB26_84:                              ;   Parent Loop BB26_2 Depth=1
                                        ; =>  This Inner Loop Header: Depth=2
	v_sub_u32_e32 v71, v70, v72
	v_lshrrev_b32_e32 v73, 31, v71
	v_add_u32_e32 v71, v71, v73
	v_ashrrev_i32_e32 v71, 1, v71
	v_add_u32_e32 v71, v71, v72
	v_xad_u32 v74, v71, -1, v41
	v_lshl_add_u32 v73, v71, 2, v63
	v_lshl_add_u32 v74, v74, 2, v64
	ds_read_b32 v73, v73
	ds_read_b32 v74, v74
	v_add_u32_e32 v75, 1, v71
	s_waitcnt lgkmcnt(0)
	v_cmp_lt_i32_e64 s[14:15], v74, v73
	s_nop 1
	v_cndmask_b32_e64 v70, v70, v71, s[14:15]
	v_cndmask_b32_e64 v72, v75, v72, s[14:15]
	v_cmp_ge_i32_e64 s[14:15], v72, v70
	s_or_b64 s[18:19], s[14:15], s[18:19]
	s_andn2_b64 exec, exec, s[18:19]
	s_cbranch_execnz .LBB26_84
; %bb.85:                               ;   in Loop: Header=BB26_2 Depth=1
	s_or_b64 exec, exec, s[18:19]
.LBB26_86:                              ;   in Loop: Header=BB26_2 Depth=1
	s_or_b64 exec, exec, s[16:17]
	v_sub_u32_e32 v74, v65, v72
	v_lshl_add_u32 v77, v72, 2, v63
	v_lshlrev_b32_e32 v76, 2, v74
	ds_read_b32 v70, v77
	ds_read_b32 v71, v76
	v_add_u32_e32 v75, v72, v40
	v_cmp_le_i32_e64 s[16:17], v42, v75
	v_cmp_gt_i32_e64 s[14:15], v43, v74
                                        ; implicit-def: $vgpr72
                                        ; implicit-def: $vgpr73
	s_waitcnt lgkmcnt(0)
	v_cmp_lt_i32_e64 s[18:19], v71, v70
	s_or_b64 s[16:17], s[16:17], s[18:19]
	s_and_b64 s[14:15], s[14:15], s[16:17]
	s_xor_b64 s[16:17], s[14:15], -1
	s_and_saveexec_b64 s[18:19], s[16:17]
	s_xor_b64 s[16:17], exec, s[18:19]
	s_cbranch_execz .LBB26_88
; %bb.87:                               ;   in Loop: Header=BB26_2 Depth=1
	ds_read_b32 v73, v77 offset:4
	v_mov_b32_e32 v72, v71
                                        ; implicit-def: $vgpr76
.LBB26_88:                              ;   in Loop: Header=BB26_2 Depth=1
	s_andn2_saveexec_b64 s[16:17], s[16:17]
	s_cbranch_execz .LBB26_90
; %bb.89:                               ;   in Loop: Header=BB26_2 Depth=1
	ds_read_b32 v72, v76 offset:4
	s_waitcnt lgkmcnt(1)
	v_mov_b32_e32 v73, v70
.LBB26_90:                              ;   in Loop: Header=BB26_2 Depth=1
	s_or_b64 exec, exec, s[16:17]
	v_add_u32_e32 v77, 1, v75
	v_add_u32_e32 v76, 1, v74
	v_cndmask_b32_e64 v77, v77, v75, s[14:15]
	v_cndmask_b32_e64 v76, v74, v76, s[14:15]
	v_cmp_ge_i32_e64 s[18:19], v77, v42
	s_waitcnt lgkmcnt(0)
	v_cmp_lt_i32_e64 s[20:21], v72, v73
	v_cmp_lt_i32_e64 s[16:17], v76, v43
	s_or_b64 s[18:19], s[18:19], s[20:21]
	s_and_b64 s[16:17], s[16:17], s[18:19]
	s_xor_b64 s[18:19], s[16:17], -1
                                        ; implicit-def: $vgpr74
	s_and_saveexec_b64 s[20:21], s[18:19]
	s_xor_b64 s[18:19], exec, s[20:21]
	s_cbranch_execz .LBB26_92
; %bb.91:                               ;   in Loop: Header=BB26_2 Depth=1
	v_lshlrev_b32_e32 v74, 2, v77
	ds_read_b32 v74, v74 offset:4
.LBB26_92:                              ;   in Loop: Header=BB26_2 Depth=1
	s_or_saveexec_b64 s[18:19], s[18:19]
	v_mov_b32_e32 v75, v72
	s_xor_b64 exec, exec, s[18:19]
	s_cbranch_execz .LBB26_94
; %bb.93:                               ;   in Loop: Header=BB26_2 Depth=1
	s_waitcnt lgkmcnt(0)
	v_lshlrev_b32_e32 v74, 2, v76
	ds_read_b32 v75, v74 offset:4
	v_mov_b32_e32 v74, v73
.LBB26_94:                              ;   in Loop: Header=BB26_2 Depth=1
	s_or_b64 exec, exec, s[18:19]
	v_add_u32_e32 v79, 1, v77
	v_add_u32_e32 v78, 1, v76
	v_cndmask_b32_e64 v77, v79, v77, s[16:17]
	v_cndmask_b32_e64 v76, v76, v78, s[16:17]
	v_cmp_ge_i32_e64 s[20:21], v77, v42
	s_waitcnt lgkmcnt(0)
	v_cmp_lt_i32_e64 s[22:23], v75, v74
	v_cmp_lt_i32_e64 s[18:19], v76, v43
	s_or_b64 s[20:21], s[20:21], s[22:23]
	s_and_b64 s[18:19], s[18:19], s[20:21]
	s_xor_b64 s[20:21], s[18:19], -1
                                        ; implicit-def: $vgpr78
	s_and_saveexec_b64 s[22:23], s[20:21]
	s_xor_b64 s[20:21], exec, s[22:23]
	s_cbranch_execz .LBB26_96
; %bb.95:                               ;   in Loop: Header=BB26_2 Depth=1
	v_lshlrev_b32_e32 v78, 2, v77
	ds_read_b32 v78, v78 offset:4
.LBB26_96:                              ;   in Loop: Header=BB26_2 Depth=1
	s_or_saveexec_b64 s[20:21], s[20:21]
	v_mov_b32_e32 v79, v75
	s_xor_b64 exec, exec, s[20:21]
	s_cbranch_execz .LBB26_98
; %bb.97:                               ;   in Loop: Header=BB26_2 Depth=1
	s_waitcnt lgkmcnt(0)
	v_lshlrev_b32_e32 v78, 2, v76
	ds_read_b32 v79, v78 offset:4
	v_mov_b32_e32 v78, v74
.LBB26_98:                              ;   in Loop: Header=BB26_2 Depth=1
	s_or_b64 exec, exec, s[20:21]
	v_cndmask_b32_e64 v74, v74, v75, s[18:19]
	v_add_u32_e32 v75, 1, v76
	v_add_u32_e32 v80, 1, v77
	v_cndmask_b32_e64 v75, v76, v75, s[18:19]
	v_cndmask_b32_e64 v76, v80, v77, s[18:19]
	;; [unrolled: 1-line block ×3, first 2 shown]
	v_cmp_ge_i32_e64 s[16:17], v76, v42
	s_waitcnt lgkmcnt(0)
	v_cmp_lt_i32_e64 s[18:19], v79, v78
	v_cndmask_b32_e64 v70, v70, v71, s[14:15]
	v_cmp_lt_i32_e64 s[14:15], v75, v43
	s_or_b64 s[16:17], s[16:17], s[18:19]
	s_and_b64 s[14:15], s[14:15], s[16:17]
	v_cndmask_b32_e64 v71, v78, v79, s[14:15]
	s_barrier
	ds_write2_b32 v2, v70, v72 offset1:1
	ds_write2_b32 v2, v74, v71 offset0:2 offset1:3
	v_mov_b32_e32 v72, v51
	s_waitcnt lgkmcnt(0)
	s_barrier
	s_and_saveexec_b64 s[16:17], s[10:11]
	s_cbranch_execz .LBB26_102
; %bb.99:                               ;   in Loop: Header=BB26_2 Depth=1
	s_mov_b64 s[18:19], 0
	v_mov_b32_e32 v72, v51
	v_mov_b32_e32 v70, v52
.LBB26_100:                             ;   Parent Loop BB26_2 Depth=1
                                        ; =>  This Inner Loop Header: Depth=2
	v_sub_u32_e32 v71, v70, v72
	v_lshrrev_b32_e32 v73, 31, v71
	v_add_u32_e32 v71, v71, v73
	v_ashrrev_i32_e32 v71, 1, v71
	v_add_u32_e32 v71, v71, v72
	v_xad_u32 v74, v71, -1, v48
	v_lshl_add_u32 v73, v71, 2, v66
	v_lshl_add_u32 v74, v74, 2, v67
	ds_read_b32 v73, v73
	ds_read_b32 v74, v74
	v_add_u32_e32 v75, 1, v71
	s_waitcnt lgkmcnt(0)
	v_cmp_lt_i32_e64 s[14:15], v74, v73
	s_nop 1
	v_cndmask_b32_e64 v70, v70, v71, s[14:15]
	v_cndmask_b32_e64 v72, v75, v72, s[14:15]
	v_cmp_ge_i32_e64 s[14:15], v72, v70
	s_or_b64 s[18:19], s[14:15], s[18:19]
	s_andn2_b64 exec, exec, s[18:19]
	s_cbranch_execnz .LBB26_100
; %bb.101:                              ;   in Loop: Header=BB26_2 Depth=1
	s_or_b64 exec, exec, s[18:19]
.LBB26_102:                             ;   in Loop: Header=BB26_2 Depth=1
	s_or_b64 exec, exec, s[16:17]
	v_sub_u32_e32 v74, v68, v72
	v_lshl_add_u32 v77, v72, 2, v66
	v_lshlrev_b32_e32 v76, 2, v74
	ds_read_b32 v70, v77
	ds_read_b32 v71, v76
	v_add_u32_e32 v75, v72, v47
	v_cmp_le_i32_e64 s[16:17], v49, v75
	v_cmp_gt_i32_e64 s[14:15], v50, v74
                                        ; implicit-def: $vgpr72
                                        ; implicit-def: $vgpr73
	s_waitcnt lgkmcnt(0)
	v_cmp_lt_i32_e64 s[18:19], v71, v70
	s_or_b64 s[16:17], s[16:17], s[18:19]
	s_and_b64 s[14:15], s[14:15], s[16:17]
	s_xor_b64 s[16:17], s[14:15], -1
	s_and_saveexec_b64 s[18:19], s[16:17]
	s_xor_b64 s[16:17], exec, s[18:19]
	s_cbranch_execz .LBB26_104
; %bb.103:                              ;   in Loop: Header=BB26_2 Depth=1
	ds_read_b32 v73, v77 offset:4
	v_mov_b32_e32 v72, v71
                                        ; implicit-def: $vgpr76
.LBB26_104:                             ;   in Loop: Header=BB26_2 Depth=1
	s_andn2_saveexec_b64 s[16:17], s[16:17]
	s_cbranch_execz .LBB26_106
; %bb.105:                              ;   in Loop: Header=BB26_2 Depth=1
	ds_read_b32 v72, v76 offset:4
	s_waitcnt lgkmcnt(1)
	v_mov_b32_e32 v73, v70
.LBB26_106:                             ;   in Loop: Header=BB26_2 Depth=1
	s_or_b64 exec, exec, s[16:17]
	v_add_u32_e32 v77, 1, v75
	v_add_u32_e32 v76, 1, v74
	v_cndmask_b32_e64 v77, v77, v75, s[14:15]
	v_cndmask_b32_e64 v76, v74, v76, s[14:15]
	v_cmp_ge_i32_e64 s[18:19], v77, v49
	s_waitcnt lgkmcnt(0)
	v_cmp_lt_i32_e64 s[20:21], v72, v73
	v_cmp_lt_i32_e64 s[16:17], v76, v50
	s_or_b64 s[18:19], s[18:19], s[20:21]
	s_and_b64 s[16:17], s[16:17], s[18:19]
	s_xor_b64 s[18:19], s[16:17], -1
                                        ; implicit-def: $vgpr74
	s_and_saveexec_b64 s[20:21], s[18:19]
	s_xor_b64 s[18:19], exec, s[20:21]
	s_cbranch_execz .LBB26_108
; %bb.107:                              ;   in Loop: Header=BB26_2 Depth=1
	v_lshlrev_b32_e32 v74, 2, v77
	ds_read_b32 v74, v74 offset:4
.LBB26_108:                             ;   in Loop: Header=BB26_2 Depth=1
	s_or_saveexec_b64 s[18:19], s[18:19]
	v_mov_b32_e32 v75, v72
	s_xor_b64 exec, exec, s[18:19]
	s_cbranch_execz .LBB26_110
; %bb.109:                              ;   in Loop: Header=BB26_2 Depth=1
	s_waitcnt lgkmcnt(0)
	v_lshlrev_b32_e32 v74, 2, v76
	ds_read_b32 v75, v74 offset:4
	v_mov_b32_e32 v74, v73
.LBB26_110:                             ;   in Loop: Header=BB26_2 Depth=1
	s_or_b64 exec, exec, s[18:19]
	v_add_u32_e32 v79, 1, v77
	v_add_u32_e32 v78, 1, v76
	v_cndmask_b32_e64 v77, v79, v77, s[16:17]
	v_cndmask_b32_e64 v76, v76, v78, s[16:17]
	v_cmp_ge_i32_e64 s[20:21], v77, v49
	s_waitcnt lgkmcnt(0)
	v_cmp_lt_i32_e64 s[22:23], v75, v74
	v_cmp_lt_i32_e64 s[18:19], v76, v50
	s_or_b64 s[20:21], s[20:21], s[22:23]
	s_and_b64 s[18:19], s[18:19], s[20:21]
	s_xor_b64 s[20:21], s[18:19], -1
                                        ; implicit-def: $vgpr78
	s_and_saveexec_b64 s[22:23], s[20:21]
	s_xor_b64 s[20:21], exec, s[22:23]
	s_cbranch_execz .LBB26_112
; %bb.111:                              ;   in Loop: Header=BB26_2 Depth=1
	v_lshlrev_b32_e32 v78, 2, v77
	ds_read_b32 v78, v78 offset:4
.LBB26_112:                             ;   in Loop: Header=BB26_2 Depth=1
	s_or_saveexec_b64 s[20:21], s[20:21]
	v_mov_b32_e32 v79, v75
	s_xor_b64 exec, exec, s[20:21]
	s_cbranch_execz .LBB26_114
; %bb.113:                              ;   in Loop: Header=BB26_2 Depth=1
	s_waitcnt lgkmcnt(0)
	v_lshlrev_b32_e32 v78, 2, v76
	ds_read_b32 v79, v78 offset:4
	v_mov_b32_e32 v78, v74
.LBB26_114:                             ;   in Loop: Header=BB26_2 Depth=1
	s_or_b64 exec, exec, s[20:21]
	v_cndmask_b32_e64 v74, v74, v75, s[18:19]
	v_add_u32_e32 v75, 1, v76
	v_add_u32_e32 v80, 1, v77
	v_cndmask_b32_e64 v75, v76, v75, s[18:19]
	v_cndmask_b32_e64 v76, v80, v77, s[18:19]
	;; [unrolled: 1-line block ×3, first 2 shown]
	v_cmp_ge_i32_e64 s[16:17], v76, v49
	s_waitcnt lgkmcnt(0)
	v_cmp_lt_i32_e64 s[18:19], v79, v78
	v_cndmask_b32_e64 v70, v70, v71, s[14:15]
	v_cmp_lt_i32_e64 s[14:15], v75, v50
	s_or_b64 s[16:17], s[16:17], s[18:19]
	s_and_b64 s[14:15], s[14:15], s[16:17]
	v_cndmask_b32_e64 v71, v78, v79, s[14:15]
	s_barrier
	ds_write2_b32 v2, v70, v72 offset1:1
	ds_write2_b32 v2, v74, v71 offset0:2 offset1:3
	v_mov_b32_e32 v74, v53
	s_waitcnt lgkmcnt(0)
	s_barrier
	s_and_saveexec_b64 s[16:17], s[12:13]
	s_cbranch_execz .LBB26_118
; %bb.115:                              ;   in Loop: Header=BB26_2 Depth=1
	s_mov_b64 s[18:19], 0
	v_mov_b32_e32 v74, v53
	v_mov_b32_e32 v70, v54
.LBB26_116:                             ;   Parent Loop BB26_2 Depth=1
                                        ; =>  This Inner Loop Header: Depth=2
	v_sub_u32_e32 v71, v70, v74
	v_lshrrev_b32_e32 v72, 31, v71
	v_add_u32_e32 v71, v71, v72
	v_ashrrev_i32_e32 v71, 1, v71
	v_add_u32_e32 v71, v71, v74
	v_xad_u32 v73, v71, -1, v1
	v_mov_b32_e32 v75, 0x800
	v_lshlrev_b32_e32 v72, 2, v71
	v_lshl_add_u32 v73, v73, 2, v75
	ds_read_b32 v72, v72
	ds_read_b32 v73, v73
	v_add_u32_e32 v75, 1, v71
	s_waitcnt lgkmcnt(0)
	v_cmp_lt_i32_e64 s[14:15], v73, v72
	s_nop 1
	v_cndmask_b32_e64 v70, v70, v71, s[14:15]
	v_cndmask_b32_e64 v74, v75, v74, s[14:15]
	v_cmp_ge_i32_e64 s[14:15], v74, v70
	s_or_b64 s[18:19], s[14:15], s[18:19]
	s_andn2_b64 exec, exec, s[18:19]
	s_cbranch_execnz .LBB26_116
; %bb.117:                              ;   in Loop: Header=BB26_2 Depth=1
	s_or_b64 exec, exec, s[18:19]
.LBB26_118:                             ;   in Loop: Header=BB26_2 Depth=1
	s_or_b64 exec, exec, s[16:17]
	v_sub_u32_e32 v75, v69, v74
	v_lshlrev_b32_e32 v77, 2, v74
	v_lshlrev_b32_e32 v76, 2, v75
	ds_read_b32 v70, v77
	ds_read_b32 v71, v76
	v_cmp_le_i32_e64 s[16:17], v46, v74
	v_cmp_gt_i32_e64 s[14:15], s24, v75
                                        ; implicit-def: $vgpr72
                                        ; implicit-def: $vgpr73
	s_waitcnt lgkmcnt(0)
	v_cmp_lt_i32_e64 s[18:19], v71, v70
	s_or_b64 s[16:17], s[16:17], s[18:19]
	s_and_b64 s[14:15], s[14:15], s[16:17]
	s_xor_b64 s[16:17], s[14:15], -1
	s_and_saveexec_b64 s[18:19], s[16:17]
	s_xor_b64 s[16:17], exec, s[18:19]
	s_cbranch_execz .LBB26_120
; %bb.119:                              ;   in Loop: Header=BB26_2 Depth=1
	ds_read_b32 v73, v77 offset:4
	v_mov_b32_e32 v72, v71
                                        ; implicit-def: $vgpr76
.LBB26_120:                             ;   in Loop: Header=BB26_2 Depth=1
	s_andn2_saveexec_b64 s[16:17], s[16:17]
	s_cbranch_execz .LBB26_122
; %bb.121:                              ;   in Loop: Header=BB26_2 Depth=1
	ds_read_b32 v72, v76 offset:4
	s_waitcnt lgkmcnt(1)
	v_mov_b32_e32 v73, v70
.LBB26_122:                             ;   in Loop: Header=BB26_2 Depth=1
	s_or_b64 exec, exec, s[16:17]
	v_add_u32_e32 v77, 1, v74
	v_add_u32_e32 v76, 1, v75
	v_cndmask_b32_e64 v77, v77, v74, s[14:15]
	v_cndmask_b32_e64 v76, v75, v76, s[14:15]
	v_cmp_ge_i32_e64 s[18:19], v77, v46
	s_waitcnt lgkmcnt(0)
	v_cmp_lt_i32_e64 s[20:21], v72, v73
	v_cmp_gt_i32_e64 s[16:17], s24, v76
	s_or_b64 s[18:19], s[18:19], s[20:21]
	s_and_b64 s[16:17], s[16:17], s[18:19]
	s_xor_b64 s[18:19], s[16:17], -1
                                        ; implicit-def: $vgpr74
	s_and_saveexec_b64 s[20:21], s[18:19]
	s_xor_b64 s[18:19], exec, s[20:21]
	s_cbranch_execz .LBB26_124
; %bb.123:                              ;   in Loop: Header=BB26_2 Depth=1
	v_lshlrev_b32_e32 v74, 2, v77
	ds_read_b32 v74, v74 offset:4
.LBB26_124:                             ;   in Loop: Header=BB26_2 Depth=1
	s_or_saveexec_b64 s[18:19], s[18:19]
	v_mov_b32_e32 v75, v72
	s_xor_b64 exec, exec, s[18:19]
	s_cbranch_execz .LBB26_126
; %bb.125:                              ;   in Loop: Header=BB26_2 Depth=1
	s_waitcnt lgkmcnt(0)
	v_lshlrev_b32_e32 v74, 2, v76
	ds_read_b32 v75, v74 offset:4
	v_mov_b32_e32 v74, v73
.LBB26_126:                             ;   in Loop: Header=BB26_2 Depth=1
	s_or_b64 exec, exec, s[18:19]
	v_add_u32_e32 v78, 1, v76
	v_add_u32_e32 v79, 1, v77
	v_cndmask_b32_e64 v76, v76, v78, s[16:17]
	v_cndmask_b32_e64 v78, v79, v77, s[16:17]
	v_cmp_ge_i32_e64 s[20:21], v78, v46
	s_waitcnt lgkmcnt(0)
	v_cmp_lt_i32_e64 s[22:23], v75, v74
	v_cmp_gt_i32_e64 s[18:19], s24, v76
	s_or_b64 s[20:21], s[20:21], s[22:23]
	s_and_b64 s[18:19], s[18:19], s[20:21]
	s_xor_b64 s[20:21], s[18:19], -1
                                        ; implicit-def: $vgpr77
                                        ; implicit-def: $vgpr79
	s_and_saveexec_b64 s[22:23], s[20:21]
	s_xor_b64 s[20:21], exec, s[22:23]
	s_cbranch_execz .LBB26_128
; %bb.127:                              ;   in Loop: Header=BB26_2 Depth=1
	v_lshlrev_b32_e32 v77, 2, v78
	ds_read_b32 v77, v77 offset:4
	v_add_u32_e32 v79, 1, v78
                                        ; implicit-def: $vgpr78
.LBB26_128:                             ;   in Loop: Header=BB26_2 Depth=1
	s_or_saveexec_b64 s[20:21], s[20:21]
	v_mov_b32_e32 v80, v75
	s_xor_b64 exec, exec, s[20:21]
	s_cbranch_execz .LBB26_1
; %bb.129:                              ;   in Loop: Header=BB26_2 Depth=1
	s_waitcnt lgkmcnt(0)
	v_lshlrev_b32_e32 v77, 2, v76
	ds_read_b32 v80, v77 offset:4
	v_add_u32_e32 v76, 1, v76
	v_mov_b32_e32 v79, v78
	v_mov_b32_e32 v77, v74
	s_branch .LBB26_1
.LBB26_130:
	s_add_u32 s0, s26, s30
	s_addc_u32 s1, s27, s31
	v_lshlrev_b32_e32 v0, 2, v0
	global_store_dword v0, v71, s[0:1]
	global_store_dword v0, v72, s[0:1] offset:1024
	global_store_dword v0, v70, s[0:1] offset:2048
	;; [unrolled: 1-line block ×3, first 2 shown]
	s_endpgm
	.section	.rodata,"a",@progbits
	.p2align	6, 0x0
	.amdhsa_kernel _Z16sort_keys_kernelIiLj256ELj4EN10test_utils4lessELj10EEvPKT_PS2_T2_
		.amdhsa_group_segment_fixed_size 4100
		.amdhsa_private_segment_fixed_size 0
		.amdhsa_kernarg_size 20
		.amdhsa_user_sgpr_count 2
		.amdhsa_user_sgpr_dispatch_ptr 0
		.amdhsa_user_sgpr_queue_ptr 0
		.amdhsa_user_sgpr_kernarg_segment_ptr 1
		.amdhsa_user_sgpr_dispatch_id 0
		.amdhsa_user_sgpr_kernarg_preload_length 0
		.amdhsa_user_sgpr_kernarg_preload_offset 0
		.amdhsa_user_sgpr_private_segment_size 0
		.amdhsa_uses_dynamic_stack 0
		.amdhsa_enable_private_segment 0
		.amdhsa_system_sgpr_workgroup_id_x 1
		.amdhsa_system_sgpr_workgroup_id_y 0
		.amdhsa_system_sgpr_workgroup_id_z 0
		.amdhsa_system_sgpr_workgroup_info 0
		.amdhsa_system_vgpr_workitem_id 0
		.amdhsa_next_free_vgpr 81
		.amdhsa_next_free_sgpr 32
		.amdhsa_accum_offset 84
		.amdhsa_reserve_vcc 1
		.amdhsa_float_round_mode_32 0
		.amdhsa_float_round_mode_16_64 0
		.amdhsa_float_denorm_mode_32 3
		.amdhsa_float_denorm_mode_16_64 3
		.amdhsa_dx10_clamp 1
		.amdhsa_ieee_mode 1
		.amdhsa_fp16_overflow 0
		.amdhsa_tg_split 0
		.amdhsa_exception_fp_ieee_invalid_op 0
		.amdhsa_exception_fp_denorm_src 0
		.amdhsa_exception_fp_ieee_div_zero 0
		.amdhsa_exception_fp_ieee_overflow 0
		.amdhsa_exception_fp_ieee_underflow 0
		.amdhsa_exception_fp_ieee_inexact 0
		.amdhsa_exception_int_div_zero 0
	.end_amdhsa_kernel
	.section	.text._Z16sort_keys_kernelIiLj256ELj4EN10test_utils4lessELj10EEvPKT_PS2_T2_,"axG",@progbits,_Z16sort_keys_kernelIiLj256ELj4EN10test_utils4lessELj10EEvPKT_PS2_T2_,comdat
.Lfunc_end26:
	.size	_Z16sort_keys_kernelIiLj256ELj4EN10test_utils4lessELj10EEvPKT_PS2_T2_, .Lfunc_end26-_Z16sort_keys_kernelIiLj256ELj4EN10test_utils4lessELj10EEvPKT_PS2_T2_
                                        ; -- End function
	.section	.AMDGPU.csdata,"",@progbits
; Kernel info:
; codeLenInByte = 6116
; NumSgprs: 38
; NumVgprs: 81
; NumAgprs: 0
; TotalNumVgprs: 81
; ScratchSize: 0
; MemoryBound: 0
; FloatMode: 240
; IeeeMode: 1
; LDSByteSize: 4100 bytes/workgroup (compile time only)
; SGPRBlocks: 4
; VGPRBlocks: 10
; NumSGPRsForWavesPerEU: 38
; NumVGPRsForWavesPerEU: 81
; AccumOffset: 84
; Occupancy: 5
; WaveLimiterHint : 1
; COMPUTE_PGM_RSRC2:SCRATCH_EN: 0
; COMPUTE_PGM_RSRC2:USER_SGPR: 2
; COMPUTE_PGM_RSRC2:TRAP_HANDLER: 0
; COMPUTE_PGM_RSRC2:TGID_X_EN: 1
; COMPUTE_PGM_RSRC2:TGID_Y_EN: 0
; COMPUTE_PGM_RSRC2:TGID_Z_EN: 0
; COMPUTE_PGM_RSRC2:TIDIG_COMP_CNT: 0
; COMPUTE_PGM_RSRC3_GFX90A:ACCUM_OFFSET: 20
; COMPUTE_PGM_RSRC3_GFX90A:TG_SPLIT: 0
	.section	.text._Z17sort_pairs_kernelIiLj256ELj4EN10test_utils4lessELj10EEvPKT_PS2_T2_,"axG",@progbits,_Z17sort_pairs_kernelIiLj256ELj4EN10test_utils4lessELj10EEvPKT_PS2_T2_,comdat
	.protected	_Z17sort_pairs_kernelIiLj256ELj4EN10test_utils4lessELj10EEvPKT_PS2_T2_ ; -- Begin function _Z17sort_pairs_kernelIiLj256ELj4EN10test_utils4lessELj10EEvPKT_PS2_T2_
	.globl	_Z17sort_pairs_kernelIiLj256ELj4EN10test_utils4lessELj10EEvPKT_PS2_T2_
	.p2align	8
	.type	_Z17sort_pairs_kernelIiLj256ELj4EN10test_utils4lessELj10EEvPKT_PS2_T2_,@function
_Z17sort_pairs_kernelIiLj256ELj4EN10test_utils4lessELj10EEvPKT_PS2_T2_: ; @_Z17sort_pairs_kernelIiLj256ELj4EN10test_utils4lessELj10EEvPKT_PS2_T2_
; %bb.0:
	s_load_dwordx4 s[36:39], s[0:1], 0x0
	s_lshl_b32 s42, s2, 10
	s_mov_b32 s43, 0
	s_lshl_b64 s[40:41], s[42:43], 2
	v_lshlrev_b32_e32 v1, 2, v0
	s_waitcnt lgkmcnt(0)
	s_add_u32 s0, s36, s40
	s_addc_u32 s1, s37, s41
	global_load_dword v75, v1, s[0:1]
	global_load_dword v78, v1, s[0:1] offset:1024
	global_load_dword v77, v1, s[0:1] offset:2048
	global_load_dword v76, v1, s[0:1] offset:3072
	v_and_b32_e32 v4, 0x3f8, v1
	v_and_b32_e32 v6, 0x3f0, v1
	v_or_b32_e32 v16, 4, v4
	v_add_u32_e32 v17, 8, v4
	v_and_b32_e32 v5, 4, v1
	v_and_b32_e32 v8, 0x3e0, v1
	v_or_b32_e32 v19, 8, v6
	v_add_u32_e32 v20, 16, v6
	v_sub_u32_e32 v37, v17, v16
	v_and_b32_e32 v7, 12, v1
	v_and_b32_e32 v10, 0x3c0, v1
	v_or_b32_e32 v21, 16, v8
	v_add_u32_e32 v22, 32, v8
	v_sub_u32_e32 v38, v20, v19
	v_sub_u32_e32 v43, v5, v37
	v_cmp_ge_i32_e32 vcc, v5, v37
	v_and_b32_e32 v9, 28, v1
	v_and_b32_e32 v12, 0x380, v1
	v_or_b32_e32 v23, 32, v10
	v_add_u32_e32 v24, 64, v10
	v_sub_u32_e32 v39, v22, v21
	v_sub_u32_e32 v44, v7, v38
	v_cndmask_b32_e32 v37, 0, v43, vcc
	v_cmp_ge_i32_e32 vcc, v7, v38
	v_and_b32_e32 v11, 60, v1
	v_and_b32_e32 v14, 0x300, v1
	v_or_b32_e32 v25, 64, v12
	v_add_u32_e32 v26, 0x80, v12
	v_sub_u32_e32 v40, v24, v23
	v_sub_u32_e32 v45, v9, v39
	v_cndmask_b32_e32 v38, 0, v44, vcc
	v_cmp_ge_i32_e32 vcc, v9, v39
	v_and_b32_e32 v13, 0x7c, v1
	v_or_b32_e32 v27, 0x80, v14
	v_add_u32_e32 v28, 0x100, v14
	v_sub_u32_e32 v41, v26, v25
	v_sub_u32_e32 v46, v11, v40
	v_cndmask_b32_e32 v39, 0, v45, vcc
	v_cmp_ge_i32_e32 vcc, v11, v40
	v_and_b32_e32 v43, 0x200, v1
	v_and_b32_e32 v15, 0xfc, v1
	v_sub_u32_e32 v42, v28, v27
	v_sub_u32_e32 v47, v13, v41
	v_cndmask_b32_e32 v40, 0, v46, vcc
	v_cmp_ge_i32_e32 vcc, v13, v41
	v_or_b32_e32 v45, 0x100, v43
	v_add_u32_e32 v46, 0x200, v43
	v_sub_u32_e32 v48, v15, v42
	v_cndmask_b32_e32 v41, 0, v47, vcc
	v_cmp_ge_i32_e32 vcc, v15, v42
	v_and_b32_e32 v44, 0x1fc, v1
	v_sub_u32_e32 v47, v46, v45
	v_mov_b32_e32 v2, 0x200
	v_sub_u32_e32 v31, v16, v4
	v_sub_u32_e32 v32, v19, v6
	;; [unrolled: 1-line block ×6, first 2 shown]
	v_cndmask_b32_e32 v42, 0, v48, vcc
	v_sub_u32_e32 v48, v45, v43
	v_sub_u32_e32 v49, v44, v47
	v_cmp_ge_i32_e64 s[10:11], v44, v47
	v_min_i32_e32 v31, v5, v31
	v_min_i32_e32 v32, v7, v32
	;; [unrolled: 1-line block ×6, first 2 shown]
	v_cndmask_b32_e64 v47, 0, v49, s[10:11]
	v_min_i32_e32 v48, v44, v48
	v_sub_u32_e64 v49, v1, v2 clamp
	v_min_i32_e32 v50, 0x200, v1
	v_lshlrev_b32_e32 v3, 4, v0
	v_lshlrev_b32_e32 v18, 2, v4
	v_lshlrev_b32_e32 v29, 2, v16
	v_add_u32_e32 v30, v16, v5
	v_cmp_lt_i32_e32 vcc, v37, v31
	v_cmp_lt_i32_e64 s[0:1], v38, v32
	v_cmp_lt_i32_e64 s[2:3], v39, v33
	;; [unrolled: 1-line block ×5, first 2 shown]
	s_waitcnt vmcnt(3)
	v_add_u32_e32 v71, 1, v75
	s_waitcnt vmcnt(2)
	v_add_u32_e32 v73, 1, v78
	;; [unrolled: 2-line block ×4, first 2 shown]
	v_cmp_lt_i32_e64 s[10:11], v47, v48
	v_cmp_lt_i32_e64 s[12:13], v49, v50
	s_movk_i32 s33, 0x400
	v_lshlrev_b32_e32 v51, 2, v6
	v_lshlrev_b32_e32 v52, 2, v19
	v_add_u32_e32 v53, v19, v7
	v_lshlrev_b32_e32 v54, 2, v8
	v_lshlrev_b32_e32 v55, 2, v21
	v_add_u32_e32 v56, v21, v9
	;; [unrolled: 3-line block ×6, first 2 shown]
	v_mov_b32_e32 v69, 0x800
	v_add_u32_e32 v70, 0x200, v1
	s_branch .LBB27_2
.LBB27_1:                               ;   in Loop: Header=BB27_2 Depth=1
	s_or_b64 exec, exec, s[20:21]
	v_cmp_ge_i32_e64 s[20:21], v86, v2
	s_waitcnt lgkmcnt(0)
	v_cmp_lt_i32_e64 s[22:23], v90, v87
	v_cndmask_b32_e64 v75, v75, v80, s[14:15]
	v_cndmask_b32_e64 v79, v76, v79, s[14:15]
	v_cmp_gt_i32_e64 s[14:15], s33, v85
	s_or_b64 s[20:21], s[20:21], s[22:23]
	v_cndmask_b32_e64 v80, v84, v83, s[16:17]
	s_and_b64 s[14:15], s[14:15], s[20:21]
	v_cndmask_b32_e64 v83, v86, v85, s[14:15]
	s_barrier
	ds_write2_b32 v3, v71, v72 offset1:1
	ds_write2_b32 v3, v73, v74 offset0:2 offset1:3
	v_lshlrev_b32_e32 v71, 2, v79
	v_lshlrev_b32_e32 v72, 2, v80
	;; [unrolled: 1-line block ×3, first 2 shown]
	s_waitcnt lgkmcnt(0)
	s_barrier
	v_lshlrev_b32_e32 v79, 2, v83
	ds_read_b32 v71, v71
	ds_read_b32 v73, v72
	;; [unrolled: 1-line block ×4, first 2 shown]
	s_add_i32 s43, s43, 1
	v_cndmask_b32_e64 v76, v87, v90, s[14:15]
	v_cndmask_b32_e64 v78, v78, v77, s[16:17]
	s_cmp_eq_u32 s43, 10
	v_cndmask_b32_e64 v77, v81, v82, s[18:19]
	s_cbranch_scc1 .LBB27_130
.LBB27_2:                               ; =>This Loop Header: Depth=1
                                        ;     Child Loop BB27_4 Depth 2
                                        ;     Child Loop BB27_20 Depth 2
	;; [unrolled: 1-line block ×8, first 2 shown]
	v_cmp_lt_i32_e64 s[14:15], v78, v75
	v_cmp_lt_i32_e64 s[16:17], v76, v77
	s_nop 0
	v_cndmask_b32_e64 v79, v75, v78, s[14:15]
	v_cndmask_b32_e64 v75, v78, v75, s[14:15]
	;; [unrolled: 1-line block ×4, first 2 shown]
	v_min_i32_e32 v76, v76, v77
	v_cmp_lt_i32_e64 s[18:19], v76, v75
	s_barrier
	s_nop 0
	v_cndmask_b32_e64 v77, v80, v75, s[18:19]
	v_cndmask_b32_e64 v80, v75, v76, s[18:19]
	v_min_i32_e32 v75, v76, v75
	v_cmp_lt_i32_e64 s[20:21], v75, v79
	v_cmp_lt_i32_e64 s[22:23], v78, v77
	s_nop 0
	v_cndmask_b32_e64 v75, v79, v75, s[20:21]
	v_cndmask_b32_e64 v76, v80, v79, s[20:21]
	;; [unrolled: 1-line block ×4, first 2 shown]
	v_min_i32_e32 v77, v78, v77
	v_cmp_lt_i32_e64 s[24:25], v77, v76
	s_nop 1
	v_cndmask_b32_e64 v78, v80, v76, s[24:25]
	v_cndmask_b32_e64 v76, v76, v77, s[24:25]
	v_mov_b32_e32 v77, v37
	ds_write2_b32 v3, v75, v76 offset1:1
	ds_write2_b32 v3, v78, v79 offset0:2 offset1:3
	s_waitcnt lgkmcnt(0)
	s_barrier
	s_and_saveexec_b64 s[28:29], vcc
	s_cbranch_execz .LBB27_6
; %bb.3:                                ;   in Loop: Header=BB27_2 Depth=1
	s_mov_b64 s[30:31], 0
	v_mov_b32_e32 v77, v37
	v_mov_b32_e32 v75, v31
.LBB27_4:                               ;   Parent Loop BB27_2 Depth=1
                                        ; =>  This Inner Loop Header: Depth=2
	v_sub_u32_e32 v76, v75, v77
	v_lshrrev_b32_e32 v78, 31, v76
	v_add_u32_e32 v76, v76, v78
	v_ashrrev_i32_e32 v76, 1, v76
	v_add_u32_e32 v76, v76, v77
	v_xad_u32 v79, v76, -1, v5
	v_lshl_add_u32 v78, v76, 2, v18
	v_lshl_add_u32 v79, v79, 2, v29
	ds_read_b32 v78, v78
	ds_read_b32 v79, v79
	v_add_u32_e32 v80, 1, v76
	s_waitcnt lgkmcnt(0)
	v_cmp_lt_i32_e64 s[26:27], v79, v78
	s_nop 1
	v_cndmask_b32_e64 v75, v75, v76, s[26:27]
	v_cndmask_b32_e64 v77, v80, v77, s[26:27]
	v_cmp_ge_i32_e64 s[26:27], v77, v75
	s_or_b64 s[30:31], s[26:27], s[30:31]
	s_andn2_b64 exec, exec, s[30:31]
	s_cbranch_execnz .LBB27_4
; %bb.5:                                ;   in Loop: Header=BB27_2 Depth=1
	s_or_b64 exec, exec, s[30:31]
.LBB27_6:                               ;   in Loop: Header=BB27_2 Depth=1
	s_or_b64 exec, exec, s[28:29]
	v_sub_u32_e32 v75, v30, v77
	v_lshl_add_u32 v82, v77, 2, v18
	v_lshlrev_b32_e32 v81, 2, v75
	ds_read_b32 v76, v82
	ds_read_b32 v78, v81
	v_add_u32_e32 v77, v77, v4
	v_cmp_le_i32_e64 s[28:29], v16, v77
	v_cmp_gt_i32_e64 s[26:27], v17, v75
                                        ; implicit-def: $vgpr79
                                        ; implicit-def: $vgpr80
	s_waitcnt lgkmcnt(0)
	v_cmp_lt_i32_e64 s[30:31], v78, v76
	s_or_b64 s[28:29], s[28:29], s[30:31]
	s_and_b64 s[26:27], s[26:27], s[28:29]
	s_xor_b64 s[28:29], s[26:27], -1
	s_and_saveexec_b64 s[30:31], s[28:29]
	s_xor_b64 s[28:29], exec, s[30:31]
	s_cbranch_execz .LBB27_8
; %bb.7:                                ;   in Loop: Header=BB27_2 Depth=1
	ds_read_b32 v80, v82 offset:4
	v_mov_b32_e32 v79, v78
                                        ; implicit-def: $vgpr81
.LBB27_8:                               ;   in Loop: Header=BB27_2 Depth=1
	s_andn2_saveexec_b64 s[28:29], s[28:29]
	s_cbranch_execz .LBB27_10
; %bb.9:                                ;   in Loop: Header=BB27_2 Depth=1
	ds_read_b32 v79, v81 offset:4
	s_waitcnt lgkmcnt(1)
	v_mov_b32_e32 v80, v76
.LBB27_10:                              ;   in Loop: Header=BB27_2 Depth=1
	s_or_b64 exec, exec, s[28:29]
	v_add_u32_e32 v82, 1, v77
	v_add_u32_e32 v81, 1, v75
	v_cndmask_b32_e64 v82, v82, v77, s[26:27]
	v_cndmask_b32_e64 v81, v75, v81, s[26:27]
	v_cmp_ge_i32_e64 s[30:31], v82, v16
	s_waitcnt lgkmcnt(0)
	v_cmp_lt_i32_e64 s[34:35], v79, v80
	v_cmp_lt_i32_e64 s[28:29], v81, v17
	s_or_b64 s[30:31], s[30:31], s[34:35]
	s_and_b64 s[28:29], s[28:29], s[30:31]
	s_xor_b64 s[30:31], s[28:29], -1
                                        ; implicit-def: $vgpr83
	s_and_saveexec_b64 s[34:35], s[30:31]
	s_xor_b64 s[30:31], exec, s[34:35]
	s_cbranch_execz .LBB27_12
; %bb.11:                               ;   in Loop: Header=BB27_2 Depth=1
	v_lshlrev_b32_e32 v83, 2, v82
	ds_read_b32 v83, v83 offset:4
.LBB27_12:                              ;   in Loop: Header=BB27_2 Depth=1
	s_or_saveexec_b64 s[30:31], s[30:31]
	v_mov_b32_e32 v84, v79
	s_xor_b64 exec, exec, s[30:31]
	s_cbranch_execz .LBB27_14
; %bb.13:                               ;   in Loop: Header=BB27_2 Depth=1
	s_waitcnt lgkmcnt(0)
	v_lshlrev_b32_e32 v83, 2, v81
	ds_read_b32 v84, v83 offset:4
	v_mov_b32_e32 v83, v80
.LBB27_14:                              ;   in Loop: Header=BB27_2 Depth=1
	s_or_b64 exec, exec, s[30:31]
	v_add_u32_e32 v87, 1, v82
	v_add_u32_e32 v85, 1, v81
	v_cndmask_b32_e64 v87, v87, v82, s[28:29]
	v_cndmask_b32_e64 v86, v81, v85, s[28:29]
	v_cmp_ge_i32_e64 s[34:35], v87, v16
	s_waitcnt lgkmcnt(0)
	v_cmp_lt_i32_e64 s[36:37], v84, v83
	v_cmp_lt_i32_e64 s[30:31], v86, v17
	s_or_b64 s[34:35], s[34:35], s[36:37]
	s_and_b64 s[30:31], s[30:31], s[34:35]
	s_xor_b64 s[34:35], s[30:31], -1
                                        ; implicit-def: $vgpr85
	s_and_saveexec_b64 s[36:37], s[34:35]
	s_xor_b64 s[34:35], exec, s[36:37]
	s_cbranch_execz .LBB27_16
; %bb.15:                               ;   in Loop: Header=BB27_2 Depth=1
	v_lshlrev_b32_e32 v85, 2, v87
	ds_read_b32 v85, v85 offset:4
.LBB27_16:                              ;   in Loop: Header=BB27_2 Depth=1
	s_or_saveexec_b64 s[34:35], s[34:35]
	v_mov_b32_e32 v88, v84
	s_xor_b64 exec, exec, s[34:35]
	s_cbranch_execz .LBB27_18
; %bb.17:                               ;   in Loop: Header=BB27_2 Depth=1
	s_waitcnt lgkmcnt(0)
	v_lshlrev_b32_e32 v85, 2, v86
	ds_read_b32 v88, v85 offset:4
	v_mov_b32_e32 v85, v83
.LBB27_18:                              ;   in Loop: Header=BB27_2 Depth=1
	s_or_b64 exec, exec, s[34:35]
	v_add_u32_e32 v89, 1, v87
	v_cndmask_b32_e64 v83, v83, v84, s[30:31]
	v_add_u32_e32 v84, 1, v86
	v_cndmask_b32_e64 v89, v89, v87, s[30:31]
	v_cndmask_b32_e64 v75, v77, v75, s[26:27]
	;; [unrolled: 1-line block ×9, first 2 shown]
	v_cmp_ge_i32_e64 s[16:17], v89, v16
	s_waitcnt lgkmcnt(0)
	v_cmp_lt_i32_e64 s[18:19], v88, v85
	v_cndmask_b32_e64 v72, v77, v71, s[20:21]
	v_cndmask_b32_e64 v71, v71, v77, s[20:21]
	;; [unrolled: 1-line block ×4, first 2 shown]
	v_cmp_lt_i32_e64 s[14:15], v84, v17
	s_or_b64 s[16:17], s[16:17], s[18:19]
	v_cndmask_b32_e64 v86, v87, v86, s[30:31]
	v_cndmask_b32_e64 v79, v80, v79, s[28:29]
	;; [unrolled: 1-line block ×5, first 2 shown]
	s_and_b64 s[14:15], s[14:15], s[16:17]
	v_cndmask_b32_e64 v73, v89, v84, s[14:15]
	s_barrier
	ds_write2_b32 v3, v72, v71 offset1:1
	ds_write2_b32 v3, v74, v77 offset0:2 offset1:3
	v_lshlrev_b32_e32 v71, 2, v75
	v_lshlrev_b32_e32 v72, 2, v80
	;; [unrolled: 1-line block ×3, first 2 shown]
	s_waitcnt lgkmcnt(0)
	s_barrier
	v_lshlrev_b32_e32 v75, 2, v73
	ds_read_b32 v71, v71
	ds_read_b32 v72, v72
	;; [unrolled: 1-line block ×4, first 2 shown]
	v_cndmask_b32_e64 v76, v76, v78, s[26:27]
	v_mov_b32_e32 v77, v38
	v_cndmask_b32_e64 v78, v85, v88, s[14:15]
	s_waitcnt lgkmcnt(0)
	s_barrier
	ds_write2_b32 v3, v76, v79 offset1:1
	ds_write2_b32 v3, v83, v78 offset0:2 offset1:3
	s_waitcnt lgkmcnt(0)
	s_barrier
	s_and_saveexec_b64 s[16:17], s[0:1]
	s_cbranch_execz .LBB27_22
; %bb.19:                               ;   in Loop: Header=BB27_2 Depth=1
	s_mov_b64 s[18:19], 0
	v_mov_b32_e32 v77, v38
	v_mov_b32_e32 v75, v32
.LBB27_20:                              ;   Parent Loop BB27_2 Depth=1
                                        ; =>  This Inner Loop Header: Depth=2
	v_sub_u32_e32 v76, v75, v77
	v_lshrrev_b32_e32 v78, 31, v76
	v_add_u32_e32 v76, v76, v78
	v_ashrrev_i32_e32 v76, 1, v76
	v_add_u32_e32 v76, v76, v77
	v_xad_u32 v79, v76, -1, v7
	v_lshl_add_u32 v78, v76, 2, v51
	v_lshl_add_u32 v79, v79, 2, v52
	ds_read_b32 v78, v78
	ds_read_b32 v79, v79
	v_add_u32_e32 v80, 1, v76
	s_waitcnt lgkmcnt(0)
	v_cmp_lt_i32_e64 s[14:15], v79, v78
	s_nop 1
	v_cndmask_b32_e64 v75, v75, v76, s[14:15]
	v_cndmask_b32_e64 v77, v80, v77, s[14:15]
	v_cmp_ge_i32_e64 s[14:15], v77, v75
	s_or_b64 s[18:19], s[14:15], s[18:19]
	s_andn2_b64 exec, exec, s[18:19]
	s_cbranch_execnz .LBB27_20
; %bb.21:                               ;   in Loop: Header=BB27_2 Depth=1
	s_or_b64 exec, exec, s[18:19]
.LBB27_22:                              ;   in Loop: Header=BB27_2 Depth=1
	s_or_b64 exec, exec, s[16:17]
	v_sub_u32_e32 v75, v53, v77
	v_lshl_add_u32 v82, v77, 2, v51
	v_lshlrev_b32_e32 v81, 2, v75
	ds_read_b32 v76, v82
	ds_read_b32 v78, v81
	v_add_u32_e32 v77, v77, v6
	v_cmp_le_i32_e64 s[16:17], v19, v77
	v_cmp_gt_i32_e64 s[14:15], v20, v75
                                        ; implicit-def: $vgpr79
                                        ; implicit-def: $vgpr80
	s_waitcnt lgkmcnt(0)
	v_cmp_lt_i32_e64 s[18:19], v78, v76
	s_or_b64 s[16:17], s[16:17], s[18:19]
	s_and_b64 s[14:15], s[14:15], s[16:17]
	s_xor_b64 s[16:17], s[14:15], -1
	s_and_saveexec_b64 s[18:19], s[16:17]
	s_xor_b64 s[16:17], exec, s[18:19]
	s_cbranch_execz .LBB27_24
; %bb.23:                               ;   in Loop: Header=BB27_2 Depth=1
	ds_read_b32 v80, v82 offset:4
	v_mov_b32_e32 v79, v78
                                        ; implicit-def: $vgpr81
.LBB27_24:                              ;   in Loop: Header=BB27_2 Depth=1
	s_andn2_saveexec_b64 s[16:17], s[16:17]
	s_cbranch_execz .LBB27_26
; %bb.25:                               ;   in Loop: Header=BB27_2 Depth=1
	ds_read_b32 v79, v81 offset:4
	s_waitcnt lgkmcnt(1)
	v_mov_b32_e32 v80, v76
.LBB27_26:                              ;   in Loop: Header=BB27_2 Depth=1
	s_or_b64 exec, exec, s[16:17]
	v_add_u32_e32 v82, 1, v77
	v_add_u32_e32 v81, 1, v75
	v_cndmask_b32_e64 v82, v82, v77, s[14:15]
	v_cndmask_b32_e64 v81, v75, v81, s[14:15]
	v_cmp_ge_i32_e64 s[18:19], v82, v19
	s_waitcnt lgkmcnt(0)
	v_cmp_lt_i32_e64 s[20:21], v79, v80
	v_cmp_lt_i32_e64 s[16:17], v81, v20
	s_or_b64 s[18:19], s[18:19], s[20:21]
	s_and_b64 s[16:17], s[16:17], s[18:19]
	s_xor_b64 s[18:19], s[16:17], -1
                                        ; implicit-def: $vgpr83
	s_and_saveexec_b64 s[20:21], s[18:19]
	s_xor_b64 s[18:19], exec, s[20:21]
	s_cbranch_execz .LBB27_28
; %bb.27:                               ;   in Loop: Header=BB27_2 Depth=1
	v_lshlrev_b32_e32 v83, 2, v82
	ds_read_b32 v83, v83 offset:4
.LBB27_28:                              ;   in Loop: Header=BB27_2 Depth=1
	s_or_saveexec_b64 s[18:19], s[18:19]
	v_mov_b32_e32 v84, v79
	s_xor_b64 exec, exec, s[18:19]
	s_cbranch_execz .LBB27_30
; %bb.29:                               ;   in Loop: Header=BB27_2 Depth=1
	s_waitcnt lgkmcnt(0)
	v_lshlrev_b32_e32 v83, 2, v81
	ds_read_b32 v84, v83 offset:4
	v_mov_b32_e32 v83, v80
.LBB27_30:                              ;   in Loop: Header=BB27_2 Depth=1
	s_or_b64 exec, exec, s[18:19]
	v_add_u32_e32 v86, 1, v82
	v_add_u32_e32 v85, 1, v81
	v_cndmask_b32_e64 v86, v86, v82, s[16:17]
	v_cndmask_b32_e64 v85, v81, v85, s[16:17]
	v_cmp_ge_i32_e64 s[20:21], v86, v19
	s_waitcnt lgkmcnt(0)
	v_cmp_lt_i32_e64 s[22:23], v84, v83
	v_cmp_lt_i32_e64 s[18:19], v85, v20
	s_or_b64 s[20:21], s[20:21], s[22:23]
	s_and_b64 s[18:19], s[18:19], s[20:21]
	s_xor_b64 s[20:21], s[18:19], -1
                                        ; implicit-def: $vgpr87
	s_and_saveexec_b64 s[22:23], s[20:21]
	s_xor_b64 s[20:21], exec, s[22:23]
	s_cbranch_execz .LBB27_32
; %bb.31:                               ;   in Loop: Header=BB27_2 Depth=1
	v_lshlrev_b32_e32 v87, 2, v86
	ds_read_b32 v87, v87 offset:4
.LBB27_32:                              ;   in Loop: Header=BB27_2 Depth=1
	s_or_saveexec_b64 s[20:21], s[20:21]
	v_mov_b32_e32 v88, v84
	s_xor_b64 exec, exec, s[20:21]
	s_cbranch_execz .LBB27_34
; %bb.33:                               ;   in Loop: Header=BB27_2 Depth=1
	s_waitcnt lgkmcnt(0)
	v_lshlrev_b32_e32 v87, 2, v85
	ds_read_b32 v88, v87 offset:4
	v_mov_b32_e32 v87, v83
.LBB27_34:                              ;   in Loop: Header=BB27_2 Depth=1
	s_or_b64 exec, exec, s[20:21]
	v_add_u32_e32 v89, 1, v86
	v_cndmask_b32_e64 v83, v83, v84, s[18:19]
	v_add_u32_e32 v84, 1, v85
	v_cndmask_b32_e64 v89, v89, v86, s[18:19]
	v_cndmask_b32_e64 v84, v85, v84, s[18:19]
	;; [unrolled: 1-line block ×5, first 2 shown]
	v_cmp_ge_i32_e64 s[16:17], v89, v19
	s_waitcnt lgkmcnt(0)
	v_cmp_lt_i32_e64 s[18:19], v88, v87
	v_cndmask_b32_e64 v76, v76, v78, s[14:15]
	v_cndmask_b32_e64 v75, v77, v75, s[14:15]
	v_cmp_lt_i32_e64 s[14:15], v84, v20
	s_or_b64 s[16:17], s[16:17], s[18:19]
	s_and_b64 s[14:15], s[14:15], s[16:17]
	v_cndmask_b32_e64 v78, v89, v84, s[14:15]
	s_barrier
	ds_write2_b32 v3, v71, v72 offset1:1
	ds_write2_b32 v3, v73, v74 offset0:2 offset1:3
	v_lshlrev_b32_e32 v71, 2, v75
	v_lshlrev_b32_e32 v72, 2, v80
	;; [unrolled: 1-line block ×4, first 2 shown]
	s_waitcnt lgkmcnt(0)
	s_barrier
	ds_read_b32 v71, v71
	ds_read_b32 v72, v72
	ds_read_b32 v73, v73
	ds_read_b32 v74, v74
	v_cndmask_b32_e64 v77, v87, v88, s[14:15]
	s_waitcnt lgkmcnt(0)
	s_barrier
	ds_write2_b32 v3, v76, v79 offset1:1
	ds_write2_b32 v3, v83, v77 offset0:2 offset1:3
	v_mov_b32_e32 v77, v39
	s_waitcnt lgkmcnt(0)
	s_barrier
	s_and_saveexec_b64 s[16:17], s[2:3]
	s_cbranch_execz .LBB27_38
; %bb.35:                               ;   in Loop: Header=BB27_2 Depth=1
	s_mov_b64 s[18:19], 0
	v_mov_b32_e32 v77, v39
	v_mov_b32_e32 v75, v33
.LBB27_36:                              ;   Parent Loop BB27_2 Depth=1
                                        ; =>  This Inner Loop Header: Depth=2
	v_sub_u32_e32 v76, v75, v77
	v_lshrrev_b32_e32 v78, 31, v76
	v_add_u32_e32 v76, v76, v78
	v_ashrrev_i32_e32 v76, 1, v76
	v_add_u32_e32 v76, v76, v77
	v_xad_u32 v79, v76, -1, v9
	v_lshl_add_u32 v78, v76, 2, v54
	v_lshl_add_u32 v79, v79, 2, v55
	ds_read_b32 v78, v78
	ds_read_b32 v79, v79
	v_add_u32_e32 v80, 1, v76
	s_waitcnt lgkmcnt(0)
	v_cmp_lt_i32_e64 s[14:15], v79, v78
	s_nop 1
	v_cndmask_b32_e64 v75, v75, v76, s[14:15]
	v_cndmask_b32_e64 v77, v80, v77, s[14:15]
	v_cmp_ge_i32_e64 s[14:15], v77, v75
	s_or_b64 s[18:19], s[14:15], s[18:19]
	s_andn2_b64 exec, exec, s[18:19]
	s_cbranch_execnz .LBB27_36
; %bb.37:                               ;   in Loop: Header=BB27_2 Depth=1
	s_or_b64 exec, exec, s[18:19]
.LBB27_38:                              ;   in Loop: Header=BB27_2 Depth=1
	s_or_b64 exec, exec, s[16:17]
	v_sub_u32_e32 v75, v56, v77
	v_lshl_add_u32 v82, v77, 2, v54
	v_lshlrev_b32_e32 v81, 2, v75
	ds_read_b32 v76, v82
	ds_read_b32 v78, v81
	v_add_u32_e32 v77, v77, v8
	v_cmp_le_i32_e64 s[16:17], v21, v77
	v_cmp_gt_i32_e64 s[14:15], v22, v75
                                        ; implicit-def: $vgpr79
                                        ; implicit-def: $vgpr80
	s_waitcnt lgkmcnt(0)
	v_cmp_lt_i32_e64 s[18:19], v78, v76
	s_or_b64 s[16:17], s[16:17], s[18:19]
	s_and_b64 s[14:15], s[14:15], s[16:17]
	s_xor_b64 s[16:17], s[14:15], -1
	s_and_saveexec_b64 s[18:19], s[16:17]
	s_xor_b64 s[16:17], exec, s[18:19]
	s_cbranch_execz .LBB27_40
; %bb.39:                               ;   in Loop: Header=BB27_2 Depth=1
	ds_read_b32 v80, v82 offset:4
	v_mov_b32_e32 v79, v78
                                        ; implicit-def: $vgpr81
.LBB27_40:                              ;   in Loop: Header=BB27_2 Depth=1
	s_andn2_saveexec_b64 s[16:17], s[16:17]
	s_cbranch_execz .LBB27_42
; %bb.41:                               ;   in Loop: Header=BB27_2 Depth=1
	ds_read_b32 v79, v81 offset:4
	s_waitcnt lgkmcnt(1)
	v_mov_b32_e32 v80, v76
.LBB27_42:                              ;   in Loop: Header=BB27_2 Depth=1
	s_or_b64 exec, exec, s[16:17]
	v_add_u32_e32 v82, 1, v77
	v_add_u32_e32 v81, 1, v75
	v_cndmask_b32_e64 v82, v82, v77, s[14:15]
	v_cndmask_b32_e64 v81, v75, v81, s[14:15]
	v_cmp_ge_i32_e64 s[18:19], v82, v21
	s_waitcnt lgkmcnt(0)
	v_cmp_lt_i32_e64 s[20:21], v79, v80
	v_cmp_lt_i32_e64 s[16:17], v81, v22
	s_or_b64 s[18:19], s[18:19], s[20:21]
	s_and_b64 s[16:17], s[16:17], s[18:19]
	s_xor_b64 s[18:19], s[16:17], -1
                                        ; implicit-def: $vgpr83
	s_and_saveexec_b64 s[20:21], s[18:19]
	s_xor_b64 s[18:19], exec, s[20:21]
	s_cbranch_execz .LBB27_44
; %bb.43:                               ;   in Loop: Header=BB27_2 Depth=1
	v_lshlrev_b32_e32 v83, 2, v82
	ds_read_b32 v83, v83 offset:4
.LBB27_44:                              ;   in Loop: Header=BB27_2 Depth=1
	s_or_saveexec_b64 s[18:19], s[18:19]
	v_mov_b32_e32 v84, v79
	s_xor_b64 exec, exec, s[18:19]
	s_cbranch_execz .LBB27_46
; %bb.45:                               ;   in Loop: Header=BB27_2 Depth=1
	s_waitcnt lgkmcnt(0)
	v_lshlrev_b32_e32 v83, 2, v81
	ds_read_b32 v84, v83 offset:4
	v_mov_b32_e32 v83, v80
.LBB27_46:                              ;   in Loop: Header=BB27_2 Depth=1
	s_or_b64 exec, exec, s[18:19]
	v_add_u32_e32 v86, 1, v82
	v_add_u32_e32 v85, 1, v81
	v_cndmask_b32_e64 v86, v86, v82, s[16:17]
	v_cndmask_b32_e64 v85, v81, v85, s[16:17]
	v_cmp_ge_i32_e64 s[20:21], v86, v21
	s_waitcnt lgkmcnt(0)
	v_cmp_lt_i32_e64 s[22:23], v84, v83
	v_cmp_lt_i32_e64 s[18:19], v85, v22
	s_or_b64 s[20:21], s[20:21], s[22:23]
	s_and_b64 s[18:19], s[18:19], s[20:21]
	s_xor_b64 s[20:21], s[18:19], -1
                                        ; implicit-def: $vgpr87
	s_and_saveexec_b64 s[22:23], s[20:21]
	s_xor_b64 s[20:21], exec, s[22:23]
	s_cbranch_execz .LBB27_48
; %bb.47:                               ;   in Loop: Header=BB27_2 Depth=1
	v_lshlrev_b32_e32 v87, 2, v86
	ds_read_b32 v87, v87 offset:4
.LBB27_48:                              ;   in Loop: Header=BB27_2 Depth=1
	s_or_saveexec_b64 s[20:21], s[20:21]
	v_mov_b32_e32 v88, v84
	s_xor_b64 exec, exec, s[20:21]
	s_cbranch_execz .LBB27_50
; %bb.49:                               ;   in Loop: Header=BB27_2 Depth=1
	s_waitcnt lgkmcnt(0)
	v_lshlrev_b32_e32 v87, 2, v85
	ds_read_b32 v88, v87 offset:4
	v_mov_b32_e32 v87, v83
.LBB27_50:                              ;   in Loop: Header=BB27_2 Depth=1
	s_or_b64 exec, exec, s[20:21]
	v_add_u32_e32 v89, 1, v86
	v_cndmask_b32_e64 v83, v83, v84, s[18:19]
	v_add_u32_e32 v84, 1, v85
	v_cndmask_b32_e64 v89, v89, v86, s[18:19]
	v_cndmask_b32_e64 v84, v85, v84, s[18:19]
	;; [unrolled: 1-line block ×5, first 2 shown]
	v_cmp_ge_i32_e64 s[16:17], v89, v21
	s_waitcnt lgkmcnt(0)
	v_cmp_lt_i32_e64 s[18:19], v88, v87
	v_cndmask_b32_e64 v76, v76, v78, s[14:15]
	v_cndmask_b32_e64 v75, v77, v75, s[14:15]
	v_cmp_lt_i32_e64 s[14:15], v84, v22
	s_or_b64 s[16:17], s[16:17], s[18:19]
	s_and_b64 s[14:15], s[14:15], s[16:17]
	v_cndmask_b32_e64 v78, v89, v84, s[14:15]
	s_barrier
	ds_write2_b32 v3, v71, v72 offset1:1
	ds_write2_b32 v3, v73, v74 offset0:2 offset1:3
	v_lshlrev_b32_e32 v71, 2, v75
	v_lshlrev_b32_e32 v72, 2, v80
	;; [unrolled: 1-line block ×4, first 2 shown]
	s_waitcnt lgkmcnt(0)
	s_barrier
	ds_read_b32 v71, v71
	ds_read_b32 v72, v72
	;; [unrolled: 1-line block ×4, first 2 shown]
	v_cndmask_b32_e64 v77, v87, v88, s[14:15]
	s_waitcnt lgkmcnt(0)
	s_barrier
	ds_write2_b32 v3, v76, v79 offset1:1
	ds_write2_b32 v3, v83, v77 offset0:2 offset1:3
	v_mov_b32_e32 v77, v40
	s_waitcnt lgkmcnt(0)
	s_barrier
	s_and_saveexec_b64 s[16:17], s[4:5]
	s_cbranch_execz .LBB27_54
; %bb.51:                               ;   in Loop: Header=BB27_2 Depth=1
	s_mov_b64 s[18:19], 0
	v_mov_b32_e32 v77, v40
	v_mov_b32_e32 v75, v34
.LBB27_52:                              ;   Parent Loop BB27_2 Depth=1
                                        ; =>  This Inner Loop Header: Depth=2
	v_sub_u32_e32 v76, v75, v77
	v_lshrrev_b32_e32 v78, 31, v76
	v_add_u32_e32 v76, v76, v78
	v_ashrrev_i32_e32 v76, 1, v76
	v_add_u32_e32 v76, v76, v77
	v_xad_u32 v79, v76, -1, v11
	v_lshl_add_u32 v78, v76, 2, v57
	v_lshl_add_u32 v79, v79, 2, v58
	ds_read_b32 v78, v78
	ds_read_b32 v79, v79
	v_add_u32_e32 v80, 1, v76
	s_waitcnt lgkmcnt(0)
	v_cmp_lt_i32_e64 s[14:15], v79, v78
	s_nop 1
	v_cndmask_b32_e64 v75, v75, v76, s[14:15]
	v_cndmask_b32_e64 v77, v80, v77, s[14:15]
	v_cmp_ge_i32_e64 s[14:15], v77, v75
	s_or_b64 s[18:19], s[14:15], s[18:19]
	s_andn2_b64 exec, exec, s[18:19]
	s_cbranch_execnz .LBB27_52
; %bb.53:                               ;   in Loop: Header=BB27_2 Depth=1
	s_or_b64 exec, exec, s[18:19]
.LBB27_54:                              ;   in Loop: Header=BB27_2 Depth=1
	s_or_b64 exec, exec, s[16:17]
	v_sub_u32_e32 v75, v59, v77
	v_lshl_add_u32 v82, v77, 2, v57
	v_lshlrev_b32_e32 v81, 2, v75
	ds_read_b32 v76, v82
	ds_read_b32 v78, v81
	v_add_u32_e32 v77, v77, v10
	v_cmp_le_i32_e64 s[16:17], v23, v77
	v_cmp_gt_i32_e64 s[14:15], v24, v75
                                        ; implicit-def: $vgpr79
                                        ; implicit-def: $vgpr80
	s_waitcnt lgkmcnt(0)
	v_cmp_lt_i32_e64 s[18:19], v78, v76
	s_or_b64 s[16:17], s[16:17], s[18:19]
	s_and_b64 s[14:15], s[14:15], s[16:17]
	s_xor_b64 s[16:17], s[14:15], -1
	s_and_saveexec_b64 s[18:19], s[16:17]
	s_xor_b64 s[16:17], exec, s[18:19]
	s_cbranch_execz .LBB27_56
; %bb.55:                               ;   in Loop: Header=BB27_2 Depth=1
	ds_read_b32 v80, v82 offset:4
	v_mov_b32_e32 v79, v78
                                        ; implicit-def: $vgpr81
.LBB27_56:                              ;   in Loop: Header=BB27_2 Depth=1
	s_andn2_saveexec_b64 s[16:17], s[16:17]
	s_cbranch_execz .LBB27_58
; %bb.57:                               ;   in Loop: Header=BB27_2 Depth=1
	ds_read_b32 v79, v81 offset:4
	s_waitcnt lgkmcnt(1)
	v_mov_b32_e32 v80, v76
.LBB27_58:                              ;   in Loop: Header=BB27_2 Depth=1
	s_or_b64 exec, exec, s[16:17]
	v_add_u32_e32 v82, 1, v77
	v_add_u32_e32 v81, 1, v75
	v_cndmask_b32_e64 v82, v82, v77, s[14:15]
	v_cndmask_b32_e64 v81, v75, v81, s[14:15]
	v_cmp_ge_i32_e64 s[18:19], v82, v23
	s_waitcnt lgkmcnt(0)
	v_cmp_lt_i32_e64 s[20:21], v79, v80
	v_cmp_lt_i32_e64 s[16:17], v81, v24
	s_or_b64 s[18:19], s[18:19], s[20:21]
	s_and_b64 s[16:17], s[16:17], s[18:19]
	s_xor_b64 s[18:19], s[16:17], -1
                                        ; implicit-def: $vgpr83
	s_and_saveexec_b64 s[20:21], s[18:19]
	s_xor_b64 s[18:19], exec, s[20:21]
	s_cbranch_execz .LBB27_60
; %bb.59:                               ;   in Loop: Header=BB27_2 Depth=1
	v_lshlrev_b32_e32 v83, 2, v82
	ds_read_b32 v83, v83 offset:4
.LBB27_60:                              ;   in Loop: Header=BB27_2 Depth=1
	s_or_saveexec_b64 s[18:19], s[18:19]
	v_mov_b32_e32 v84, v79
	s_xor_b64 exec, exec, s[18:19]
	s_cbranch_execz .LBB27_62
; %bb.61:                               ;   in Loop: Header=BB27_2 Depth=1
	s_waitcnt lgkmcnt(0)
	v_lshlrev_b32_e32 v83, 2, v81
	ds_read_b32 v84, v83 offset:4
	v_mov_b32_e32 v83, v80
.LBB27_62:                              ;   in Loop: Header=BB27_2 Depth=1
	s_or_b64 exec, exec, s[18:19]
	v_add_u32_e32 v86, 1, v82
	v_add_u32_e32 v85, 1, v81
	v_cndmask_b32_e64 v86, v86, v82, s[16:17]
	v_cndmask_b32_e64 v85, v81, v85, s[16:17]
	v_cmp_ge_i32_e64 s[20:21], v86, v23
	s_waitcnt lgkmcnt(0)
	v_cmp_lt_i32_e64 s[22:23], v84, v83
	v_cmp_lt_i32_e64 s[18:19], v85, v24
	s_or_b64 s[20:21], s[20:21], s[22:23]
	s_and_b64 s[18:19], s[18:19], s[20:21]
	s_xor_b64 s[20:21], s[18:19], -1
                                        ; implicit-def: $vgpr87
	s_and_saveexec_b64 s[22:23], s[20:21]
	s_xor_b64 s[20:21], exec, s[22:23]
	s_cbranch_execz .LBB27_64
; %bb.63:                               ;   in Loop: Header=BB27_2 Depth=1
	v_lshlrev_b32_e32 v87, 2, v86
	ds_read_b32 v87, v87 offset:4
.LBB27_64:                              ;   in Loop: Header=BB27_2 Depth=1
	s_or_saveexec_b64 s[20:21], s[20:21]
	v_mov_b32_e32 v88, v84
	s_xor_b64 exec, exec, s[20:21]
	s_cbranch_execz .LBB27_66
; %bb.65:                               ;   in Loop: Header=BB27_2 Depth=1
	s_waitcnt lgkmcnt(0)
	v_lshlrev_b32_e32 v87, 2, v85
	ds_read_b32 v88, v87 offset:4
	v_mov_b32_e32 v87, v83
.LBB27_66:                              ;   in Loop: Header=BB27_2 Depth=1
	s_or_b64 exec, exec, s[20:21]
	v_add_u32_e32 v89, 1, v86
	v_cndmask_b32_e64 v83, v83, v84, s[18:19]
	v_add_u32_e32 v84, 1, v85
	v_cndmask_b32_e64 v89, v89, v86, s[18:19]
	v_cndmask_b32_e64 v84, v85, v84, s[18:19]
	;; [unrolled: 1-line block ×5, first 2 shown]
	v_cmp_ge_i32_e64 s[16:17], v89, v23
	s_waitcnt lgkmcnt(0)
	v_cmp_lt_i32_e64 s[18:19], v88, v87
	v_cndmask_b32_e64 v76, v76, v78, s[14:15]
	v_cndmask_b32_e64 v75, v77, v75, s[14:15]
	v_cmp_lt_i32_e64 s[14:15], v84, v24
	s_or_b64 s[16:17], s[16:17], s[18:19]
	s_and_b64 s[14:15], s[14:15], s[16:17]
	v_cndmask_b32_e64 v78, v89, v84, s[14:15]
	s_barrier
	ds_write2_b32 v3, v71, v72 offset1:1
	ds_write2_b32 v3, v73, v74 offset0:2 offset1:3
	v_lshlrev_b32_e32 v71, 2, v75
	v_lshlrev_b32_e32 v72, 2, v80
	;; [unrolled: 1-line block ×4, first 2 shown]
	s_waitcnt lgkmcnt(0)
	s_barrier
	ds_read_b32 v71, v71
	ds_read_b32 v72, v72
	;; [unrolled: 1-line block ×4, first 2 shown]
	v_cndmask_b32_e64 v77, v87, v88, s[14:15]
	s_waitcnt lgkmcnt(0)
	s_barrier
	ds_write2_b32 v3, v76, v79 offset1:1
	ds_write2_b32 v3, v83, v77 offset0:2 offset1:3
	v_mov_b32_e32 v77, v41
	s_waitcnt lgkmcnt(0)
	s_barrier
	s_and_saveexec_b64 s[16:17], s[6:7]
	s_cbranch_execz .LBB27_70
; %bb.67:                               ;   in Loop: Header=BB27_2 Depth=1
	s_mov_b64 s[18:19], 0
	v_mov_b32_e32 v77, v41
	v_mov_b32_e32 v75, v35
.LBB27_68:                              ;   Parent Loop BB27_2 Depth=1
                                        ; =>  This Inner Loop Header: Depth=2
	v_sub_u32_e32 v76, v75, v77
	v_lshrrev_b32_e32 v78, 31, v76
	v_add_u32_e32 v76, v76, v78
	v_ashrrev_i32_e32 v76, 1, v76
	v_add_u32_e32 v76, v76, v77
	v_xad_u32 v79, v76, -1, v13
	v_lshl_add_u32 v78, v76, 2, v60
	v_lshl_add_u32 v79, v79, 2, v61
	ds_read_b32 v78, v78
	ds_read_b32 v79, v79
	v_add_u32_e32 v80, 1, v76
	s_waitcnt lgkmcnt(0)
	v_cmp_lt_i32_e64 s[14:15], v79, v78
	s_nop 1
	v_cndmask_b32_e64 v75, v75, v76, s[14:15]
	v_cndmask_b32_e64 v77, v80, v77, s[14:15]
	v_cmp_ge_i32_e64 s[14:15], v77, v75
	s_or_b64 s[18:19], s[14:15], s[18:19]
	s_andn2_b64 exec, exec, s[18:19]
	s_cbranch_execnz .LBB27_68
; %bb.69:                               ;   in Loop: Header=BB27_2 Depth=1
	s_or_b64 exec, exec, s[18:19]
.LBB27_70:                              ;   in Loop: Header=BB27_2 Depth=1
	s_or_b64 exec, exec, s[16:17]
	v_sub_u32_e32 v75, v62, v77
	v_lshl_add_u32 v82, v77, 2, v60
	v_lshlrev_b32_e32 v81, 2, v75
	ds_read_b32 v76, v82
	ds_read_b32 v78, v81
	v_add_u32_e32 v77, v77, v12
	v_cmp_le_i32_e64 s[16:17], v25, v77
	v_cmp_gt_i32_e64 s[14:15], v26, v75
                                        ; implicit-def: $vgpr79
                                        ; implicit-def: $vgpr80
	s_waitcnt lgkmcnt(0)
	v_cmp_lt_i32_e64 s[18:19], v78, v76
	s_or_b64 s[16:17], s[16:17], s[18:19]
	s_and_b64 s[14:15], s[14:15], s[16:17]
	s_xor_b64 s[16:17], s[14:15], -1
	s_and_saveexec_b64 s[18:19], s[16:17]
	s_xor_b64 s[16:17], exec, s[18:19]
	s_cbranch_execz .LBB27_72
; %bb.71:                               ;   in Loop: Header=BB27_2 Depth=1
	ds_read_b32 v80, v82 offset:4
	v_mov_b32_e32 v79, v78
                                        ; implicit-def: $vgpr81
.LBB27_72:                              ;   in Loop: Header=BB27_2 Depth=1
	s_andn2_saveexec_b64 s[16:17], s[16:17]
	s_cbranch_execz .LBB27_74
; %bb.73:                               ;   in Loop: Header=BB27_2 Depth=1
	ds_read_b32 v79, v81 offset:4
	s_waitcnt lgkmcnt(1)
	v_mov_b32_e32 v80, v76
.LBB27_74:                              ;   in Loop: Header=BB27_2 Depth=1
	s_or_b64 exec, exec, s[16:17]
	v_add_u32_e32 v82, 1, v77
	v_add_u32_e32 v81, 1, v75
	v_cndmask_b32_e64 v82, v82, v77, s[14:15]
	v_cndmask_b32_e64 v81, v75, v81, s[14:15]
	v_cmp_ge_i32_e64 s[18:19], v82, v25
	s_waitcnt lgkmcnt(0)
	v_cmp_lt_i32_e64 s[20:21], v79, v80
	v_cmp_lt_i32_e64 s[16:17], v81, v26
	s_or_b64 s[18:19], s[18:19], s[20:21]
	s_and_b64 s[16:17], s[16:17], s[18:19]
	s_xor_b64 s[18:19], s[16:17], -1
                                        ; implicit-def: $vgpr83
	s_and_saveexec_b64 s[20:21], s[18:19]
	s_xor_b64 s[18:19], exec, s[20:21]
	s_cbranch_execz .LBB27_76
; %bb.75:                               ;   in Loop: Header=BB27_2 Depth=1
	v_lshlrev_b32_e32 v83, 2, v82
	ds_read_b32 v83, v83 offset:4
.LBB27_76:                              ;   in Loop: Header=BB27_2 Depth=1
	s_or_saveexec_b64 s[18:19], s[18:19]
	v_mov_b32_e32 v84, v79
	s_xor_b64 exec, exec, s[18:19]
	s_cbranch_execz .LBB27_78
; %bb.77:                               ;   in Loop: Header=BB27_2 Depth=1
	s_waitcnt lgkmcnt(0)
	v_lshlrev_b32_e32 v83, 2, v81
	ds_read_b32 v84, v83 offset:4
	v_mov_b32_e32 v83, v80
.LBB27_78:                              ;   in Loop: Header=BB27_2 Depth=1
	s_or_b64 exec, exec, s[18:19]
	v_add_u32_e32 v86, 1, v82
	v_add_u32_e32 v85, 1, v81
	v_cndmask_b32_e64 v86, v86, v82, s[16:17]
	v_cndmask_b32_e64 v85, v81, v85, s[16:17]
	v_cmp_ge_i32_e64 s[20:21], v86, v25
	s_waitcnt lgkmcnt(0)
	v_cmp_lt_i32_e64 s[22:23], v84, v83
	v_cmp_lt_i32_e64 s[18:19], v85, v26
	s_or_b64 s[20:21], s[20:21], s[22:23]
	s_and_b64 s[18:19], s[18:19], s[20:21]
	s_xor_b64 s[20:21], s[18:19], -1
                                        ; implicit-def: $vgpr87
	s_and_saveexec_b64 s[22:23], s[20:21]
	s_xor_b64 s[20:21], exec, s[22:23]
	s_cbranch_execz .LBB27_80
; %bb.79:                               ;   in Loop: Header=BB27_2 Depth=1
	v_lshlrev_b32_e32 v87, 2, v86
	ds_read_b32 v87, v87 offset:4
.LBB27_80:                              ;   in Loop: Header=BB27_2 Depth=1
	s_or_saveexec_b64 s[20:21], s[20:21]
	v_mov_b32_e32 v88, v84
	s_xor_b64 exec, exec, s[20:21]
	s_cbranch_execz .LBB27_82
; %bb.81:                               ;   in Loop: Header=BB27_2 Depth=1
	s_waitcnt lgkmcnt(0)
	v_lshlrev_b32_e32 v87, 2, v85
	ds_read_b32 v88, v87 offset:4
	v_mov_b32_e32 v87, v83
.LBB27_82:                              ;   in Loop: Header=BB27_2 Depth=1
	s_or_b64 exec, exec, s[20:21]
	v_add_u32_e32 v89, 1, v86
	v_cndmask_b32_e64 v83, v83, v84, s[18:19]
	v_add_u32_e32 v84, 1, v85
	v_cndmask_b32_e64 v89, v89, v86, s[18:19]
	v_cndmask_b32_e64 v84, v85, v84, s[18:19]
	;; [unrolled: 1-line block ×5, first 2 shown]
	v_cmp_ge_i32_e64 s[16:17], v89, v25
	s_waitcnt lgkmcnt(0)
	v_cmp_lt_i32_e64 s[18:19], v88, v87
	v_cndmask_b32_e64 v76, v76, v78, s[14:15]
	v_cndmask_b32_e64 v75, v77, v75, s[14:15]
	v_cmp_lt_i32_e64 s[14:15], v84, v26
	s_or_b64 s[16:17], s[16:17], s[18:19]
	s_and_b64 s[14:15], s[14:15], s[16:17]
	v_cndmask_b32_e64 v78, v89, v84, s[14:15]
	s_barrier
	ds_write2_b32 v3, v71, v72 offset1:1
	ds_write2_b32 v3, v73, v74 offset0:2 offset1:3
	v_lshlrev_b32_e32 v71, 2, v75
	v_lshlrev_b32_e32 v72, 2, v80
	;; [unrolled: 1-line block ×4, first 2 shown]
	s_waitcnt lgkmcnt(0)
	s_barrier
	ds_read_b32 v71, v71
	ds_read_b32 v72, v72
	;; [unrolled: 1-line block ×4, first 2 shown]
	v_cndmask_b32_e64 v77, v87, v88, s[14:15]
	s_waitcnt lgkmcnt(0)
	s_barrier
	ds_write2_b32 v3, v76, v79 offset1:1
	ds_write2_b32 v3, v83, v77 offset0:2 offset1:3
	v_mov_b32_e32 v77, v42
	s_waitcnt lgkmcnt(0)
	s_barrier
	s_and_saveexec_b64 s[16:17], s[8:9]
	s_cbranch_execz .LBB27_86
; %bb.83:                               ;   in Loop: Header=BB27_2 Depth=1
	s_mov_b64 s[18:19], 0
	v_mov_b32_e32 v77, v42
	v_mov_b32_e32 v75, v36
.LBB27_84:                              ;   Parent Loop BB27_2 Depth=1
                                        ; =>  This Inner Loop Header: Depth=2
	v_sub_u32_e32 v76, v75, v77
	v_lshrrev_b32_e32 v78, 31, v76
	v_add_u32_e32 v76, v76, v78
	v_ashrrev_i32_e32 v76, 1, v76
	v_add_u32_e32 v76, v76, v77
	v_xad_u32 v79, v76, -1, v15
	v_lshl_add_u32 v78, v76, 2, v63
	v_lshl_add_u32 v79, v79, 2, v64
	ds_read_b32 v78, v78
	ds_read_b32 v79, v79
	v_add_u32_e32 v80, 1, v76
	s_waitcnt lgkmcnt(0)
	v_cmp_lt_i32_e64 s[14:15], v79, v78
	s_nop 1
	v_cndmask_b32_e64 v75, v75, v76, s[14:15]
	v_cndmask_b32_e64 v77, v80, v77, s[14:15]
	v_cmp_ge_i32_e64 s[14:15], v77, v75
	s_or_b64 s[18:19], s[14:15], s[18:19]
	s_andn2_b64 exec, exec, s[18:19]
	s_cbranch_execnz .LBB27_84
; %bb.85:                               ;   in Loop: Header=BB27_2 Depth=1
	s_or_b64 exec, exec, s[18:19]
.LBB27_86:                              ;   in Loop: Header=BB27_2 Depth=1
	s_or_b64 exec, exec, s[16:17]
	v_sub_u32_e32 v75, v65, v77
	v_lshl_add_u32 v82, v77, 2, v63
	v_lshlrev_b32_e32 v81, 2, v75
	ds_read_b32 v76, v82
	ds_read_b32 v78, v81
	v_add_u32_e32 v77, v77, v14
	v_cmp_le_i32_e64 s[16:17], v27, v77
	v_cmp_gt_i32_e64 s[14:15], v28, v75
                                        ; implicit-def: $vgpr79
                                        ; implicit-def: $vgpr80
	s_waitcnt lgkmcnt(0)
	v_cmp_lt_i32_e64 s[18:19], v78, v76
	s_or_b64 s[16:17], s[16:17], s[18:19]
	s_and_b64 s[14:15], s[14:15], s[16:17]
	s_xor_b64 s[16:17], s[14:15], -1
	s_and_saveexec_b64 s[18:19], s[16:17]
	s_xor_b64 s[16:17], exec, s[18:19]
	s_cbranch_execz .LBB27_88
; %bb.87:                               ;   in Loop: Header=BB27_2 Depth=1
	ds_read_b32 v80, v82 offset:4
	v_mov_b32_e32 v79, v78
                                        ; implicit-def: $vgpr81
.LBB27_88:                              ;   in Loop: Header=BB27_2 Depth=1
	s_andn2_saveexec_b64 s[16:17], s[16:17]
	s_cbranch_execz .LBB27_90
; %bb.89:                               ;   in Loop: Header=BB27_2 Depth=1
	ds_read_b32 v79, v81 offset:4
	s_waitcnt lgkmcnt(1)
	v_mov_b32_e32 v80, v76
.LBB27_90:                              ;   in Loop: Header=BB27_2 Depth=1
	s_or_b64 exec, exec, s[16:17]
	v_add_u32_e32 v82, 1, v77
	v_add_u32_e32 v81, 1, v75
	v_cndmask_b32_e64 v82, v82, v77, s[14:15]
	v_cndmask_b32_e64 v81, v75, v81, s[14:15]
	v_cmp_ge_i32_e64 s[18:19], v82, v27
	s_waitcnt lgkmcnt(0)
	v_cmp_lt_i32_e64 s[20:21], v79, v80
	v_cmp_lt_i32_e64 s[16:17], v81, v28
	s_or_b64 s[18:19], s[18:19], s[20:21]
	s_and_b64 s[16:17], s[16:17], s[18:19]
	s_xor_b64 s[18:19], s[16:17], -1
                                        ; implicit-def: $vgpr83
	s_and_saveexec_b64 s[20:21], s[18:19]
	s_xor_b64 s[18:19], exec, s[20:21]
	s_cbranch_execz .LBB27_92
; %bb.91:                               ;   in Loop: Header=BB27_2 Depth=1
	v_lshlrev_b32_e32 v83, 2, v82
	ds_read_b32 v83, v83 offset:4
.LBB27_92:                              ;   in Loop: Header=BB27_2 Depth=1
	s_or_saveexec_b64 s[18:19], s[18:19]
	v_mov_b32_e32 v84, v79
	s_xor_b64 exec, exec, s[18:19]
	s_cbranch_execz .LBB27_94
; %bb.93:                               ;   in Loop: Header=BB27_2 Depth=1
	s_waitcnt lgkmcnt(0)
	v_lshlrev_b32_e32 v83, 2, v81
	ds_read_b32 v84, v83 offset:4
	v_mov_b32_e32 v83, v80
.LBB27_94:                              ;   in Loop: Header=BB27_2 Depth=1
	s_or_b64 exec, exec, s[18:19]
	v_add_u32_e32 v86, 1, v82
	v_add_u32_e32 v85, 1, v81
	v_cndmask_b32_e64 v86, v86, v82, s[16:17]
	v_cndmask_b32_e64 v85, v81, v85, s[16:17]
	v_cmp_ge_i32_e64 s[20:21], v86, v27
	s_waitcnt lgkmcnt(0)
	v_cmp_lt_i32_e64 s[22:23], v84, v83
	v_cmp_lt_i32_e64 s[18:19], v85, v28
	s_or_b64 s[20:21], s[20:21], s[22:23]
	s_and_b64 s[18:19], s[18:19], s[20:21]
	s_xor_b64 s[20:21], s[18:19], -1
                                        ; implicit-def: $vgpr87
	s_and_saveexec_b64 s[22:23], s[20:21]
	s_xor_b64 s[20:21], exec, s[22:23]
	s_cbranch_execz .LBB27_96
; %bb.95:                               ;   in Loop: Header=BB27_2 Depth=1
	v_lshlrev_b32_e32 v87, 2, v86
	ds_read_b32 v87, v87 offset:4
.LBB27_96:                              ;   in Loop: Header=BB27_2 Depth=1
	s_or_saveexec_b64 s[20:21], s[20:21]
	v_mov_b32_e32 v88, v84
	s_xor_b64 exec, exec, s[20:21]
	s_cbranch_execz .LBB27_98
; %bb.97:                               ;   in Loop: Header=BB27_2 Depth=1
	s_waitcnt lgkmcnt(0)
	v_lshlrev_b32_e32 v87, 2, v85
	ds_read_b32 v88, v87 offset:4
	v_mov_b32_e32 v87, v83
.LBB27_98:                              ;   in Loop: Header=BB27_2 Depth=1
	s_or_b64 exec, exec, s[20:21]
	v_add_u32_e32 v89, 1, v86
	v_cndmask_b32_e64 v83, v83, v84, s[18:19]
	v_add_u32_e32 v84, 1, v85
	v_cndmask_b32_e64 v89, v89, v86, s[18:19]
	v_cndmask_b32_e64 v84, v85, v84, s[18:19]
	;; [unrolled: 1-line block ×5, first 2 shown]
	v_cmp_ge_i32_e64 s[16:17], v89, v27
	s_waitcnt lgkmcnt(0)
	v_cmp_lt_i32_e64 s[18:19], v88, v87
	v_cndmask_b32_e64 v76, v76, v78, s[14:15]
	v_cndmask_b32_e64 v75, v77, v75, s[14:15]
	v_cmp_lt_i32_e64 s[14:15], v84, v28
	s_or_b64 s[16:17], s[16:17], s[18:19]
	s_and_b64 s[14:15], s[14:15], s[16:17]
	v_cndmask_b32_e64 v78, v89, v84, s[14:15]
	s_barrier
	ds_write2_b32 v3, v71, v72 offset1:1
	ds_write2_b32 v3, v73, v74 offset0:2 offset1:3
	v_lshlrev_b32_e32 v71, 2, v75
	v_lshlrev_b32_e32 v72, 2, v80
	;; [unrolled: 1-line block ×4, first 2 shown]
	s_waitcnt lgkmcnt(0)
	s_barrier
	ds_read_b32 v71, v71
	ds_read_b32 v72, v72
	;; [unrolled: 1-line block ×4, first 2 shown]
	v_cndmask_b32_e64 v77, v87, v88, s[14:15]
	s_waitcnt lgkmcnt(0)
	s_barrier
	ds_write2_b32 v3, v76, v79 offset1:1
	ds_write2_b32 v3, v83, v77 offset0:2 offset1:3
	v_mov_b32_e32 v77, v47
	s_waitcnt lgkmcnt(0)
	s_barrier
	s_and_saveexec_b64 s[16:17], s[10:11]
	s_cbranch_execz .LBB27_102
; %bb.99:                               ;   in Loop: Header=BB27_2 Depth=1
	s_mov_b64 s[18:19], 0
	v_mov_b32_e32 v77, v47
	v_mov_b32_e32 v75, v48
.LBB27_100:                             ;   Parent Loop BB27_2 Depth=1
                                        ; =>  This Inner Loop Header: Depth=2
	v_sub_u32_e32 v76, v75, v77
	v_lshrrev_b32_e32 v78, 31, v76
	v_add_u32_e32 v76, v76, v78
	v_ashrrev_i32_e32 v76, 1, v76
	v_add_u32_e32 v76, v76, v77
	v_xad_u32 v79, v76, -1, v44
	v_lshl_add_u32 v78, v76, 2, v66
	v_lshl_add_u32 v79, v79, 2, v67
	ds_read_b32 v78, v78
	ds_read_b32 v79, v79
	v_add_u32_e32 v80, 1, v76
	s_waitcnt lgkmcnt(0)
	v_cmp_lt_i32_e64 s[14:15], v79, v78
	s_nop 1
	v_cndmask_b32_e64 v75, v75, v76, s[14:15]
	v_cndmask_b32_e64 v77, v80, v77, s[14:15]
	v_cmp_ge_i32_e64 s[14:15], v77, v75
	s_or_b64 s[18:19], s[14:15], s[18:19]
	s_andn2_b64 exec, exec, s[18:19]
	s_cbranch_execnz .LBB27_100
; %bb.101:                              ;   in Loop: Header=BB27_2 Depth=1
	s_or_b64 exec, exec, s[18:19]
.LBB27_102:                             ;   in Loop: Header=BB27_2 Depth=1
	s_or_b64 exec, exec, s[16:17]
	v_sub_u32_e32 v75, v68, v77
	v_lshl_add_u32 v82, v77, 2, v66
	v_lshlrev_b32_e32 v81, 2, v75
	ds_read_b32 v76, v82
	ds_read_b32 v78, v81
	v_add_u32_e32 v77, v77, v43
	v_cmp_le_i32_e64 s[16:17], v45, v77
	v_cmp_gt_i32_e64 s[14:15], v46, v75
                                        ; implicit-def: $vgpr79
                                        ; implicit-def: $vgpr80
	s_waitcnt lgkmcnt(0)
	v_cmp_lt_i32_e64 s[18:19], v78, v76
	s_or_b64 s[16:17], s[16:17], s[18:19]
	s_and_b64 s[14:15], s[14:15], s[16:17]
	s_xor_b64 s[16:17], s[14:15], -1
	s_and_saveexec_b64 s[18:19], s[16:17]
	s_xor_b64 s[16:17], exec, s[18:19]
	s_cbranch_execz .LBB27_104
; %bb.103:                              ;   in Loop: Header=BB27_2 Depth=1
	ds_read_b32 v80, v82 offset:4
	v_mov_b32_e32 v79, v78
                                        ; implicit-def: $vgpr81
.LBB27_104:                             ;   in Loop: Header=BB27_2 Depth=1
	s_andn2_saveexec_b64 s[16:17], s[16:17]
	s_cbranch_execz .LBB27_106
; %bb.105:                              ;   in Loop: Header=BB27_2 Depth=1
	ds_read_b32 v79, v81 offset:4
	s_waitcnt lgkmcnt(1)
	v_mov_b32_e32 v80, v76
.LBB27_106:                             ;   in Loop: Header=BB27_2 Depth=1
	s_or_b64 exec, exec, s[16:17]
	v_add_u32_e32 v82, 1, v77
	v_add_u32_e32 v81, 1, v75
	v_cndmask_b32_e64 v82, v82, v77, s[14:15]
	v_cndmask_b32_e64 v81, v75, v81, s[14:15]
	v_cmp_ge_i32_e64 s[18:19], v82, v45
	s_waitcnt lgkmcnt(0)
	v_cmp_lt_i32_e64 s[20:21], v79, v80
	v_cmp_lt_i32_e64 s[16:17], v81, v46
	s_or_b64 s[18:19], s[18:19], s[20:21]
	s_and_b64 s[16:17], s[16:17], s[18:19]
	s_xor_b64 s[18:19], s[16:17], -1
                                        ; implicit-def: $vgpr83
	s_and_saveexec_b64 s[20:21], s[18:19]
	s_xor_b64 s[18:19], exec, s[20:21]
	s_cbranch_execz .LBB27_108
; %bb.107:                              ;   in Loop: Header=BB27_2 Depth=1
	v_lshlrev_b32_e32 v83, 2, v82
	ds_read_b32 v83, v83 offset:4
.LBB27_108:                             ;   in Loop: Header=BB27_2 Depth=1
	s_or_saveexec_b64 s[18:19], s[18:19]
	v_mov_b32_e32 v84, v79
	s_xor_b64 exec, exec, s[18:19]
	s_cbranch_execz .LBB27_110
; %bb.109:                              ;   in Loop: Header=BB27_2 Depth=1
	s_waitcnt lgkmcnt(0)
	v_lshlrev_b32_e32 v83, 2, v81
	ds_read_b32 v84, v83 offset:4
	v_mov_b32_e32 v83, v80
.LBB27_110:                             ;   in Loop: Header=BB27_2 Depth=1
	s_or_b64 exec, exec, s[18:19]
	v_add_u32_e32 v86, 1, v82
	v_add_u32_e32 v85, 1, v81
	v_cndmask_b32_e64 v86, v86, v82, s[16:17]
	v_cndmask_b32_e64 v85, v81, v85, s[16:17]
	v_cmp_ge_i32_e64 s[20:21], v86, v45
	s_waitcnt lgkmcnt(0)
	v_cmp_lt_i32_e64 s[22:23], v84, v83
	v_cmp_lt_i32_e64 s[18:19], v85, v46
	s_or_b64 s[20:21], s[20:21], s[22:23]
	s_and_b64 s[18:19], s[18:19], s[20:21]
	s_xor_b64 s[20:21], s[18:19], -1
                                        ; implicit-def: $vgpr87
	s_and_saveexec_b64 s[22:23], s[20:21]
	s_xor_b64 s[20:21], exec, s[22:23]
	s_cbranch_execz .LBB27_112
; %bb.111:                              ;   in Loop: Header=BB27_2 Depth=1
	v_lshlrev_b32_e32 v87, 2, v86
	ds_read_b32 v87, v87 offset:4
.LBB27_112:                             ;   in Loop: Header=BB27_2 Depth=1
	s_or_saveexec_b64 s[20:21], s[20:21]
	v_mov_b32_e32 v88, v84
	s_xor_b64 exec, exec, s[20:21]
	s_cbranch_execz .LBB27_114
; %bb.113:                              ;   in Loop: Header=BB27_2 Depth=1
	s_waitcnt lgkmcnt(0)
	v_lshlrev_b32_e32 v87, 2, v85
	ds_read_b32 v88, v87 offset:4
	v_mov_b32_e32 v87, v83
.LBB27_114:                             ;   in Loop: Header=BB27_2 Depth=1
	s_or_b64 exec, exec, s[20:21]
	v_add_u32_e32 v89, 1, v86
	v_cndmask_b32_e64 v83, v83, v84, s[18:19]
	v_add_u32_e32 v84, 1, v85
	v_cndmask_b32_e64 v89, v89, v86, s[18:19]
	v_cndmask_b32_e64 v84, v85, v84, s[18:19]
	;; [unrolled: 1-line block ×5, first 2 shown]
	v_cmp_ge_i32_e64 s[16:17], v89, v45
	s_waitcnt lgkmcnt(0)
	v_cmp_lt_i32_e64 s[18:19], v88, v87
	v_cndmask_b32_e64 v76, v76, v78, s[14:15]
	v_cndmask_b32_e64 v75, v77, v75, s[14:15]
	v_cmp_lt_i32_e64 s[14:15], v84, v46
	s_or_b64 s[16:17], s[16:17], s[18:19]
	s_and_b64 s[14:15], s[14:15], s[16:17]
	v_cndmask_b32_e64 v78, v89, v84, s[14:15]
	s_barrier
	ds_write2_b32 v3, v71, v72 offset1:1
	ds_write2_b32 v3, v73, v74 offset0:2 offset1:3
	v_lshlrev_b32_e32 v71, 2, v75
	v_lshlrev_b32_e32 v72, 2, v80
	;; [unrolled: 1-line block ×4, first 2 shown]
	s_waitcnt lgkmcnt(0)
	s_barrier
	ds_read_b32 v71, v71
	ds_read_b32 v72, v72
	;; [unrolled: 1-line block ×4, first 2 shown]
	v_cndmask_b32_e64 v77, v87, v88, s[14:15]
	s_waitcnt lgkmcnt(0)
	s_barrier
	ds_write2_b32 v3, v76, v79 offset1:1
	ds_write2_b32 v3, v83, v77 offset0:2 offset1:3
	v_mov_b32_e32 v76, v49
	s_waitcnt lgkmcnt(0)
	s_barrier
	s_and_saveexec_b64 s[16:17], s[12:13]
	s_cbranch_execz .LBB27_118
; %bb.115:                              ;   in Loop: Header=BB27_2 Depth=1
	s_mov_b64 s[18:19], 0
	v_mov_b32_e32 v76, v49
	v_mov_b32_e32 v75, v50
.LBB27_116:                             ;   Parent Loop BB27_2 Depth=1
                                        ; =>  This Inner Loop Header: Depth=2
	v_sub_u32_e32 v77, v75, v76
	v_lshrrev_b32_e32 v78, 31, v77
	v_add_u32_e32 v77, v77, v78
	v_ashrrev_i32_e32 v77, 1, v77
	v_add_u32_e32 v77, v77, v76
	v_xad_u32 v79, v77, -1, v1
	v_lshlrev_b32_e32 v78, 2, v77
	v_lshl_add_u32 v79, v79, 2, v69
	ds_read_b32 v78, v78
	ds_read_b32 v79, v79
	v_add_u32_e32 v80, 1, v77
	s_waitcnt lgkmcnt(0)
	v_cmp_lt_i32_e64 s[14:15], v79, v78
	s_nop 1
	v_cndmask_b32_e64 v75, v75, v77, s[14:15]
	v_cndmask_b32_e64 v76, v80, v76, s[14:15]
	v_cmp_ge_i32_e64 s[14:15], v76, v75
	s_or_b64 s[18:19], s[14:15], s[18:19]
	s_andn2_b64 exec, exec, s[18:19]
	s_cbranch_execnz .LBB27_116
; %bb.117:                              ;   in Loop: Header=BB27_2 Depth=1
	s_or_b64 exec, exec, s[18:19]
.LBB27_118:                             ;   in Loop: Header=BB27_2 Depth=1
	s_or_b64 exec, exec, s[16:17]
	v_sub_u32_e32 v79, v70, v76
	v_lshlrev_b32_e32 v82, 2, v76
	v_lshlrev_b32_e32 v81, 2, v79
	ds_read_b32 v75, v82
	ds_read_b32 v80, v81
	v_cmp_le_i32_e64 s[16:17], v2, v76
	v_cmp_gt_i32_e64 s[14:15], s33, v79
                                        ; implicit-def: $vgpr77
                                        ; implicit-def: $vgpr78
	s_waitcnt lgkmcnt(0)
	v_cmp_lt_i32_e64 s[18:19], v80, v75
	s_or_b64 s[16:17], s[16:17], s[18:19]
	s_and_b64 s[14:15], s[14:15], s[16:17]
	s_xor_b64 s[16:17], s[14:15], -1
	s_and_saveexec_b64 s[18:19], s[16:17]
	s_xor_b64 s[16:17], exec, s[18:19]
	s_cbranch_execz .LBB27_120
; %bb.119:                              ;   in Loop: Header=BB27_2 Depth=1
	ds_read_b32 v78, v82 offset:4
	v_mov_b32_e32 v77, v80
                                        ; implicit-def: $vgpr81
.LBB27_120:                             ;   in Loop: Header=BB27_2 Depth=1
	s_andn2_saveexec_b64 s[16:17], s[16:17]
	s_cbranch_execz .LBB27_122
; %bb.121:                              ;   in Loop: Header=BB27_2 Depth=1
	ds_read_b32 v77, v81 offset:4
	s_waitcnt lgkmcnt(1)
	v_mov_b32_e32 v78, v75
.LBB27_122:                             ;   in Loop: Header=BB27_2 Depth=1
	s_or_b64 exec, exec, s[16:17]
	v_add_u32_e32 v82, 1, v76
	v_add_u32_e32 v81, 1, v79
	v_cndmask_b32_e64 v84, v82, v76, s[14:15]
	v_cndmask_b32_e64 v83, v79, v81, s[14:15]
	v_cmp_ge_i32_e64 s[18:19], v84, v2
	s_waitcnt lgkmcnt(0)
	v_cmp_lt_i32_e64 s[20:21], v77, v78
	v_cmp_gt_i32_e64 s[16:17], s33, v83
	s_or_b64 s[18:19], s[18:19], s[20:21]
	s_and_b64 s[16:17], s[16:17], s[18:19]
	s_xor_b64 s[18:19], s[16:17], -1
                                        ; implicit-def: $vgpr81
	s_and_saveexec_b64 s[20:21], s[18:19]
	s_xor_b64 s[18:19], exec, s[20:21]
	s_cbranch_execz .LBB27_124
; %bb.123:                              ;   in Loop: Header=BB27_2 Depth=1
	v_lshlrev_b32_e32 v81, 2, v84
	ds_read_b32 v81, v81 offset:4
.LBB27_124:                             ;   in Loop: Header=BB27_2 Depth=1
	s_or_saveexec_b64 s[18:19], s[18:19]
	v_mov_b32_e32 v82, v77
	s_xor_b64 exec, exec, s[18:19]
	s_cbranch_execz .LBB27_126
; %bb.125:                              ;   in Loop: Header=BB27_2 Depth=1
	s_waitcnt lgkmcnt(0)
	v_lshlrev_b32_e32 v81, 2, v83
	ds_read_b32 v82, v81 offset:4
	v_mov_b32_e32 v81, v78
.LBB27_126:                             ;   in Loop: Header=BB27_2 Depth=1
	s_or_b64 exec, exec, s[18:19]
	v_add_u32_e32 v86, 1, v84
	v_add_u32_e32 v85, 1, v83
	v_cndmask_b32_e64 v88, v86, v84, s[16:17]
	v_cndmask_b32_e64 v85, v83, v85, s[16:17]
	v_cmp_ge_i32_e64 s[20:21], v88, v2
	s_waitcnt lgkmcnt(0)
	v_cmp_lt_i32_e64 s[22:23], v82, v81
	v_cmp_gt_i32_e64 s[18:19], s33, v85
	s_or_b64 s[20:21], s[20:21], s[22:23]
	s_and_b64 s[18:19], s[18:19], s[20:21]
	s_xor_b64 s[20:21], s[18:19], -1
                                        ; implicit-def: $vgpr87
                                        ; implicit-def: $vgpr86
	s_and_saveexec_b64 s[22:23], s[20:21]
	s_xor_b64 s[20:21], exec, s[22:23]
	s_cbranch_execz .LBB27_128
; %bb.127:                              ;   in Loop: Header=BB27_2 Depth=1
	v_lshlrev_b32_e32 v86, 2, v88
	ds_read_b32 v87, v86 offset:4
	v_add_u32_e32 v86, 1, v88
.LBB27_128:                             ;   in Loop: Header=BB27_2 Depth=1
	s_or_saveexec_b64 s[20:21], s[20:21]
	v_mov_b32_e32 v89, v88
	v_mov_b32_e32 v90, v82
	s_xor_b64 exec, exec, s[20:21]
	s_cbranch_execz .LBB27_1
; %bb.129:                              ;   in Loop: Header=BB27_2 Depth=1
	v_lshlrev_b32_e32 v86, 2, v85
	ds_read_b32 v90, v86 offset:4
	s_waitcnt lgkmcnt(1)
	v_add_u32_e32 v87, 1, v85
	v_mov_b32_e32 v89, v85
	v_mov_b32_e32 v86, v88
	;; [unrolled: 1-line block ×4, first 2 shown]
	s_branch .LBB27_1
.LBB27_130:
	s_add_u32 s0, s38, s40
	s_waitcnt lgkmcnt(3)
	v_add_u32_e32 v1, v75, v71
	s_addc_u32 s1, s39, s41
	v_lshlrev_b32_e32 v0, 2, v0
	s_waitcnt lgkmcnt(2)
	v_add_u32_e32 v2, v78, v73
	s_waitcnt lgkmcnt(1)
	v_add_u32_e32 v3, v77, v72
	s_waitcnt lgkmcnt(0)
	v_add_u32_e32 v4, v76, v74
	global_store_dword v0, v1, s[0:1]
	global_store_dword v0, v2, s[0:1] offset:1024
	global_store_dword v0, v3, s[0:1] offset:2048
	;; [unrolled: 1-line block ×3, first 2 shown]
	s_endpgm
	.section	.rodata,"a",@progbits
	.p2align	6, 0x0
	.amdhsa_kernel _Z17sort_pairs_kernelIiLj256ELj4EN10test_utils4lessELj10EEvPKT_PS2_T2_
		.amdhsa_group_segment_fixed_size 4100
		.amdhsa_private_segment_fixed_size 0
		.amdhsa_kernarg_size 20
		.amdhsa_user_sgpr_count 2
		.amdhsa_user_sgpr_dispatch_ptr 0
		.amdhsa_user_sgpr_queue_ptr 0
		.amdhsa_user_sgpr_kernarg_segment_ptr 1
		.amdhsa_user_sgpr_dispatch_id 0
		.amdhsa_user_sgpr_kernarg_preload_length 0
		.amdhsa_user_sgpr_kernarg_preload_offset 0
		.amdhsa_user_sgpr_private_segment_size 0
		.amdhsa_uses_dynamic_stack 0
		.amdhsa_enable_private_segment 0
		.amdhsa_system_sgpr_workgroup_id_x 1
		.amdhsa_system_sgpr_workgroup_id_y 0
		.amdhsa_system_sgpr_workgroup_id_z 0
		.amdhsa_system_sgpr_workgroup_info 0
		.amdhsa_system_vgpr_workitem_id 0
		.amdhsa_next_free_vgpr 91
		.amdhsa_next_free_sgpr 44
		.amdhsa_accum_offset 92
		.amdhsa_reserve_vcc 1
		.amdhsa_float_round_mode_32 0
		.amdhsa_float_round_mode_16_64 0
		.amdhsa_float_denorm_mode_32 3
		.amdhsa_float_denorm_mode_16_64 3
		.amdhsa_dx10_clamp 1
		.amdhsa_ieee_mode 1
		.amdhsa_fp16_overflow 0
		.amdhsa_tg_split 0
		.amdhsa_exception_fp_ieee_invalid_op 0
		.amdhsa_exception_fp_denorm_src 0
		.amdhsa_exception_fp_ieee_div_zero 0
		.amdhsa_exception_fp_ieee_overflow 0
		.amdhsa_exception_fp_ieee_underflow 0
		.amdhsa_exception_fp_ieee_inexact 0
		.amdhsa_exception_int_div_zero 0
	.end_amdhsa_kernel
	.section	.text._Z17sort_pairs_kernelIiLj256ELj4EN10test_utils4lessELj10EEvPKT_PS2_T2_,"axG",@progbits,_Z17sort_pairs_kernelIiLj256ELj4EN10test_utils4lessELj10EEvPKT_PS2_T2_,comdat
.Lfunc_end27:
	.size	_Z17sort_pairs_kernelIiLj256ELj4EN10test_utils4lessELj10EEvPKT_PS2_T2_, .Lfunc_end27-_Z17sort_pairs_kernelIiLj256ELj4EN10test_utils4lessELj10EEvPKT_PS2_T2_
                                        ; -- End function
	.section	.AMDGPU.csdata,"",@progbits
; Kernel info:
; codeLenInByte = 7096
; NumSgprs: 50
; NumVgprs: 91
; NumAgprs: 0
; TotalNumVgprs: 91
; ScratchSize: 0
; MemoryBound: 0
; FloatMode: 240
; IeeeMode: 1
; LDSByteSize: 4100 bytes/workgroup (compile time only)
; SGPRBlocks: 6
; VGPRBlocks: 11
; NumSGPRsForWavesPerEU: 50
; NumVGPRsForWavesPerEU: 91
; AccumOffset: 92
; Occupancy: 5
; WaveLimiterHint : 1
; COMPUTE_PGM_RSRC2:SCRATCH_EN: 0
; COMPUTE_PGM_RSRC2:USER_SGPR: 2
; COMPUTE_PGM_RSRC2:TRAP_HANDLER: 0
; COMPUTE_PGM_RSRC2:TGID_X_EN: 1
; COMPUTE_PGM_RSRC2:TGID_Y_EN: 0
; COMPUTE_PGM_RSRC2:TGID_Z_EN: 0
; COMPUTE_PGM_RSRC2:TIDIG_COMP_CNT: 0
; COMPUTE_PGM_RSRC3_GFX90A:ACCUM_OFFSET: 22
; COMPUTE_PGM_RSRC3_GFX90A:TG_SPLIT: 0
	.section	.text._Z16sort_keys_kernelIiLj256ELj8EN10test_utils4lessELj10EEvPKT_PS2_T2_,"axG",@progbits,_Z16sort_keys_kernelIiLj256ELj8EN10test_utils4lessELj10EEvPKT_PS2_T2_,comdat
	.protected	_Z16sort_keys_kernelIiLj256ELj8EN10test_utils4lessELj10EEvPKT_PS2_T2_ ; -- Begin function _Z16sort_keys_kernelIiLj256ELj8EN10test_utils4lessELj10EEvPKT_PS2_T2_
	.globl	_Z16sort_keys_kernelIiLj256ELj8EN10test_utils4lessELj10EEvPKT_PS2_T2_
	.p2align	8
	.type	_Z16sort_keys_kernelIiLj256ELj8EN10test_utils4lessELj10EEvPKT_PS2_T2_,@function
_Z16sort_keys_kernelIiLj256ELj8EN10test_utils4lessELj10EEvPKT_PS2_T2_: ; @_Z16sort_keys_kernelIiLj256ELj8EN10test_utils4lessELj10EEvPKT_PS2_T2_
; %bb.0:
	s_load_dwordx4 s[36:39], s[0:1], 0x0
	s_lshl_b32 s34, s2, 11
	s_mov_b32 s35, 0
	s_lshl_b64 s[40:41], s[34:35], 2
	v_mov_b32_e32 v3, 0
	s_waitcnt lgkmcnt(0)
	s_add_u32 s0, s36, s40
	s_addc_u32 s1, s37, s41
	v_lshlrev_b32_e32 v2, 2, v0
	v_lshl_add_u64 v[4:5], s[0:1], 0, v[2:3]
	s_movk_i32 s2, 0x1000
	v_add_co_u32_e32 v4, vcc, s2, v4
	global_load_dword v74, v2, s[0:1] offset:2048
	global_load_dword v75, v2, s[0:1] offset:3072
	v_addc_co_u32_e32 v5, vcc, 0, v5, vcc
	global_load_dword v72, v[4:5], off
	global_load_dword v73, v[4:5], off offset:1024
	global_load_dword v71, v[4:5], off offset:2048
	global_load_dword v79, v2, s[0:1] offset:1024
	global_load_dword v80, v2, s[0:1]
	global_load_dword v76, v[4:5], off offset:3072
	v_lshlrev_b32_e32 v1, 3, v0
	v_and_b32_e32 v30, 0x780, v1
	v_or_b32_e32 v32, 64, v30
	v_add_u32_e32 v33, 0x80, v30
	v_and_b32_e32 v31, 0x78, v1
	v_sub_u32_e32 v36, v33, v32
	v_sub_u32_e32 v38, v31, v36
	v_cmp_ge_i32_e64 s[4:5], v31, v36
	v_and_b32_e32 v39, 0xf8, v1
	v_and_b32_e32 v3, 0x7f0, v1
	v_cndmask_b32_e64 v36, 0, v38, s[4:5]
	v_and_b32_e32 v38, 0x700, v1
	v_or_b32_e32 v40, 0x80, v38
	v_add_u32_e32 v41, 0x100, v38
	v_sub_u32_e32 v42, v41, v40
	v_sub_u32_e32 v44, v39, v42
	v_cmp_ge_i32_e64 s[6:7], v39, v42
	v_and_b32_e32 v12, 0x7e0, v1
	v_and_b32_e32 v21, 0x7c0, v1
	v_cndmask_b32_e64 v42, 0, v44, s[6:7]
	v_and_b32_e32 v44, 0x600, v1
	v_or_b32_e32 v46, 0x100, v44
	v_add_u32_e32 v47, 0x200, v44
	v_and_b32_e32 v51, 0x400, v1
	v_or_b32_e32 v5, 8, v3
	v_add_u32_e32 v6, 16, v3
	v_or_b32_e32 v14, 16, v12
	v_add_u32_e32 v15, 32, v12
	;; [unrolled: 2-line block ×3, first 2 shown]
	v_and_b32_e32 v45, 0x1f8, v1
	v_sub_u32_e32 v48, v47, v46
	v_or_b32_e32 v53, 0x200, v51
	v_add_u32_e32 v54, 0x400, v51
	v_and_b32_e32 v4, 8, v1
	v_sub_u32_e32 v9, v6, v5
	v_and_b32_e32 v13, 24, v1
	v_sub_u32_e32 v18, v15, v14
	;; [unrolled: 2-line block ×3, first 2 shown]
	v_sub_u32_e32 v50, v45, v48
	v_cmp_ge_i32_e64 s[8:9], v45, v48
	v_and_b32_e32 v52, 0x3f8, v1
	v_sub_u32_e32 v55, v54, v53
	v_sub_u32_e32 v10, v5, v3
	;; [unrolled: 1-line block ×3, first 2 shown]
	v_cmp_ge_i32_e32 vcc, v4, v9
	v_sub_u32_e32 v19, v14, v12
	v_sub_u32_e32 v20, v13, v18
	v_cmp_ge_i32_e64 s[0:1], v13, v18
	v_sub_u32_e32 v28, v23, v21
	v_sub_u32_e32 v29, v22, v27
	v_cmp_ge_i32_e64 s[2:3], v22, v27
	v_sub_u32_e32 v37, v32, v30
	v_sub_u32_e32 v43, v40, v38
	;; [unrolled: 1-line block ×3, first 2 shown]
	v_cndmask_b32_e64 v48, 0, v50, s[8:9]
	v_mov_b32_e32 v50, 0x400
	v_sub_u32_e32 v56, v53, v51
	v_sub_u32_e32 v57, v52, v55
	v_cmp_ge_i32_e64 s[10:11], v52, v55
	v_cndmask_b32_e32 v9, 0, v11, vcc
	v_min_i32_e32 v10, v4, v10
	v_cndmask_b32_e64 v18, 0, v20, s[0:1]
	v_min_i32_e32 v19, v13, v19
	v_cndmask_b32_e64 v27, 0, v29, s[2:3]
	v_min_i32_e32 v28, v22, v28
	v_min_i32_e32 v37, v31, v37
	;; [unrolled: 1-line block ×4, first 2 shown]
	v_cndmask_b32_e64 v55, 0, v57, s[10:11]
	v_min_i32_e32 v56, v52, v56
	v_sub_u32_e64 v57, v1, v50 clamp
	v_min_i32_e32 v58, 0x400, v1
	v_lshlrev_b32_e32 v2, 5, v0
	v_lshlrev_b32_e32 v7, 2, v3
	;; [unrolled: 1-line block ×3, first 2 shown]
	v_cmp_lt_i32_e32 vcc, v9, v10
	v_add_u32_e32 v11, v5, v4
	v_lshlrev_b32_e32 v16, 2, v12
	v_lshlrev_b32_e32 v17, 2, v14
	v_cmp_lt_i32_e64 s[0:1], v18, v19
	v_add_u32_e32 v20, v14, v13
	v_lshlrev_b32_e32 v25, 2, v21
	v_lshlrev_b32_e32 v26, 2, v23
	v_cmp_lt_i32_e64 s[2:3], v27, v28
	v_add_u32_e32 v29, v23, v22
	v_lshlrev_b32_e32 v34, 2, v30
	v_lshlrev_b32_e32 v35, 2, v32
	v_cmp_lt_i32_e64 s[4:5], v36, v37
	v_cmp_lt_i32_e64 s[6:7], v42, v43
	v_cmp_lt_i32_e64 s[8:9], v48, v49
	v_cmp_lt_i32_e64 s[10:11], v55, v56
	v_cmp_lt_i32_e64 s[12:13], v57, v58
	s_movk_i32 s33, 0x800
	v_add_u32_e32 v59, v32, v31
	v_lshlrev_b32_e32 v60, 2, v38
	v_lshlrev_b32_e32 v61, 2, v40
	v_add_u32_e32 v62, v40, v39
	v_lshlrev_b32_e32 v63, 2, v44
	v_lshlrev_b32_e32 v64, 2, v46
	;; [unrolled: 3-line block ×3, first 2 shown]
	v_add_u32_e32 v68, v53, v52
	v_mov_b32_e32 v69, 0x1000
	v_add_u32_e32 v70, 0x400, v1
	s_branch .LBB28_2
.LBB28_1:                               ;   in Loop: Header=BB28_2 Depth=1
	s_or_b64 exec, exec, s[28:29]
	v_cndmask_b32_e64 v79, v74, v73, s[16:17]
	v_cndmask_b32_e64 v74, v75, v76, s[18:19]
	v_cmp_ge_i32_e64 s[16:17], v89, v50
	s_waitcnt lgkmcnt(0)
	v_cmp_lt_i32_e64 s[18:19], v90, v88
	v_cndmask_b32_e64 v80, v71, v72, s[14:15]
	v_cmp_gt_i32_e64 s[14:15], s33, v87
	s_or_b64 s[16:17], s[16:17], s[18:19]
	s_add_i32 s35, s35, 1
	s_and_b64 s[14:15], s[14:15], s[16:17]
	v_cndmask_b32_e64 v75, v77, v78, s[20:21]
	v_cndmask_b32_e64 v72, v81, v82, s[22:23]
	;; [unrolled: 1-line block ×4, first 2 shown]
	s_cmp_eq_u32 s35, 10
	v_cndmask_b32_e64 v76, v88, v90, s[14:15]
	s_cbranch_scc1 .LBB28_258
.LBB28_2:                               ; =>This Loop Header: Depth=1
                                        ;     Child Loop BB28_4 Depth 2
                                        ;     Child Loop BB28_36 Depth 2
	;; [unrolled: 1-line block ×8, first 2 shown]
	s_waitcnt vmcnt(1)
	v_cmp_lt_i32_e64 s[14:15], v79, v80
	v_min_i32_e32 v81, v79, v80
	v_max_i32_e32 v83, v75, v74
	v_cndmask_b32_e64 v77, v80, v79, s[14:15]
	v_cndmask_b32_e64 v78, v79, v80, s[14:15]
	v_cmp_lt_i32_e64 s[14:15], v75, v74
	v_max_i32_e32 v79, v79, v80
	v_max_i32_e32 v85, v73, v72
	v_cndmask_b32_e64 v80, v75, v74, s[14:15]
	v_cndmask_b32_e64 v82, v74, v75, s[14:15]
	v_cmp_lt_i32_e64 s[14:15], v73, v72
	v_min_i32_e32 v74, v75, v74
	s_waitcnt vmcnt(0)
	v_max_i32_e32 v87, v76, v71
	v_cndmask_b32_e64 v75, v73, v72, s[14:15]
	v_cndmask_b32_e64 v84, v72, v73, s[14:15]
	v_cmp_lt_i32_e64 s[14:15], v76, v71
	v_min_i32_e32 v72, v73, v72
	v_max_i32_e32 v88, v72, v83
	v_cndmask_b32_e64 v73, v76, v71, s[14:15]
	v_cndmask_b32_e64 v86, v71, v76, s[14:15]
	v_cmp_lt_i32_e64 s[14:15], v74, v79
	v_min_i32_e32 v71, v76, v71
	s_nop 0
	v_cndmask_b32_e64 v76, v82, v79, s[14:15]
	v_cndmask_b32_e64 v78, v78, v74, s[14:15]
	v_cmp_lt_i32_e64 s[14:15], v72, v83
	v_max_i32_e32 v82, v74, v79
	v_min_i32_e32 v79, v74, v79
	v_cndmask_b32_e64 v84, v84, v83, s[14:15]
	v_cndmask_b32_e64 v80, v80, v72, s[14:15]
	v_cmp_lt_i32_e64 s[14:15], v71, v85
	v_min_i32_e32 v72, v72, v83
	s_barrier
	v_cndmask_b32_e64 v83, v86, v85, s[14:15]
	v_cndmask_b32_e64 v75, v75, v71, s[14:15]
	v_cmp_lt_i32_e64 s[14:15], v74, v81
	v_max_i32_e32 v86, v71, v85
	v_min_i32_e32 v71, v71, v85
	v_cndmask_b32_e64 v74, v77, v79, s[14:15]
	v_cndmask_b32_e64 v77, v78, v81, s[14:15]
	;; [unrolled: 1-line block ×4, first 2 shown]
	v_cmp_lt_i32_e64 s[14:15], v72, v82
	v_max_i32_e32 v81, v72, v82
	s_nop 0
	v_cndmask_b32_e64 v80, v80, v82, s[14:15]
	v_cndmask_b32_e64 v76, v76, v72, s[14:15]
	v_cmp_lt_i32_e64 s[14:15], v71, v88
	v_min_i32_e32 v72, v72, v82
	s_nop 0
	v_cndmask_b32_e64 v75, v75, v88, s[14:15]
	v_cndmask_b32_e64 v82, v84, v71, s[14:15]
	v_cmp_gt_i32_e64 s[14:15], v85, v87
	v_max_i32_e32 v84, v71, v88
	v_min_i32_e32 v71, v71, v88
	v_cndmask_b32_e64 v73, v73, v86, s[14:15]
	v_cndmask_b32_e64 v83, v83, v87, s[14:15]
	;; [unrolled: 1-line block ×4, first 2 shown]
	v_cmp_lt_i32_e64 s[14:15], v72, v79
	v_max_i32_e32 v87, v72, v79
	s_nop 0
	v_cndmask_b32_e64 v76, v76, v79, s[14:15]
	v_cndmask_b32_e64 v77, v77, v72, s[14:15]
	v_cmp_lt_i32_e64 s[14:15], v71, v81
	v_min_i32_e32 v72, v72, v79
	s_nop 0
	v_cndmask_b32_e64 v79, v82, v81, s[14:15]
	v_cndmask_b32_e64 v80, v80, v71, s[14:15]
	v_cmp_lt_i32_e64 s[14:15], v86, v84
	v_max_i32_e32 v82, v71, v81
	v_min_i32_e32 v71, v71, v81
	v_cndmask_b32_e64 v81, v83, v84, s[14:15]
	v_cndmask_b32_e64 v75, v75, v86, s[14:15]
	v_cmp_lt_i32_e64 s[14:15], v72, v78
	v_max_i32_e32 v83, v86, v84
	v_min_i32_e32 v84, v86, v84
	v_cndmask_b32_e64 v74, v74, v72, s[14:15]
	v_cndmask_b32_e64 v77, v77, v78, s[14:15]
	v_cmp_lt_i32_e64 s[14:15], v71, v87
	v_min_i32_e32 v86, v72, v78
	v_max_i32_e32 v72, v72, v78
	v_cndmask_b32_e64 v78, v80, v87, s[14:15]
	v_cndmask_b32_e64 v76, v76, v71, s[14:15]
	v_cmp_lt_i32_e64 s[14:15], v84, v82
	v_max_i32_e32 v80, v71, v87
	v_min_i32_e32 v71, v71, v87
	v_cndmask_b32_e64 v75, v75, v82, s[14:15]
	v_cndmask_b32_e64 v79, v79, v84, s[14:15]
	v_cmp_lt_i32_e64 s[14:15], v85, v83
	v_max_i32_e32 v87, v84, v82
	v_min_i32_e32 v82, v84, v82
	;; [unrolled: 5-line block ×6, first 2 shown]
	v_cndmask_b32_e64 v71, v74, v72, s[14:15]
	v_cndmask_b32_e64 v74, v77, v86, s[14:15]
	v_cndmask_b32_e64 v72, v72, v86, s[14:15]
	v_cmp_lt_i32_e64 s[14:15], v80, v85
	s_nop 1
	v_cndmask_b32_e64 v76, v76, v80, s[14:15]
	v_cndmask_b32_e64 v77, v78, v85, s[14:15]
	v_cmp_lt_i32_e64 s[14:15], v83, v88
	v_max_i32_e32 v78, v80, v85
	v_min_i32_e32 v80, v80, v85
	v_cndmask_b32_e64 v75, v75, v88, s[14:15]
	v_cndmask_b32_e64 v79, v79, v83, s[14:15]
	v_cmp_gt_i32_e64 s[14:15], v87, v84
	v_max_i32_e32 v85, v83, v88
	v_min_i32_e32 v83, v83, v88
	v_cndmask_b32_e64 v73, v73, v82, s[14:15]
	v_cndmask_b32_e64 v81, v81, v84, s[14:15]
	;; [unrolled: 1-line block ×3, first 2 shown]
	v_cmp_lt_i32_e64 s[14:15], v80, v72
	s_nop 1
	v_cndmask_b32_e64 v72, v76, v72, s[14:15]
	v_cndmask_b32_e64 v74, v74, v80, s[14:15]
	v_cmp_lt_i32_e64 s[14:15], v83, v78
	s_nop 1
	v_cndmask_b32_e64 v76, v79, v78, s[14:15]
	v_cndmask_b32_e64 v77, v77, v83, s[14:15]
	;; [unrolled: 4-line block ×3, first 2 shown]
	ds_write2_b32 v2, v71, v74 offset1:1
	ds_write2_b32 v2, v72, v77 offset0:2 offset1:3
	ds_write2_b32 v2, v76, v75 offset0:4 offset1:5
	;; [unrolled: 1-line block ×3, first 2 shown]
	v_mov_b32_e32 v73, v9
	s_waitcnt lgkmcnt(0)
	s_barrier
	s_and_saveexec_b64 s[16:17], vcc
	s_cbranch_execz .LBB28_6
; %bb.3:                                ;   in Loop: Header=BB28_2 Depth=1
	s_mov_b64 s[18:19], 0
	v_mov_b32_e32 v73, v9
	v_mov_b32_e32 v71, v10
.LBB28_4:                               ;   Parent Loop BB28_2 Depth=1
                                        ; =>  This Inner Loop Header: Depth=2
	v_sub_u32_e32 v72, v71, v73
	v_lshrrev_b32_e32 v74, 31, v72
	v_add_u32_e32 v72, v72, v74
	v_ashrrev_i32_e32 v72, 1, v72
	v_add_u32_e32 v72, v72, v73
	v_xad_u32 v75, v72, -1, v4
	v_lshl_add_u32 v74, v72, 2, v7
	v_lshl_add_u32 v75, v75, 2, v8
	ds_read_b32 v74, v74
	ds_read_b32 v75, v75
	v_add_u32_e32 v76, 1, v72
	s_waitcnt lgkmcnt(0)
	v_cmp_lt_i32_e64 s[14:15], v75, v74
	s_nop 1
	v_cndmask_b32_e64 v71, v71, v72, s[14:15]
	v_cndmask_b32_e64 v73, v76, v73, s[14:15]
	v_cmp_ge_i32_e64 s[14:15], v73, v71
	s_or_b64 s[18:19], s[14:15], s[18:19]
	s_andn2_b64 exec, exec, s[18:19]
	s_cbranch_execnz .LBB28_4
; %bb.5:                                ;   in Loop: Header=BB28_2 Depth=1
	s_or_b64 exec, exec, s[18:19]
.LBB28_6:                               ;   in Loop: Header=BB28_2 Depth=1
	s_or_b64 exec, exec, s[16:17]
	v_sub_u32_e32 v75, v11, v73
	v_lshl_add_u32 v78, v73, 2, v7
	v_lshlrev_b32_e32 v77, 2, v75
	ds_read_b32 v71, v78
	ds_read_b32 v72, v77
	v_add_u32_e32 v76, v73, v3
	v_cmp_le_i32_e64 s[16:17], v5, v76
	v_cmp_gt_i32_e64 s[14:15], v6, v75
                                        ; implicit-def: $vgpr73
                                        ; implicit-def: $vgpr74
	s_waitcnt lgkmcnt(0)
	v_cmp_lt_i32_e64 s[18:19], v72, v71
	s_or_b64 s[16:17], s[16:17], s[18:19]
	s_and_b64 s[14:15], s[14:15], s[16:17]
	s_xor_b64 s[16:17], s[14:15], -1
	s_and_saveexec_b64 s[18:19], s[16:17]
	s_xor_b64 s[16:17], exec, s[18:19]
	s_cbranch_execz .LBB28_8
; %bb.7:                                ;   in Loop: Header=BB28_2 Depth=1
	ds_read_b32 v74, v78 offset:4
	v_mov_b32_e32 v73, v72
                                        ; implicit-def: $vgpr77
.LBB28_8:                               ;   in Loop: Header=BB28_2 Depth=1
	s_andn2_saveexec_b64 s[16:17], s[16:17]
	s_cbranch_execz .LBB28_10
; %bb.9:                                ;   in Loop: Header=BB28_2 Depth=1
	ds_read_b32 v73, v77 offset:4
	s_waitcnt lgkmcnt(1)
	v_mov_b32_e32 v74, v71
.LBB28_10:                              ;   in Loop: Header=BB28_2 Depth=1
	s_or_b64 exec, exec, s[16:17]
	v_add_u32_e32 v78, 1, v76
	v_add_u32_e32 v77, 1, v75
	v_cndmask_b32_e64 v78, v78, v76, s[14:15]
	v_cndmask_b32_e64 v77, v75, v77, s[14:15]
	v_cmp_ge_i32_e64 s[18:19], v78, v5
	s_waitcnt lgkmcnt(0)
	v_cmp_lt_i32_e64 s[20:21], v73, v74
	v_cmp_lt_i32_e64 s[16:17], v77, v6
	s_or_b64 s[18:19], s[18:19], s[20:21]
	s_and_b64 s[16:17], s[16:17], s[18:19]
	s_xor_b64 s[18:19], s[16:17], -1
                                        ; implicit-def: $vgpr75
	s_and_saveexec_b64 s[20:21], s[18:19]
	s_xor_b64 s[18:19], exec, s[20:21]
	s_cbranch_execz .LBB28_12
; %bb.11:                               ;   in Loop: Header=BB28_2 Depth=1
	v_lshlrev_b32_e32 v75, 2, v78
	ds_read_b32 v75, v75 offset:4
.LBB28_12:                              ;   in Loop: Header=BB28_2 Depth=1
	s_or_saveexec_b64 s[18:19], s[18:19]
	v_mov_b32_e32 v76, v73
	s_xor_b64 exec, exec, s[18:19]
	s_cbranch_execz .LBB28_14
; %bb.13:                               ;   in Loop: Header=BB28_2 Depth=1
	s_waitcnt lgkmcnt(0)
	v_lshlrev_b32_e32 v75, 2, v77
	ds_read_b32 v76, v75 offset:4
	v_mov_b32_e32 v75, v74
.LBB28_14:                              ;   in Loop: Header=BB28_2 Depth=1
	s_or_b64 exec, exec, s[18:19]
	v_add_u32_e32 v80, 1, v78
	v_add_u32_e32 v79, 1, v77
	v_cndmask_b32_e64 v80, v80, v78, s[16:17]
	v_cndmask_b32_e64 v79, v77, v79, s[16:17]
	v_cmp_ge_i32_e64 s[20:21], v80, v5
	s_waitcnt lgkmcnt(0)
	v_cmp_lt_i32_e64 s[22:23], v76, v75
	v_cmp_lt_i32_e64 s[18:19], v79, v6
	s_or_b64 s[20:21], s[20:21], s[22:23]
	s_and_b64 s[18:19], s[18:19], s[20:21]
	s_xor_b64 s[20:21], s[18:19], -1
                                        ; implicit-def: $vgpr77
	s_and_saveexec_b64 s[22:23], s[20:21]
	s_xor_b64 s[20:21], exec, s[22:23]
	s_cbranch_execz .LBB28_16
; %bb.15:                               ;   in Loop: Header=BB28_2 Depth=1
	v_lshlrev_b32_e32 v77, 2, v80
	ds_read_b32 v77, v77 offset:4
.LBB28_16:                              ;   in Loop: Header=BB28_2 Depth=1
	s_or_saveexec_b64 s[20:21], s[20:21]
	v_mov_b32_e32 v78, v76
	s_xor_b64 exec, exec, s[20:21]
	s_cbranch_execz .LBB28_18
; %bb.17:                               ;   in Loop: Header=BB28_2 Depth=1
	s_waitcnt lgkmcnt(0)
	v_lshlrev_b32_e32 v77, 2, v79
	ds_read_b32 v78, v77 offset:4
	v_mov_b32_e32 v77, v75
.LBB28_18:                              ;   in Loop: Header=BB28_2 Depth=1
	s_or_b64 exec, exec, s[20:21]
	v_add_u32_e32 v82, 1, v80
	v_add_u32_e32 v81, 1, v79
	v_cndmask_b32_e64 v82, v82, v80, s[18:19]
	v_cndmask_b32_e64 v81, v79, v81, s[18:19]
	v_cmp_ge_i32_e64 s[22:23], v82, v5
	s_waitcnt lgkmcnt(0)
	v_cmp_lt_i32_e64 s[24:25], v78, v77
	v_cmp_lt_i32_e64 s[20:21], v81, v6
	s_or_b64 s[22:23], s[22:23], s[24:25]
	s_and_b64 s[20:21], s[20:21], s[22:23]
	s_xor_b64 s[22:23], s[20:21], -1
                                        ; implicit-def: $vgpr79
	s_and_saveexec_b64 s[24:25], s[22:23]
	s_xor_b64 s[22:23], exec, s[24:25]
	s_cbranch_execz .LBB28_20
; %bb.19:                               ;   in Loop: Header=BB28_2 Depth=1
	v_lshlrev_b32_e32 v79, 2, v82
	ds_read_b32 v79, v79 offset:4
.LBB28_20:                              ;   in Loop: Header=BB28_2 Depth=1
	s_or_saveexec_b64 s[22:23], s[22:23]
	v_mov_b32_e32 v80, v78
	s_xor_b64 exec, exec, s[22:23]
	s_cbranch_execz .LBB28_22
; %bb.21:                               ;   in Loop: Header=BB28_2 Depth=1
	s_waitcnt lgkmcnt(0)
	v_lshlrev_b32_e32 v79, 2, v81
	ds_read_b32 v80, v79 offset:4
	v_mov_b32_e32 v79, v77
.LBB28_22:                              ;   in Loop: Header=BB28_2 Depth=1
	s_or_b64 exec, exec, s[22:23]
	v_add_u32_e32 v84, 1, v82
	v_add_u32_e32 v83, 1, v81
	v_cndmask_b32_e64 v84, v84, v82, s[20:21]
	v_cndmask_b32_e64 v83, v81, v83, s[20:21]
	v_cmp_ge_i32_e64 s[24:25], v84, v5
	s_waitcnt lgkmcnt(0)
	v_cmp_lt_i32_e64 s[26:27], v80, v79
	v_cmp_lt_i32_e64 s[22:23], v83, v6
	s_or_b64 s[24:25], s[24:25], s[26:27]
	s_and_b64 s[22:23], s[22:23], s[24:25]
	s_xor_b64 s[24:25], s[22:23], -1
                                        ; implicit-def: $vgpr81
	s_and_saveexec_b64 s[26:27], s[24:25]
	s_xor_b64 s[24:25], exec, s[26:27]
	s_cbranch_execz .LBB28_24
; %bb.23:                               ;   in Loop: Header=BB28_2 Depth=1
	v_lshlrev_b32_e32 v81, 2, v84
	ds_read_b32 v81, v81 offset:4
.LBB28_24:                              ;   in Loop: Header=BB28_2 Depth=1
	s_or_saveexec_b64 s[24:25], s[24:25]
	v_mov_b32_e32 v82, v80
	s_xor_b64 exec, exec, s[24:25]
	s_cbranch_execz .LBB28_26
; %bb.25:                               ;   in Loop: Header=BB28_2 Depth=1
	s_waitcnt lgkmcnt(0)
	v_lshlrev_b32_e32 v81, 2, v83
	ds_read_b32 v82, v81 offset:4
	v_mov_b32_e32 v81, v79
.LBB28_26:                              ;   in Loop: Header=BB28_2 Depth=1
	s_or_b64 exec, exec, s[24:25]
	v_add_u32_e32 v86, 1, v84
	v_add_u32_e32 v85, 1, v83
	v_cndmask_b32_e64 v86, v86, v84, s[22:23]
	v_cndmask_b32_e64 v85, v83, v85, s[22:23]
	v_cmp_ge_i32_e64 s[26:27], v86, v5
	s_waitcnt lgkmcnt(0)
	v_cmp_lt_i32_e64 s[28:29], v82, v81
	v_cmp_lt_i32_e64 s[24:25], v85, v6
	s_or_b64 s[26:27], s[26:27], s[28:29]
	s_and_b64 s[24:25], s[24:25], s[26:27]
	s_xor_b64 s[26:27], s[24:25], -1
                                        ; implicit-def: $vgpr83
	s_and_saveexec_b64 s[28:29], s[26:27]
	s_xor_b64 s[26:27], exec, s[28:29]
	s_cbranch_execz .LBB28_28
; %bb.27:                               ;   in Loop: Header=BB28_2 Depth=1
	v_lshlrev_b32_e32 v83, 2, v86
	ds_read_b32 v83, v83 offset:4
.LBB28_28:                              ;   in Loop: Header=BB28_2 Depth=1
	s_or_saveexec_b64 s[26:27], s[26:27]
	v_mov_b32_e32 v84, v82
	s_xor_b64 exec, exec, s[26:27]
	s_cbranch_execz .LBB28_30
; %bb.29:                               ;   in Loop: Header=BB28_2 Depth=1
	s_waitcnt lgkmcnt(0)
	v_lshlrev_b32_e32 v83, 2, v85
	ds_read_b32 v84, v83 offset:4
	v_mov_b32_e32 v83, v81
.LBB28_30:                              ;   in Loop: Header=BB28_2 Depth=1
	s_or_b64 exec, exec, s[26:27]
	v_add_u32_e32 v88, 1, v86
	v_add_u32_e32 v87, 1, v85
	v_cndmask_b32_e64 v86, v88, v86, s[24:25]
	v_cndmask_b32_e64 v85, v85, v87, s[24:25]
	v_cmp_ge_i32_e64 s[28:29], v86, v5
	s_waitcnt lgkmcnt(0)
	v_cmp_lt_i32_e64 s[30:31], v84, v83
	v_cmp_lt_i32_e64 s[26:27], v85, v6
	s_or_b64 s[28:29], s[28:29], s[30:31]
	s_and_b64 s[26:27], s[26:27], s[28:29]
	s_xor_b64 s[28:29], s[26:27], -1
                                        ; implicit-def: $vgpr87
	s_and_saveexec_b64 s[30:31], s[28:29]
	s_xor_b64 s[28:29], exec, s[30:31]
	s_cbranch_execz .LBB28_32
; %bb.31:                               ;   in Loop: Header=BB28_2 Depth=1
	v_lshlrev_b32_e32 v87, 2, v86
	ds_read_b32 v87, v87 offset:4
.LBB28_32:                              ;   in Loop: Header=BB28_2 Depth=1
	s_or_saveexec_b64 s[28:29], s[28:29]
	v_mov_b32_e32 v88, v84
	s_xor_b64 exec, exec, s[28:29]
	s_cbranch_execz .LBB28_34
; %bb.33:                               ;   in Loop: Header=BB28_2 Depth=1
	s_waitcnt lgkmcnt(0)
	v_lshlrev_b32_e32 v87, 2, v85
	ds_read_b32 v88, v87 offset:4
	v_mov_b32_e32 v87, v83
.LBB28_34:                              ;   in Loop: Header=BB28_2 Depth=1
	s_or_b64 exec, exec, s[28:29]
	v_cndmask_b32_e64 v83, v83, v84, s[26:27]
	v_add_u32_e32 v84, 1, v85
	v_add_u32_e32 v89, 1, v86
	v_cndmask_b32_e64 v84, v85, v84, s[26:27]
	v_cndmask_b32_e64 v85, v89, v86, s[26:27]
	v_cndmask_b32_e64 v75, v75, v76, s[18:19]
	v_cndmask_b32_e64 v73, v74, v73, s[16:17]
	v_cmp_ge_i32_e64 s[16:17], v85, v5
	s_waitcnt lgkmcnt(0)
	v_cmp_lt_i32_e64 s[18:19], v88, v87
	v_cndmask_b32_e64 v71, v71, v72, s[14:15]
	v_cmp_lt_i32_e64 s[14:15], v84, v6
	s_or_b64 s[16:17], s[16:17], s[18:19]
	s_and_b64 s[14:15], s[14:15], s[16:17]
	v_cndmask_b32_e64 v81, v81, v82, s[24:25]
	v_cndmask_b32_e64 v79, v79, v80, s[22:23]
	;; [unrolled: 1-line block ×4, first 2 shown]
	s_barrier
	ds_write2_b32 v2, v71, v73 offset1:1
	ds_write2_b32 v2, v75, v77 offset0:2 offset1:3
	ds_write2_b32 v2, v79, v81 offset0:4 offset1:5
	;; [unrolled: 1-line block ×3, first 2 shown]
	v_mov_b32_e32 v73, v18
	s_waitcnt lgkmcnt(0)
	s_barrier
	s_and_saveexec_b64 s[16:17], s[0:1]
	s_cbranch_execz .LBB28_38
; %bb.35:                               ;   in Loop: Header=BB28_2 Depth=1
	s_mov_b64 s[18:19], 0
	v_mov_b32_e32 v73, v18
	v_mov_b32_e32 v71, v19
.LBB28_36:                              ;   Parent Loop BB28_2 Depth=1
                                        ; =>  This Inner Loop Header: Depth=2
	v_sub_u32_e32 v72, v71, v73
	v_lshrrev_b32_e32 v74, 31, v72
	v_add_u32_e32 v72, v72, v74
	v_ashrrev_i32_e32 v72, 1, v72
	v_add_u32_e32 v72, v72, v73
	v_xad_u32 v75, v72, -1, v13
	v_lshl_add_u32 v74, v72, 2, v16
	v_lshl_add_u32 v75, v75, 2, v17
	ds_read_b32 v74, v74
	ds_read_b32 v75, v75
	v_add_u32_e32 v76, 1, v72
	s_waitcnt lgkmcnt(0)
	v_cmp_lt_i32_e64 s[14:15], v75, v74
	s_nop 1
	v_cndmask_b32_e64 v71, v71, v72, s[14:15]
	v_cndmask_b32_e64 v73, v76, v73, s[14:15]
	v_cmp_ge_i32_e64 s[14:15], v73, v71
	s_or_b64 s[18:19], s[14:15], s[18:19]
	s_andn2_b64 exec, exec, s[18:19]
	s_cbranch_execnz .LBB28_36
; %bb.37:                               ;   in Loop: Header=BB28_2 Depth=1
	s_or_b64 exec, exec, s[18:19]
.LBB28_38:                              ;   in Loop: Header=BB28_2 Depth=1
	s_or_b64 exec, exec, s[16:17]
	v_sub_u32_e32 v75, v20, v73
	v_lshl_add_u32 v78, v73, 2, v16
	v_lshlrev_b32_e32 v77, 2, v75
	ds_read_b32 v71, v78
	ds_read_b32 v72, v77
	v_add_u32_e32 v76, v73, v12
	v_cmp_le_i32_e64 s[16:17], v14, v76
	v_cmp_gt_i32_e64 s[14:15], v15, v75
                                        ; implicit-def: $vgpr73
                                        ; implicit-def: $vgpr74
	s_waitcnt lgkmcnt(0)
	v_cmp_lt_i32_e64 s[18:19], v72, v71
	s_or_b64 s[16:17], s[16:17], s[18:19]
	s_and_b64 s[14:15], s[14:15], s[16:17]
	s_xor_b64 s[16:17], s[14:15], -1
	s_and_saveexec_b64 s[18:19], s[16:17]
	s_xor_b64 s[16:17], exec, s[18:19]
	s_cbranch_execz .LBB28_40
; %bb.39:                               ;   in Loop: Header=BB28_2 Depth=1
	ds_read_b32 v74, v78 offset:4
	v_mov_b32_e32 v73, v72
                                        ; implicit-def: $vgpr77
.LBB28_40:                              ;   in Loop: Header=BB28_2 Depth=1
	s_andn2_saveexec_b64 s[16:17], s[16:17]
	s_cbranch_execz .LBB28_42
; %bb.41:                               ;   in Loop: Header=BB28_2 Depth=1
	ds_read_b32 v73, v77 offset:4
	s_waitcnt lgkmcnt(1)
	v_mov_b32_e32 v74, v71
.LBB28_42:                              ;   in Loop: Header=BB28_2 Depth=1
	s_or_b64 exec, exec, s[16:17]
	v_add_u32_e32 v78, 1, v76
	v_add_u32_e32 v77, 1, v75
	v_cndmask_b32_e64 v78, v78, v76, s[14:15]
	v_cndmask_b32_e64 v77, v75, v77, s[14:15]
	v_cmp_ge_i32_e64 s[18:19], v78, v14
	s_waitcnt lgkmcnt(0)
	v_cmp_lt_i32_e64 s[20:21], v73, v74
	v_cmp_lt_i32_e64 s[16:17], v77, v15
	s_or_b64 s[18:19], s[18:19], s[20:21]
	s_and_b64 s[16:17], s[16:17], s[18:19]
	s_xor_b64 s[18:19], s[16:17], -1
                                        ; implicit-def: $vgpr75
	s_and_saveexec_b64 s[20:21], s[18:19]
	s_xor_b64 s[18:19], exec, s[20:21]
	s_cbranch_execz .LBB28_44
; %bb.43:                               ;   in Loop: Header=BB28_2 Depth=1
	v_lshlrev_b32_e32 v75, 2, v78
	ds_read_b32 v75, v75 offset:4
.LBB28_44:                              ;   in Loop: Header=BB28_2 Depth=1
	s_or_saveexec_b64 s[18:19], s[18:19]
	v_mov_b32_e32 v76, v73
	s_xor_b64 exec, exec, s[18:19]
	s_cbranch_execz .LBB28_46
; %bb.45:                               ;   in Loop: Header=BB28_2 Depth=1
	s_waitcnt lgkmcnt(0)
	v_lshlrev_b32_e32 v75, 2, v77
	ds_read_b32 v76, v75 offset:4
	v_mov_b32_e32 v75, v74
.LBB28_46:                              ;   in Loop: Header=BB28_2 Depth=1
	s_or_b64 exec, exec, s[18:19]
	v_add_u32_e32 v80, 1, v78
	v_add_u32_e32 v79, 1, v77
	v_cndmask_b32_e64 v80, v80, v78, s[16:17]
	v_cndmask_b32_e64 v79, v77, v79, s[16:17]
	v_cmp_ge_i32_e64 s[20:21], v80, v14
	s_waitcnt lgkmcnt(0)
	v_cmp_lt_i32_e64 s[22:23], v76, v75
	v_cmp_lt_i32_e64 s[18:19], v79, v15
	s_or_b64 s[20:21], s[20:21], s[22:23]
	s_and_b64 s[18:19], s[18:19], s[20:21]
	s_xor_b64 s[20:21], s[18:19], -1
                                        ; implicit-def: $vgpr77
	s_and_saveexec_b64 s[22:23], s[20:21]
	s_xor_b64 s[20:21], exec, s[22:23]
	s_cbranch_execz .LBB28_48
; %bb.47:                               ;   in Loop: Header=BB28_2 Depth=1
	v_lshlrev_b32_e32 v77, 2, v80
	ds_read_b32 v77, v77 offset:4
.LBB28_48:                              ;   in Loop: Header=BB28_2 Depth=1
	s_or_saveexec_b64 s[20:21], s[20:21]
	v_mov_b32_e32 v78, v76
	s_xor_b64 exec, exec, s[20:21]
	s_cbranch_execz .LBB28_50
; %bb.49:                               ;   in Loop: Header=BB28_2 Depth=1
	s_waitcnt lgkmcnt(0)
	v_lshlrev_b32_e32 v77, 2, v79
	ds_read_b32 v78, v77 offset:4
	v_mov_b32_e32 v77, v75
.LBB28_50:                              ;   in Loop: Header=BB28_2 Depth=1
	s_or_b64 exec, exec, s[20:21]
	v_add_u32_e32 v82, 1, v80
	v_add_u32_e32 v81, 1, v79
	v_cndmask_b32_e64 v82, v82, v80, s[18:19]
	v_cndmask_b32_e64 v81, v79, v81, s[18:19]
	v_cmp_ge_i32_e64 s[22:23], v82, v14
	s_waitcnt lgkmcnt(0)
	v_cmp_lt_i32_e64 s[24:25], v78, v77
	v_cmp_lt_i32_e64 s[20:21], v81, v15
	s_or_b64 s[22:23], s[22:23], s[24:25]
	s_and_b64 s[20:21], s[20:21], s[22:23]
	s_xor_b64 s[22:23], s[20:21], -1
                                        ; implicit-def: $vgpr79
	s_and_saveexec_b64 s[24:25], s[22:23]
	s_xor_b64 s[22:23], exec, s[24:25]
	s_cbranch_execz .LBB28_52
; %bb.51:                               ;   in Loop: Header=BB28_2 Depth=1
	v_lshlrev_b32_e32 v79, 2, v82
	ds_read_b32 v79, v79 offset:4
.LBB28_52:                              ;   in Loop: Header=BB28_2 Depth=1
	s_or_saveexec_b64 s[22:23], s[22:23]
	v_mov_b32_e32 v80, v78
	s_xor_b64 exec, exec, s[22:23]
	s_cbranch_execz .LBB28_54
; %bb.53:                               ;   in Loop: Header=BB28_2 Depth=1
	s_waitcnt lgkmcnt(0)
	v_lshlrev_b32_e32 v79, 2, v81
	ds_read_b32 v80, v79 offset:4
	v_mov_b32_e32 v79, v77
.LBB28_54:                              ;   in Loop: Header=BB28_2 Depth=1
	s_or_b64 exec, exec, s[22:23]
	v_add_u32_e32 v84, 1, v82
	v_add_u32_e32 v83, 1, v81
	v_cndmask_b32_e64 v84, v84, v82, s[20:21]
	v_cndmask_b32_e64 v83, v81, v83, s[20:21]
	v_cmp_ge_i32_e64 s[24:25], v84, v14
	s_waitcnt lgkmcnt(0)
	v_cmp_lt_i32_e64 s[26:27], v80, v79
	v_cmp_lt_i32_e64 s[22:23], v83, v15
	s_or_b64 s[24:25], s[24:25], s[26:27]
	s_and_b64 s[22:23], s[22:23], s[24:25]
	s_xor_b64 s[24:25], s[22:23], -1
                                        ; implicit-def: $vgpr81
	s_and_saveexec_b64 s[26:27], s[24:25]
	s_xor_b64 s[24:25], exec, s[26:27]
	s_cbranch_execz .LBB28_56
; %bb.55:                               ;   in Loop: Header=BB28_2 Depth=1
	v_lshlrev_b32_e32 v81, 2, v84
	ds_read_b32 v81, v81 offset:4
.LBB28_56:                              ;   in Loop: Header=BB28_2 Depth=1
	s_or_saveexec_b64 s[24:25], s[24:25]
	v_mov_b32_e32 v82, v80
	s_xor_b64 exec, exec, s[24:25]
	s_cbranch_execz .LBB28_58
; %bb.57:                               ;   in Loop: Header=BB28_2 Depth=1
	s_waitcnt lgkmcnt(0)
	v_lshlrev_b32_e32 v81, 2, v83
	ds_read_b32 v82, v81 offset:4
	v_mov_b32_e32 v81, v79
.LBB28_58:                              ;   in Loop: Header=BB28_2 Depth=1
	s_or_b64 exec, exec, s[24:25]
	v_add_u32_e32 v86, 1, v84
	v_add_u32_e32 v85, 1, v83
	v_cndmask_b32_e64 v86, v86, v84, s[22:23]
	v_cndmask_b32_e64 v85, v83, v85, s[22:23]
	v_cmp_ge_i32_e64 s[26:27], v86, v14
	s_waitcnt lgkmcnt(0)
	v_cmp_lt_i32_e64 s[28:29], v82, v81
	v_cmp_lt_i32_e64 s[24:25], v85, v15
	s_or_b64 s[26:27], s[26:27], s[28:29]
	s_and_b64 s[24:25], s[24:25], s[26:27]
	s_xor_b64 s[26:27], s[24:25], -1
                                        ; implicit-def: $vgpr83
	s_and_saveexec_b64 s[28:29], s[26:27]
	s_xor_b64 s[26:27], exec, s[28:29]
	s_cbranch_execz .LBB28_60
; %bb.59:                               ;   in Loop: Header=BB28_2 Depth=1
	v_lshlrev_b32_e32 v83, 2, v86
	ds_read_b32 v83, v83 offset:4
.LBB28_60:                              ;   in Loop: Header=BB28_2 Depth=1
	s_or_saveexec_b64 s[26:27], s[26:27]
	v_mov_b32_e32 v84, v82
	s_xor_b64 exec, exec, s[26:27]
	s_cbranch_execz .LBB28_62
; %bb.61:                               ;   in Loop: Header=BB28_2 Depth=1
	s_waitcnt lgkmcnt(0)
	v_lshlrev_b32_e32 v83, 2, v85
	ds_read_b32 v84, v83 offset:4
	v_mov_b32_e32 v83, v81
.LBB28_62:                              ;   in Loop: Header=BB28_2 Depth=1
	s_or_b64 exec, exec, s[26:27]
	v_add_u32_e32 v88, 1, v86
	v_add_u32_e32 v87, 1, v85
	v_cndmask_b32_e64 v86, v88, v86, s[24:25]
	v_cndmask_b32_e64 v85, v85, v87, s[24:25]
	v_cmp_ge_i32_e64 s[28:29], v86, v14
	s_waitcnt lgkmcnt(0)
	v_cmp_lt_i32_e64 s[30:31], v84, v83
	v_cmp_lt_i32_e64 s[26:27], v85, v15
	s_or_b64 s[28:29], s[28:29], s[30:31]
	s_and_b64 s[26:27], s[26:27], s[28:29]
	s_xor_b64 s[28:29], s[26:27], -1
                                        ; implicit-def: $vgpr87
	s_and_saveexec_b64 s[30:31], s[28:29]
	s_xor_b64 s[28:29], exec, s[30:31]
	s_cbranch_execz .LBB28_64
; %bb.63:                               ;   in Loop: Header=BB28_2 Depth=1
	v_lshlrev_b32_e32 v87, 2, v86
	ds_read_b32 v87, v87 offset:4
.LBB28_64:                              ;   in Loop: Header=BB28_2 Depth=1
	s_or_saveexec_b64 s[28:29], s[28:29]
	v_mov_b32_e32 v88, v84
	s_xor_b64 exec, exec, s[28:29]
	s_cbranch_execz .LBB28_66
; %bb.65:                               ;   in Loop: Header=BB28_2 Depth=1
	s_waitcnt lgkmcnt(0)
	v_lshlrev_b32_e32 v87, 2, v85
	ds_read_b32 v88, v87 offset:4
	v_mov_b32_e32 v87, v83
.LBB28_66:                              ;   in Loop: Header=BB28_2 Depth=1
	s_or_b64 exec, exec, s[28:29]
	v_cndmask_b32_e64 v83, v83, v84, s[26:27]
	v_add_u32_e32 v84, 1, v85
	v_add_u32_e32 v89, 1, v86
	v_cndmask_b32_e64 v84, v85, v84, s[26:27]
	v_cndmask_b32_e64 v85, v89, v86, s[26:27]
	;; [unrolled: 1-line block ×4, first 2 shown]
	v_cmp_ge_i32_e64 s[16:17], v85, v14
	s_waitcnt lgkmcnt(0)
	v_cmp_lt_i32_e64 s[18:19], v88, v87
	v_cndmask_b32_e64 v71, v71, v72, s[14:15]
	v_cmp_lt_i32_e64 s[14:15], v84, v15
	s_or_b64 s[16:17], s[16:17], s[18:19]
	s_and_b64 s[14:15], s[14:15], s[16:17]
	v_cndmask_b32_e64 v81, v81, v82, s[24:25]
	v_cndmask_b32_e64 v79, v79, v80, s[22:23]
	;; [unrolled: 1-line block ×4, first 2 shown]
	s_barrier
	ds_write2_b32 v2, v71, v73 offset1:1
	ds_write2_b32 v2, v75, v77 offset0:2 offset1:3
	ds_write2_b32 v2, v79, v81 offset0:4 offset1:5
	;; [unrolled: 1-line block ×3, first 2 shown]
	v_mov_b32_e32 v73, v27
	s_waitcnt lgkmcnt(0)
	s_barrier
	s_and_saveexec_b64 s[16:17], s[2:3]
	s_cbranch_execz .LBB28_70
; %bb.67:                               ;   in Loop: Header=BB28_2 Depth=1
	s_mov_b64 s[18:19], 0
	v_mov_b32_e32 v73, v27
	v_mov_b32_e32 v71, v28
.LBB28_68:                              ;   Parent Loop BB28_2 Depth=1
                                        ; =>  This Inner Loop Header: Depth=2
	v_sub_u32_e32 v72, v71, v73
	v_lshrrev_b32_e32 v74, 31, v72
	v_add_u32_e32 v72, v72, v74
	v_ashrrev_i32_e32 v72, 1, v72
	v_add_u32_e32 v72, v72, v73
	v_xad_u32 v75, v72, -1, v22
	v_lshl_add_u32 v74, v72, 2, v25
	v_lshl_add_u32 v75, v75, 2, v26
	ds_read_b32 v74, v74
	ds_read_b32 v75, v75
	v_add_u32_e32 v76, 1, v72
	s_waitcnt lgkmcnt(0)
	v_cmp_lt_i32_e64 s[14:15], v75, v74
	s_nop 1
	v_cndmask_b32_e64 v71, v71, v72, s[14:15]
	v_cndmask_b32_e64 v73, v76, v73, s[14:15]
	v_cmp_ge_i32_e64 s[14:15], v73, v71
	s_or_b64 s[18:19], s[14:15], s[18:19]
	s_andn2_b64 exec, exec, s[18:19]
	s_cbranch_execnz .LBB28_68
; %bb.69:                               ;   in Loop: Header=BB28_2 Depth=1
	s_or_b64 exec, exec, s[18:19]
.LBB28_70:                              ;   in Loop: Header=BB28_2 Depth=1
	s_or_b64 exec, exec, s[16:17]
	v_sub_u32_e32 v75, v29, v73
	v_lshl_add_u32 v78, v73, 2, v25
	v_lshlrev_b32_e32 v77, 2, v75
	ds_read_b32 v71, v78
	ds_read_b32 v72, v77
	v_add_u32_e32 v76, v73, v21
	v_cmp_le_i32_e64 s[16:17], v23, v76
	v_cmp_gt_i32_e64 s[14:15], v24, v75
                                        ; implicit-def: $vgpr73
                                        ; implicit-def: $vgpr74
	s_waitcnt lgkmcnt(0)
	v_cmp_lt_i32_e64 s[18:19], v72, v71
	s_or_b64 s[16:17], s[16:17], s[18:19]
	s_and_b64 s[14:15], s[14:15], s[16:17]
	s_xor_b64 s[16:17], s[14:15], -1
	s_and_saveexec_b64 s[18:19], s[16:17]
	s_xor_b64 s[16:17], exec, s[18:19]
	s_cbranch_execz .LBB28_72
; %bb.71:                               ;   in Loop: Header=BB28_2 Depth=1
	ds_read_b32 v74, v78 offset:4
	v_mov_b32_e32 v73, v72
                                        ; implicit-def: $vgpr77
.LBB28_72:                              ;   in Loop: Header=BB28_2 Depth=1
	s_andn2_saveexec_b64 s[16:17], s[16:17]
	s_cbranch_execz .LBB28_74
; %bb.73:                               ;   in Loop: Header=BB28_2 Depth=1
	ds_read_b32 v73, v77 offset:4
	s_waitcnt lgkmcnt(1)
	v_mov_b32_e32 v74, v71
.LBB28_74:                              ;   in Loop: Header=BB28_2 Depth=1
	s_or_b64 exec, exec, s[16:17]
	v_add_u32_e32 v78, 1, v76
	v_add_u32_e32 v77, 1, v75
	v_cndmask_b32_e64 v78, v78, v76, s[14:15]
	v_cndmask_b32_e64 v77, v75, v77, s[14:15]
	v_cmp_ge_i32_e64 s[18:19], v78, v23
	s_waitcnt lgkmcnt(0)
	v_cmp_lt_i32_e64 s[20:21], v73, v74
	v_cmp_lt_i32_e64 s[16:17], v77, v24
	s_or_b64 s[18:19], s[18:19], s[20:21]
	s_and_b64 s[16:17], s[16:17], s[18:19]
	s_xor_b64 s[18:19], s[16:17], -1
                                        ; implicit-def: $vgpr75
	s_and_saveexec_b64 s[20:21], s[18:19]
	s_xor_b64 s[18:19], exec, s[20:21]
	s_cbranch_execz .LBB28_76
; %bb.75:                               ;   in Loop: Header=BB28_2 Depth=1
	v_lshlrev_b32_e32 v75, 2, v78
	ds_read_b32 v75, v75 offset:4
.LBB28_76:                              ;   in Loop: Header=BB28_2 Depth=1
	s_or_saveexec_b64 s[18:19], s[18:19]
	v_mov_b32_e32 v76, v73
	s_xor_b64 exec, exec, s[18:19]
	s_cbranch_execz .LBB28_78
; %bb.77:                               ;   in Loop: Header=BB28_2 Depth=1
	s_waitcnt lgkmcnt(0)
	v_lshlrev_b32_e32 v75, 2, v77
	ds_read_b32 v76, v75 offset:4
	v_mov_b32_e32 v75, v74
.LBB28_78:                              ;   in Loop: Header=BB28_2 Depth=1
	s_or_b64 exec, exec, s[18:19]
	v_add_u32_e32 v80, 1, v78
	v_add_u32_e32 v79, 1, v77
	v_cndmask_b32_e64 v80, v80, v78, s[16:17]
	v_cndmask_b32_e64 v79, v77, v79, s[16:17]
	v_cmp_ge_i32_e64 s[20:21], v80, v23
	s_waitcnt lgkmcnt(0)
	v_cmp_lt_i32_e64 s[22:23], v76, v75
	v_cmp_lt_i32_e64 s[18:19], v79, v24
	s_or_b64 s[20:21], s[20:21], s[22:23]
	s_and_b64 s[18:19], s[18:19], s[20:21]
	s_xor_b64 s[20:21], s[18:19], -1
                                        ; implicit-def: $vgpr77
	s_and_saveexec_b64 s[22:23], s[20:21]
	s_xor_b64 s[20:21], exec, s[22:23]
	s_cbranch_execz .LBB28_80
; %bb.79:                               ;   in Loop: Header=BB28_2 Depth=1
	v_lshlrev_b32_e32 v77, 2, v80
	ds_read_b32 v77, v77 offset:4
.LBB28_80:                              ;   in Loop: Header=BB28_2 Depth=1
	s_or_saveexec_b64 s[20:21], s[20:21]
	v_mov_b32_e32 v78, v76
	s_xor_b64 exec, exec, s[20:21]
	s_cbranch_execz .LBB28_82
; %bb.81:                               ;   in Loop: Header=BB28_2 Depth=1
	s_waitcnt lgkmcnt(0)
	v_lshlrev_b32_e32 v77, 2, v79
	ds_read_b32 v78, v77 offset:4
	v_mov_b32_e32 v77, v75
.LBB28_82:                              ;   in Loop: Header=BB28_2 Depth=1
	s_or_b64 exec, exec, s[20:21]
	v_add_u32_e32 v82, 1, v80
	v_add_u32_e32 v81, 1, v79
	v_cndmask_b32_e64 v82, v82, v80, s[18:19]
	v_cndmask_b32_e64 v81, v79, v81, s[18:19]
	v_cmp_ge_i32_e64 s[22:23], v82, v23
	s_waitcnt lgkmcnt(0)
	v_cmp_lt_i32_e64 s[24:25], v78, v77
	v_cmp_lt_i32_e64 s[20:21], v81, v24
	s_or_b64 s[22:23], s[22:23], s[24:25]
	s_and_b64 s[20:21], s[20:21], s[22:23]
	s_xor_b64 s[22:23], s[20:21], -1
                                        ; implicit-def: $vgpr79
	s_and_saveexec_b64 s[24:25], s[22:23]
	s_xor_b64 s[22:23], exec, s[24:25]
	s_cbranch_execz .LBB28_84
; %bb.83:                               ;   in Loop: Header=BB28_2 Depth=1
	v_lshlrev_b32_e32 v79, 2, v82
	ds_read_b32 v79, v79 offset:4
.LBB28_84:                              ;   in Loop: Header=BB28_2 Depth=1
	s_or_saveexec_b64 s[22:23], s[22:23]
	v_mov_b32_e32 v80, v78
	s_xor_b64 exec, exec, s[22:23]
	s_cbranch_execz .LBB28_86
; %bb.85:                               ;   in Loop: Header=BB28_2 Depth=1
	s_waitcnt lgkmcnt(0)
	v_lshlrev_b32_e32 v79, 2, v81
	ds_read_b32 v80, v79 offset:4
	v_mov_b32_e32 v79, v77
.LBB28_86:                              ;   in Loop: Header=BB28_2 Depth=1
	s_or_b64 exec, exec, s[22:23]
	v_add_u32_e32 v84, 1, v82
	v_add_u32_e32 v83, 1, v81
	v_cndmask_b32_e64 v84, v84, v82, s[20:21]
	v_cndmask_b32_e64 v83, v81, v83, s[20:21]
	v_cmp_ge_i32_e64 s[24:25], v84, v23
	s_waitcnt lgkmcnt(0)
	v_cmp_lt_i32_e64 s[26:27], v80, v79
	v_cmp_lt_i32_e64 s[22:23], v83, v24
	s_or_b64 s[24:25], s[24:25], s[26:27]
	s_and_b64 s[22:23], s[22:23], s[24:25]
	s_xor_b64 s[24:25], s[22:23], -1
                                        ; implicit-def: $vgpr81
	s_and_saveexec_b64 s[26:27], s[24:25]
	s_xor_b64 s[24:25], exec, s[26:27]
	s_cbranch_execz .LBB28_88
; %bb.87:                               ;   in Loop: Header=BB28_2 Depth=1
	v_lshlrev_b32_e32 v81, 2, v84
	ds_read_b32 v81, v81 offset:4
.LBB28_88:                              ;   in Loop: Header=BB28_2 Depth=1
	s_or_saveexec_b64 s[24:25], s[24:25]
	v_mov_b32_e32 v82, v80
	s_xor_b64 exec, exec, s[24:25]
	s_cbranch_execz .LBB28_90
; %bb.89:                               ;   in Loop: Header=BB28_2 Depth=1
	s_waitcnt lgkmcnt(0)
	v_lshlrev_b32_e32 v81, 2, v83
	ds_read_b32 v82, v81 offset:4
	v_mov_b32_e32 v81, v79
.LBB28_90:                              ;   in Loop: Header=BB28_2 Depth=1
	s_or_b64 exec, exec, s[24:25]
	v_add_u32_e32 v86, 1, v84
	v_add_u32_e32 v85, 1, v83
	v_cndmask_b32_e64 v86, v86, v84, s[22:23]
	v_cndmask_b32_e64 v85, v83, v85, s[22:23]
	v_cmp_ge_i32_e64 s[26:27], v86, v23
	s_waitcnt lgkmcnt(0)
	v_cmp_lt_i32_e64 s[28:29], v82, v81
	v_cmp_lt_i32_e64 s[24:25], v85, v24
	s_or_b64 s[26:27], s[26:27], s[28:29]
	s_and_b64 s[24:25], s[24:25], s[26:27]
	s_xor_b64 s[26:27], s[24:25], -1
                                        ; implicit-def: $vgpr83
	s_and_saveexec_b64 s[28:29], s[26:27]
	s_xor_b64 s[26:27], exec, s[28:29]
	s_cbranch_execz .LBB28_92
; %bb.91:                               ;   in Loop: Header=BB28_2 Depth=1
	v_lshlrev_b32_e32 v83, 2, v86
	ds_read_b32 v83, v83 offset:4
.LBB28_92:                              ;   in Loop: Header=BB28_2 Depth=1
	s_or_saveexec_b64 s[26:27], s[26:27]
	v_mov_b32_e32 v84, v82
	s_xor_b64 exec, exec, s[26:27]
	s_cbranch_execz .LBB28_94
; %bb.93:                               ;   in Loop: Header=BB28_2 Depth=1
	s_waitcnt lgkmcnt(0)
	v_lshlrev_b32_e32 v83, 2, v85
	ds_read_b32 v84, v83 offset:4
	v_mov_b32_e32 v83, v81
.LBB28_94:                              ;   in Loop: Header=BB28_2 Depth=1
	s_or_b64 exec, exec, s[26:27]
	v_add_u32_e32 v88, 1, v86
	v_add_u32_e32 v87, 1, v85
	v_cndmask_b32_e64 v86, v88, v86, s[24:25]
	v_cndmask_b32_e64 v85, v85, v87, s[24:25]
	v_cmp_ge_i32_e64 s[28:29], v86, v23
	s_waitcnt lgkmcnt(0)
	v_cmp_lt_i32_e64 s[30:31], v84, v83
	v_cmp_lt_i32_e64 s[26:27], v85, v24
	s_or_b64 s[28:29], s[28:29], s[30:31]
	s_and_b64 s[26:27], s[26:27], s[28:29]
	s_xor_b64 s[28:29], s[26:27], -1
                                        ; implicit-def: $vgpr87
	s_and_saveexec_b64 s[30:31], s[28:29]
	s_xor_b64 s[28:29], exec, s[30:31]
	s_cbranch_execz .LBB28_96
; %bb.95:                               ;   in Loop: Header=BB28_2 Depth=1
	v_lshlrev_b32_e32 v87, 2, v86
	ds_read_b32 v87, v87 offset:4
.LBB28_96:                              ;   in Loop: Header=BB28_2 Depth=1
	s_or_saveexec_b64 s[28:29], s[28:29]
	v_mov_b32_e32 v88, v84
	s_xor_b64 exec, exec, s[28:29]
	s_cbranch_execz .LBB28_98
; %bb.97:                               ;   in Loop: Header=BB28_2 Depth=1
	s_waitcnt lgkmcnt(0)
	v_lshlrev_b32_e32 v87, 2, v85
	ds_read_b32 v88, v87 offset:4
	v_mov_b32_e32 v87, v83
.LBB28_98:                              ;   in Loop: Header=BB28_2 Depth=1
	s_or_b64 exec, exec, s[28:29]
	v_cndmask_b32_e64 v83, v83, v84, s[26:27]
	v_add_u32_e32 v84, 1, v85
	v_add_u32_e32 v89, 1, v86
	v_cndmask_b32_e64 v84, v85, v84, s[26:27]
	v_cndmask_b32_e64 v85, v89, v86, s[26:27]
	;; [unrolled: 1-line block ×4, first 2 shown]
	v_cmp_ge_i32_e64 s[16:17], v85, v23
	s_waitcnt lgkmcnt(0)
	v_cmp_lt_i32_e64 s[18:19], v88, v87
	v_cndmask_b32_e64 v71, v71, v72, s[14:15]
	v_cmp_lt_i32_e64 s[14:15], v84, v24
	s_or_b64 s[16:17], s[16:17], s[18:19]
	s_and_b64 s[14:15], s[14:15], s[16:17]
	v_cndmask_b32_e64 v81, v81, v82, s[24:25]
	v_cndmask_b32_e64 v79, v79, v80, s[22:23]
	;; [unrolled: 1-line block ×4, first 2 shown]
	s_barrier
	ds_write2_b32 v2, v71, v73 offset1:1
	ds_write2_b32 v2, v75, v77 offset0:2 offset1:3
	ds_write2_b32 v2, v79, v81 offset0:4 offset1:5
	;; [unrolled: 1-line block ×3, first 2 shown]
	v_mov_b32_e32 v73, v36
	s_waitcnt lgkmcnt(0)
	s_barrier
	s_and_saveexec_b64 s[16:17], s[4:5]
	s_cbranch_execz .LBB28_102
; %bb.99:                               ;   in Loop: Header=BB28_2 Depth=1
	s_mov_b64 s[18:19], 0
	v_mov_b32_e32 v73, v36
	v_mov_b32_e32 v71, v37
.LBB28_100:                             ;   Parent Loop BB28_2 Depth=1
                                        ; =>  This Inner Loop Header: Depth=2
	v_sub_u32_e32 v72, v71, v73
	v_lshrrev_b32_e32 v74, 31, v72
	v_add_u32_e32 v72, v72, v74
	v_ashrrev_i32_e32 v72, 1, v72
	v_add_u32_e32 v72, v72, v73
	v_xad_u32 v75, v72, -1, v31
	v_lshl_add_u32 v74, v72, 2, v34
	v_lshl_add_u32 v75, v75, 2, v35
	ds_read_b32 v74, v74
	ds_read_b32 v75, v75
	v_add_u32_e32 v76, 1, v72
	s_waitcnt lgkmcnt(0)
	v_cmp_lt_i32_e64 s[14:15], v75, v74
	s_nop 1
	v_cndmask_b32_e64 v71, v71, v72, s[14:15]
	v_cndmask_b32_e64 v73, v76, v73, s[14:15]
	v_cmp_ge_i32_e64 s[14:15], v73, v71
	s_or_b64 s[18:19], s[14:15], s[18:19]
	s_andn2_b64 exec, exec, s[18:19]
	s_cbranch_execnz .LBB28_100
; %bb.101:                              ;   in Loop: Header=BB28_2 Depth=1
	s_or_b64 exec, exec, s[18:19]
.LBB28_102:                             ;   in Loop: Header=BB28_2 Depth=1
	s_or_b64 exec, exec, s[16:17]
	v_sub_u32_e32 v75, v59, v73
	v_lshl_add_u32 v78, v73, 2, v34
	v_lshlrev_b32_e32 v77, 2, v75
	ds_read_b32 v71, v78
	ds_read_b32 v72, v77
	v_add_u32_e32 v76, v73, v30
	v_cmp_le_i32_e64 s[16:17], v32, v76
	v_cmp_gt_i32_e64 s[14:15], v33, v75
                                        ; implicit-def: $vgpr73
                                        ; implicit-def: $vgpr74
	s_waitcnt lgkmcnt(0)
	v_cmp_lt_i32_e64 s[18:19], v72, v71
	s_or_b64 s[16:17], s[16:17], s[18:19]
	s_and_b64 s[14:15], s[14:15], s[16:17]
	s_xor_b64 s[16:17], s[14:15], -1
	s_and_saveexec_b64 s[18:19], s[16:17]
	s_xor_b64 s[16:17], exec, s[18:19]
	s_cbranch_execz .LBB28_104
; %bb.103:                              ;   in Loop: Header=BB28_2 Depth=1
	ds_read_b32 v74, v78 offset:4
	v_mov_b32_e32 v73, v72
                                        ; implicit-def: $vgpr77
.LBB28_104:                             ;   in Loop: Header=BB28_2 Depth=1
	s_andn2_saveexec_b64 s[16:17], s[16:17]
	s_cbranch_execz .LBB28_106
; %bb.105:                              ;   in Loop: Header=BB28_2 Depth=1
	ds_read_b32 v73, v77 offset:4
	s_waitcnt lgkmcnt(1)
	v_mov_b32_e32 v74, v71
.LBB28_106:                             ;   in Loop: Header=BB28_2 Depth=1
	s_or_b64 exec, exec, s[16:17]
	v_add_u32_e32 v78, 1, v76
	v_add_u32_e32 v77, 1, v75
	v_cndmask_b32_e64 v78, v78, v76, s[14:15]
	v_cndmask_b32_e64 v77, v75, v77, s[14:15]
	v_cmp_ge_i32_e64 s[18:19], v78, v32
	s_waitcnt lgkmcnt(0)
	v_cmp_lt_i32_e64 s[20:21], v73, v74
	v_cmp_lt_i32_e64 s[16:17], v77, v33
	s_or_b64 s[18:19], s[18:19], s[20:21]
	s_and_b64 s[16:17], s[16:17], s[18:19]
	s_xor_b64 s[18:19], s[16:17], -1
                                        ; implicit-def: $vgpr75
	s_and_saveexec_b64 s[20:21], s[18:19]
	s_xor_b64 s[18:19], exec, s[20:21]
	s_cbranch_execz .LBB28_108
; %bb.107:                              ;   in Loop: Header=BB28_2 Depth=1
	v_lshlrev_b32_e32 v75, 2, v78
	ds_read_b32 v75, v75 offset:4
.LBB28_108:                             ;   in Loop: Header=BB28_2 Depth=1
	s_or_saveexec_b64 s[18:19], s[18:19]
	v_mov_b32_e32 v76, v73
	s_xor_b64 exec, exec, s[18:19]
	s_cbranch_execz .LBB28_110
; %bb.109:                              ;   in Loop: Header=BB28_2 Depth=1
	s_waitcnt lgkmcnt(0)
	v_lshlrev_b32_e32 v75, 2, v77
	ds_read_b32 v76, v75 offset:4
	v_mov_b32_e32 v75, v74
.LBB28_110:                             ;   in Loop: Header=BB28_2 Depth=1
	s_or_b64 exec, exec, s[18:19]
	v_add_u32_e32 v80, 1, v78
	v_add_u32_e32 v79, 1, v77
	v_cndmask_b32_e64 v80, v80, v78, s[16:17]
	v_cndmask_b32_e64 v79, v77, v79, s[16:17]
	v_cmp_ge_i32_e64 s[20:21], v80, v32
	s_waitcnt lgkmcnt(0)
	v_cmp_lt_i32_e64 s[22:23], v76, v75
	v_cmp_lt_i32_e64 s[18:19], v79, v33
	s_or_b64 s[20:21], s[20:21], s[22:23]
	s_and_b64 s[18:19], s[18:19], s[20:21]
	s_xor_b64 s[20:21], s[18:19], -1
                                        ; implicit-def: $vgpr77
	s_and_saveexec_b64 s[22:23], s[20:21]
	s_xor_b64 s[20:21], exec, s[22:23]
	s_cbranch_execz .LBB28_112
; %bb.111:                              ;   in Loop: Header=BB28_2 Depth=1
	v_lshlrev_b32_e32 v77, 2, v80
	ds_read_b32 v77, v77 offset:4
.LBB28_112:                             ;   in Loop: Header=BB28_2 Depth=1
	s_or_saveexec_b64 s[20:21], s[20:21]
	v_mov_b32_e32 v78, v76
	s_xor_b64 exec, exec, s[20:21]
	s_cbranch_execz .LBB28_114
; %bb.113:                              ;   in Loop: Header=BB28_2 Depth=1
	s_waitcnt lgkmcnt(0)
	v_lshlrev_b32_e32 v77, 2, v79
	ds_read_b32 v78, v77 offset:4
	v_mov_b32_e32 v77, v75
.LBB28_114:                             ;   in Loop: Header=BB28_2 Depth=1
	s_or_b64 exec, exec, s[20:21]
	v_add_u32_e32 v82, 1, v80
	v_add_u32_e32 v81, 1, v79
	v_cndmask_b32_e64 v82, v82, v80, s[18:19]
	v_cndmask_b32_e64 v81, v79, v81, s[18:19]
	v_cmp_ge_i32_e64 s[22:23], v82, v32
	s_waitcnt lgkmcnt(0)
	v_cmp_lt_i32_e64 s[24:25], v78, v77
	v_cmp_lt_i32_e64 s[20:21], v81, v33
	s_or_b64 s[22:23], s[22:23], s[24:25]
	s_and_b64 s[20:21], s[20:21], s[22:23]
	s_xor_b64 s[22:23], s[20:21], -1
                                        ; implicit-def: $vgpr79
	s_and_saveexec_b64 s[24:25], s[22:23]
	s_xor_b64 s[22:23], exec, s[24:25]
	s_cbranch_execz .LBB28_116
; %bb.115:                              ;   in Loop: Header=BB28_2 Depth=1
	v_lshlrev_b32_e32 v79, 2, v82
	ds_read_b32 v79, v79 offset:4
.LBB28_116:                             ;   in Loop: Header=BB28_2 Depth=1
	s_or_saveexec_b64 s[22:23], s[22:23]
	v_mov_b32_e32 v80, v78
	s_xor_b64 exec, exec, s[22:23]
	s_cbranch_execz .LBB28_118
; %bb.117:                              ;   in Loop: Header=BB28_2 Depth=1
	s_waitcnt lgkmcnt(0)
	v_lshlrev_b32_e32 v79, 2, v81
	ds_read_b32 v80, v79 offset:4
	v_mov_b32_e32 v79, v77
.LBB28_118:                             ;   in Loop: Header=BB28_2 Depth=1
	s_or_b64 exec, exec, s[22:23]
	v_add_u32_e32 v84, 1, v82
	v_add_u32_e32 v83, 1, v81
	v_cndmask_b32_e64 v84, v84, v82, s[20:21]
	v_cndmask_b32_e64 v83, v81, v83, s[20:21]
	v_cmp_ge_i32_e64 s[24:25], v84, v32
	s_waitcnt lgkmcnt(0)
	v_cmp_lt_i32_e64 s[26:27], v80, v79
	v_cmp_lt_i32_e64 s[22:23], v83, v33
	s_or_b64 s[24:25], s[24:25], s[26:27]
	s_and_b64 s[22:23], s[22:23], s[24:25]
	s_xor_b64 s[24:25], s[22:23], -1
                                        ; implicit-def: $vgpr81
	s_and_saveexec_b64 s[26:27], s[24:25]
	s_xor_b64 s[24:25], exec, s[26:27]
	s_cbranch_execz .LBB28_120
; %bb.119:                              ;   in Loop: Header=BB28_2 Depth=1
	v_lshlrev_b32_e32 v81, 2, v84
	ds_read_b32 v81, v81 offset:4
.LBB28_120:                             ;   in Loop: Header=BB28_2 Depth=1
	s_or_saveexec_b64 s[24:25], s[24:25]
	v_mov_b32_e32 v82, v80
	s_xor_b64 exec, exec, s[24:25]
	s_cbranch_execz .LBB28_122
; %bb.121:                              ;   in Loop: Header=BB28_2 Depth=1
	s_waitcnt lgkmcnt(0)
	v_lshlrev_b32_e32 v81, 2, v83
	ds_read_b32 v82, v81 offset:4
	v_mov_b32_e32 v81, v79
.LBB28_122:                             ;   in Loop: Header=BB28_2 Depth=1
	s_or_b64 exec, exec, s[24:25]
	v_add_u32_e32 v86, 1, v84
	v_add_u32_e32 v85, 1, v83
	v_cndmask_b32_e64 v86, v86, v84, s[22:23]
	v_cndmask_b32_e64 v85, v83, v85, s[22:23]
	v_cmp_ge_i32_e64 s[26:27], v86, v32
	s_waitcnt lgkmcnt(0)
	v_cmp_lt_i32_e64 s[28:29], v82, v81
	v_cmp_lt_i32_e64 s[24:25], v85, v33
	s_or_b64 s[26:27], s[26:27], s[28:29]
	s_and_b64 s[24:25], s[24:25], s[26:27]
	s_xor_b64 s[26:27], s[24:25], -1
                                        ; implicit-def: $vgpr83
	s_and_saveexec_b64 s[28:29], s[26:27]
	s_xor_b64 s[26:27], exec, s[28:29]
	s_cbranch_execz .LBB28_124
; %bb.123:                              ;   in Loop: Header=BB28_2 Depth=1
	v_lshlrev_b32_e32 v83, 2, v86
	ds_read_b32 v83, v83 offset:4
.LBB28_124:                             ;   in Loop: Header=BB28_2 Depth=1
	s_or_saveexec_b64 s[26:27], s[26:27]
	v_mov_b32_e32 v84, v82
	s_xor_b64 exec, exec, s[26:27]
	s_cbranch_execz .LBB28_126
; %bb.125:                              ;   in Loop: Header=BB28_2 Depth=1
	s_waitcnt lgkmcnt(0)
	v_lshlrev_b32_e32 v83, 2, v85
	ds_read_b32 v84, v83 offset:4
	v_mov_b32_e32 v83, v81
.LBB28_126:                             ;   in Loop: Header=BB28_2 Depth=1
	s_or_b64 exec, exec, s[26:27]
	v_add_u32_e32 v88, 1, v86
	v_add_u32_e32 v87, 1, v85
	v_cndmask_b32_e64 v86, v88, v86, s[24:25]
	v_cndmask_b32_e64 v85, v85, v87, s[24:25]
	v_cmp_ge_i32_e64 s[28:29], v86, v32
	s_waitcnt lgkmcnt(0)
	v_cmp_lt_i32_e64 s[30:31], v84, v83
	v_cmp_lt_i32_e64 s[26:27], v85, v33
	s_or_b64 s[28:29], s[28:29], s[30:31]
	s_and_b64 s[26:27], s[26:27], s[28:29]
	s_xor_b64 s[28:29], s[26:27], -1
                                        ; implicit-def: $vgpr87
	s_and_saveexec_b64 s[30:31], s[28:29]
	s_xor_b64 s[28:29], exec, s[30:31]
	s_cbranch_execz .LBB28_128
; %bb.127:                              ;   in Loop: Header=BB28_2 Depth=1
	v_lshlrev_b32_e32 v87, 2, v86
	ds_read_b32 v87, v87 offset:4
.LBB28_128:                             ;   in Loop: Header=BB28_2 Depth=1
	s_or_saveexec_b64 s[28:29], s[28:29]
	v_mov_b32_e32 v88, v84
	s_xor_b64 exec, exec, s[28:29]
	s_cbranch_execz .LBB28_130
; %bb.129:                              ;   in Loop: Header=BB28_2 Depth=1
	s_waitcnt lgkmcnt(0)
	v_lshlrev_b32_e32 v87, 2, v85
	ds_read_b32 v88, v87 offset:4
	v_mov_b32_e32 v87, v83
.LBB28_130:                             ;   in Loop: Header=BB28_2 Depth=1
	s_or_b64 exec, exec, s[28:29]
	v_cndmask_b32_e64 v83, v83, v84, s[26:27]
	v_add_u32_e32 v84, 1, v85
	v_add_u32_e32 v89, 1, v86
	v_cndmask_b32_e64 v84, v85, v84, s[26:27]
	v_cndmask_b32_e64 v85, v89, v86, s[26:27]
	;; [unrolled: 1-line block ×4, first 2 shown]
	v_cmp_ge_i32_e64 s[16:17], v85, v32
	s_waitcnt lgkmcnt(0)
	v_cmp_lt_i32_e64 s[18:19], v88, v87
	v_cndmask_b32_e64 v71, v71, v72, s[14:15]
	v_cmp_lt_i32_e64 s[14:15], v84, v33
	s_or_b64 s[16:17], s[16:17], s[18:19]
	s_and_b64 s[14:15], s[14:15], s[16:17]
	v_cndmask_b32_e64 v81, v81, v82, s[24:25]
	v_cndmask_b32_e64 v79, v79, v80, s[22:23]
	;; [unrolled: 1-line block ×4, first 2 shown]
	s_barrier
	ds_write2_b32 v2, v71, v73 offset1:1
	ds_write2_b32 v2, v75, v77 offset0:2 offset1:3
	ds_write2_b32 v2, v79, v81 offset0:4 offset1:5
	;; [unrolled: 1-line block ×3, first 2 shown]
	v_mov_b32_e32 v73, v42
	s_waitcnt lgkmcnt(0)
	s_barrier
	s_and_saveexec_b64 s[16:17], s[6:7]
	s_cbranch_execz .LBB28_134
; %bb.131:                              ;   in Loop: Header=BB28_2 Depth=1
	s_mov_b64 s[18:19], 0
	v_mov_b32_e32 v73, v42
	v_mov_b32_e32 v71, v43
.LBB28_132:                             ;   Parent Loop BB28_2 Depth=1
                                        ; =>  This Inner Loop Header: Depth=2
	v_sub_u32_e32 v72, v71, v73
	v_lshrrev_b32_e32 v74, 31, v72
	v_add_u32_e32 v72, v72, v74
	v_ashrrev_i32_e32 v72, 1, v72
	v_add_u32_e32 v72, v72, v73
	v_xad_u32 v75, v72, -1, v39
	v_lshl_add_u32 v74, v72, 2, v60
	v_lshl_add_u32 v75, v75, 2, v61
	ds_read_b32 v74, v74
	ds_read_b32 v75, v75
	v_add_u32_e32 v76, 1, v72
	s_waitcnt lgkmcnt(0)
	v_cmp_lt_i32_e64 s[14:15], v75, v74
	s_nop 1
	v_cndmask_b32_e64 v71, v71, v72, s[14:15]
	v_cndmask_b32_e64 v73, v76, v73, s[14:15]
	v_cmp_ge_i32_e64 s[14:15], v73, v71
	s_or_b64 s[18:19], s[14:15], s[18:19]
	s_andn2_b64 exec, exec, s[18:19]
	s_cbranch_execnz .LBB28_132
; %bb.133:                              ;   in Loop: Header=BB28_2 Depth=1
	s_or_b64 exec, exec, s[18:19]
.LBB28_134:                             ;   in Loop: Header=BB28_2 Depth=1
	s_or_b64 exec, exec, s[16:17]
	v_sub_u32_e32 v75, v62, v73
	v_lshl_add_u32 v78, v73, 2, v60
	v_lshlrev_b32_e32 v77, 2, v75
	ds_read_b32 v71, v78
	ds_read_b32 v72, v77
	v_add_u32_e32 v76, v73, v38
	v_cmp_le_i32_e64 s[16:17], v40, v76
	v_cmp_gt_i32_e64 s[14:15], v41, v75
                                        ; implicit-def: $vgpr73
                                        ; implicit-def: $vgpr74
	s_waitcnt lgkmcnt(0)
	v_cmp_lt_i32_e64 s[18:19], v72, v71
	s_or_b64 s[16:17], s[16:17], s[18:19]
	s_and_b64 s[14:15], s[14:15], s[16:17]
	s_xor_b64 s[16:17], s[14:15], -1
	s_and_saveexec_b64 s[18:19], s[16:17]
	s_xor_b64 s[16:17], exec, s[18:19]
	s_cbranch_execz .LBB28_136
; %bb.135:                              ;   in Loop: Header=BB28_2 Depth=1
	ds_read_b32 v74, v78 offset:4
	v_mov_b32_e32 v73, v72
                                        ; implicit-def: $vgpr77
.LBB28_136:                             ;   in Loop: Header=BB28_2 Depth=1
	s_andn2_saveexec_b64 s[16:17], s[16:17]
	s_cbranch_execz .LBB28_138
; %bb.137:                              ;   in Loop: Header=BB28_2 Depth=1
	ds_read_b32 v73, v77 offset:4
	s_waitcnt lgkmcnt(1)
	v_mov_b32_e32 v74, v71
.LBB28_138:                             ;   in Loop: Header=BB28_2 Depth=1
	s_or_b64 exec, exec, s[16:17]
	v_add_u32_e32 v78, 1, v76
	v_add_u32_e32 v77, 1, v75
	v_cndmask_b32_e64 v78, v78, v76, s[14:15]
	v_cndmask_b32_e64 v77, v75, v77, s[14:15]
	v_cmp_ge_i32_e64 s[18:19], v78, v40
	s_waitcnt lgkmcnt(0)
	v_cmp_lt_i32_e64 s[20:21], v73, v74
	v_cmp_lt_i32_e64 s[16:17], v77, v41
	s_or_b64 s[18:19], s[18:19], s[20:21]
	s_and_b64 s[16:17], s[16:17], s[18:19]
	s_xor_b64 s[18:19], s[16:17], -1
                                        ; implicit-def: $vgpr75
	s_and_saveexec_b64 s[20:21], s[18:19]
	s_xor_b64 s[18:19], exec, s[20:21]
	s_cbranch_execz .LBB28_140
; %bb.139:                              ;   in Loop: Header=BB28_2 Depth=1
	v_lshlrev_b32_e32 v75, 2, v78
	ds_read_b32 v75, v75 offset:4
.LBB28_140:                             ;   in Loop: Header=BB28_2 Depth=1
	s_or_saveexec_b64 s[18:19], s[18:19]
	v_mov_b32_e32 v76, v73
	s_xor_b64 exec, exec, s[18:19]
	s_cbranch_execz .LBB28_142
; %bb.141:                              ;   in Loop: Header=BB28_2 Depth=1
	s_waitcnt lgkmcnt(0)
	v_lshlrev_b32_e32 v75, 2, v77
	ds_read_b32 v76, v75 offset:4
	v_mov_b32_e32 v75, v74
.LBB28_142:                             ;   in Loop: Header=BB28_2 Depth=1
	s_or_b64 exec, exec, s[18:19]
	v_add_u32_e32 v80, 1, v78
	v_add_u32_e32 v79, 1, v77
	v_cndmask_b32_e64 v80, v80, v78, s[16:17]
	v_cndmask_b32_e64 v79, v77, v79, s[16:17]
	v_cmp_ge_i32_e64 s[20:21], v80, v40
	s_waitcnt lgkmcnt(0)
	v_cmp_lt_i32_e64 s[22:23], v76, v75
	v_cmp_lt_i32_e64 s[18:19], v79, v41
	s_or_b64 s[20:21], s[20:21], s[22:23]
	s_and_b64 s[18:19], s[18:19], s[20:21]
	s_xor_b64 s[20:21], s[18:19], -1
                                        ; implicit-def: $vgpr77
	s_and_saveexec_b64 s[22:23], s[20:21]
	s_xor_b64 s[20:21], exec, s[22:23]
	s_cbranch_execz .LBB28_144
; %bb.143:                              ;   in Loop: Header=BB28_2 Depth=1
	v_lshlrev_b32_e32 v77, 2, v80
	ds_read_b32 v77, v77 offset:4
.LBB28_144:                             ;   in Loop: Header=BB28_2 Depth=1
	s_or_saveexec_b64 s[20:21], s[20:21]
	v_mov_b32_e32 v78, v76
	s_xor_b64 exec, exec, s[20:21]
	s_cbranch_execz .LBB28_146
; %bb.145:                              ;   in Loop: Header=BB28_2 Depth=1
	s_waitcnt lgkmcnt(0)
	v_lshlrev_b32_e32 v77, 2, v79
	ds_read_b32 v78, v77 offset:4
	v_mov_b32_e32 v77, v75
.LBB28_146:                             ;   in Loop: Header=BB28_2 Depth=1
	s_or_b64 exec, exec, s[20:21]
	v_add_u32_e32 v82, 1, v80
	v_add_u32_e32 v81, 1, v79
	v_cndmask_b32_e64 v82, v82, v80, s[18:19]
	v_cndmask_b32_e64 v81, v79, v81, s[18:19]
	v_cmp_ge_i32_e64 s[22:23], v82, v40
	s_waitcnt lgkmcnt(0)
	v_cmp_lt_i32_e64 s[24:25], v78, v77
	v_cmp_lt_i32_e64 s[20:21], v81, v41
	s_or_b64 s[22:23], s[22:23], s[24:25]
	s_and_b64 s[20:21], s[20:21], s[22:23]
	s_xor_b64 s[22:23], s[20:21], -1
                                        ; implicit-def: $vgpr79
	s_and_saveexec_b64 s[24:25], s[22:23]
	s_xor_b64 s[22:23], exec, s[24:25]
	s_cbranch_execz .LBB28_148
; %bb.147:                              ;   in Loop: Header=BB28_2 Depth=1
	v_lshlrev_b32_e32 v79, 2, v82
	ds_read_b32 v79, v79 offset:4
.LBB28_148:                             ;   in Loop: Header=BB28_2 Depth=1
	s_or_saveexec_b64 s[22:23], s[22:23]
	v_mov_b32_e32 v80, v78
	s_xor_b64 exec, exec, s[22:23]
	s_cbranch_execz .LBB28_150
; %bb.149:                              ;   in Loop: Header=BB28_2 Depth=1
	s_waitcnt lgkmcnt(0)
	v_lshlrev_b32_e32 v79, 2, v81
	ds_read_b32 v80, v79 offset:4
	v_mov_b32_e32 v79, v77
.LBB28_150:                             ;   in Loop: Header=BB28_2 Depth=1
	s_or_b64 exec, exec, s[22:23]
	v_add_u32_e32 v84, 1, v82
	v_add_u32_e32 v83, 1, v81
	v_cndmask_b32_e64 v84, v84, v82, s[20:21]
	v_cndmask_b32_e64 v83, v81, v83, s[20:21]
	v_cmp_ge_i32_e64 s[24:25], v84, v40
	s_waitcnt lgkmcnt(0)
	v_cmp_lt_i32_e64 s[26:27], v80, v79
	v_cmp_lt_i32_e64 s[22:23], v83, v41
	s_or_b64 s[24:25], s[24:25], s[26:27]
	s_and_b64 s[22:23], s[22:23], s[24:25]
	s_xor_b64 s[24:25], s[22:23], -1
                                        ; implicit-def: $vgpr81
	s_and_saveexec_b64 s[26:27], s[24:25]
	s_xor_b64 s[24:25], exec, s[26:27]
	s_cbranch_execz .LBB28_152
; %bb.151:                              ;   in Loop: Header=BB28_2 Depth=1
	v_lshlrev_b32_e32 v81, 2, v84
	ds_read_b32 v81, v81 offset:4
.LBB28_152:                             ;   in Loop: Header=BB28_2 Depth=1
	s_or_saveexec_b64 s[24:25], s[24:25]
	v_mov_b32_e32 v82, v80
	s_xor_b64 exec, exec, s[24:25]
	s_cbranch_execz .LBB28_154
; %bb.153:                              ;   in Loop: Header=BB28_2 Depth=1
	s_waitcnt lgkmcnt(0)
	v_lshlrev_b32_e32 v81, 2, v83
	ds_read_b32 v82, v81 offset:4
	v_mov_b32_e32 v81, v79
.LBB28_154:                             ;   in Loop: Header=BB28_2 Depth=1
	s_or_b64 exec, exec, s[24:25]
	v_add_u32_e32 v86, 1, v84
	v_add_u32_e32 v85, 1, v83
	v_cndmask_b32_e64 v86, v86, v84, s[22:23]
	v_cndmask_b32_e64 v85, v83, v85, s[22:23]
	v_cmp_ge_i32_e64 s[26:27], v86, v40
	s_waitcnt lgkmcnt(0)
	v_cmp_lt_i32_e64 s[28:29], v82, v81
	v_cmp_lt_i32_e64 s[24:25], v85, v41
	s_or_b64 s[26:27], s[26:27], s[28:29]
	s_and_b64 s[24:25], s[24:25], s[26:27]
	s_xor_b64 s[26:27], s[24:25], -1
                                        ; implicit-def: $vgpr83
	s_and_saveexec_b64 s[28:29], s[26:27]
	s_xor_b64 s[26:27], exec, s[28:29]
	s_cbranch_execz .LBB28_156
; %bb.155:                              ;   in Loop: Header=BB28_2 Depth=1
	v_lshlrev_b32_e32 v83, 2, v86
	ds_read_b32 v83, v83 offset:4
.LBB28_156:                             ;   in Loop: Header=BB28_2 Depth=1
	s_or_saveexec_b64 s[26:27], s[26:27]
	v_mov_b32_e32 v84, v82
	s_xor_b64 exec, exec, s[26:27]
	s_cbranch_execz .LBB28_158
; %bb.157:                              ;   in Loop: Header=BB28_2 Depth=1
	s_waitcnt lgkmcnt(0)
	v_lshlrev_b32_e32 v83, 2, v85
	ds_read_b32 v84, v83 offset:4
	v_mov_b32_e32 v83, v81
.LBB28_158:                             ;   in Loop: Header=BB28_2 Depth=1
	s_or_b64 exec, exec, s[26:27]
	v_add_u32_e32 v88, 1, v86
	v_add_u32_e32 v87, 1, v85
	v_cndmask_b32_e64 v86, v88, v86, s[24:25]
	v_cndmask_b32_e64 v85, v85, v87, s[24:25]
	v_cmp_ge_i32_e64 s[28:29], v86, v40
	s_waitcnt lgkmcnt(0)
	v_cmp_lt_i32_e64 s[30:31], v84, v83
	v_cmp_lt_i32_e64 s[26:27], v85, v41
	s_or_b64 s[28:29], s[28:29], s[30:31]
	s_and_b64 s[26:27], s[26:27], s[28:29]
	s_xor_b64 s[28:29], s[26:27], -1
                                        ; implicit-def: $vgpr87
	s_and_saveexec_b64 s[30:31], s[28:29]
	s_xor_b64 s[28:29], exec, s[30:31]
	s_cbranch_execz .LBB28_160
; %bb.159:                              ;   in Loop: Header=BB28_2 Depth=1
	v_lshlrev_b32_e32 v87, 2, v86
	ds_read_b32 v87, v87 offset:4
.LBB28_160:                             ;   in Loop: Header=BB28_2 Depth=1
	s_or_saveexec_b64 s[28:29], s[28:29]
	v_mov_b32_e32 v88, v84
	s_xor_b64 exec, exec, s[28:29]
	s_cbranch_execz .LBB28_162
; %bb.161:                              ;   in Loop: Header=BB28_2 Depth=1
	s_waitcnt lgkmcnt(0)
	v_lshlrev_b32_e32 v87, 2, v85
	ds_read_b32 v88, v87 offset:4
	v_mov_b32_e32 v87, v83
.LBB28_162:                             ;   in Loop: Header=BB28_2 Depth=1
	s_or_b64 exec, exec, s[28:29]
	v_cndmask_b32_e64 v83, v83, v84, s[26:27]
	v_add_u32_e32 v84, 1, v85
	v_add_u32_e32 v89, 1, v86
	v_cndmask_b32_e64 v84, v85, v84, s[26:27]
	v_cndmask_b32_e64 v85, v89, v86, s[26:27]
	;; [unrolled: 1-line block ×4, first 2 shown]
	v_cmp_ge_i32_e64 s[16:17], v85, v40
	s_waitcnt lgkmcnt(0)
	v_cmp_lt_i32_e64 s[18:19], v88, v87
	v_cndmask_b32_e64 v71, v71, v72, s[14:15]
	v_cmp_lt_i32_e64 s[14:15], v84, v41
	s_or_b64 s[16:17], s[16:17], s[18:19]
	s_and_b64 s[14:15], s[14:15], s[16:17]
	v_cndmask_b32_e64 v81, v81, v82, s[24:25]
	v_cndmask_b32_e64 v79, v79, v80, s[22:23]
	;; [unrolled: 1-line block ×4, first 2 shown]
	s_barrier
	ds_write2_b32 v2, v71, v73 offset1:1
	ds_write2_b32 v2, v75, v77 offset0:2 offset1:3
	ds_write2_b32 v2, v79, v81 offset0:4 offset1:5
	;; [unrolled: 1-line block ×3, first 2 shown]
	v_mov_b32_e32 v73, v48
	s_waitcnt lgkmcnt(0)
	s_barrier
	s_and_saveexec_b64 s[16:17], s[8:9]
	s_cbranch_execz .LBB28_166
; %bb.163:                              ;   in Loop: Header=BB28_2 Depth=1
	s_mov_b64 s[18:19], 0
	v_mov_b32_e32 v73, v48
	v_mov_b32_e32 v71, v49
.LBB28_164:                             ;   Parent Loop BB28_2 Depth=1
                                        ; =>  This Inner Loop Header: Depth=2
	v_sub_u32_e32 v72, v71, v73
	v_lshrrev_b32_e32 v74, 31, v72
	v_add_u32_e32 v72, v72, v74
	v_ashrrev_i32_e32 v72, 1, v72
	v_add_u32_e32 v72, v72, v73
	v_xad_u32 v75, v72, -1, v45
	v_lshl_add_u32 v74, v72, 2, v63
	v_lshl_add_u32 v75, v75, 2, v64
	ds_read_b32 v74, v74
	ds_read_b32 v75, v75
	v_add_u32_e32 v76, 1, v72
	s_waitcnt lgkmcnt(0)
	v_cmp_lt_i32_e64 s[14:15], v75, v74
	s_nop 1
	v_cndmask_b32_e64 v71, v71, v72, s[14:15]
	v_cndmask_b32_e64 v73, v76, v73, s[14:15]
	v_cmp_ge_i32_e64 s[14:15], v73, v71
	s_or_b64 s[18:19], s[14:15], s[18:19]
	s_andn2_b64 exec, exec, s[18:19]
	s_cbranch_execnz .LBB28_164
; %bb.165:                              ;   in Loop: Header=BB28_2 Depth=1
	s_or_b64 exec, exec, s[18:19]
.LBB28_166:                             ;   in Loop: Header=BB28_2 Depth=1
	s_or_b64 exec, exec, s[16:17]
	v_sub_u32_e32 v75, v65, v73
	v_lshl_add_u32 v78, v73, 2, v63
	v_lshlrev_b32_e32 v77, 2, v75
	ds_read_b32 v71, v78
	ds_read_b32 v72, v77
	v_add_u32_e32 v76, v73, v44
	v_cmp_le_i32_e64 s[16:17], v46, v76
	v_cmp_gt_i32_e64 s[14:15], v47, v75
                                        ; implicit-def: $vgpr73
                                        ; implicit-def: $vgpr74
	s_waitcnt lgkmcnt(0)
	v_cmp_lt_i32_e64 s[18:19], v72, v71
	s_or_b64 s[16:17], s[16:17], s[18:19]
	s_and_b64 s[14:15], s[14:15], s[16:17]
	s_xor_b64 s[16:17], s[14:15], -1
	s_and_saveexec_b64 s[18:19], s[16:17]
	s_xor_b64 s[16:17], exec, s[18:19]
	s_cbranch_execz .LBB28_168
; %bb.167:                              ;   in Loop: Header=BB28_2 Depth=1
	ds_read_b32 v74, v78 offset:4
	v_mov_b32_e32 v73, v72
                                        ; implicit-def: $vgpr77
.LBB28_168:                             ;   in Loop: Header=BB28_2 Depth=1
	s_andn2_saveexec_b64 s[16:17], s[16:17]
	s_cbranch_execz .LBB28_170
; %bb.169:                              ;   in Loop: Header=BB28_2 Depth=1
	ds_read_b32 v73, v77 offset:4
	s_waitcnt lgkmcnt(1)
	v_mov_b32_e32 v74, v71
.LBB28_170:                             ;   in Loop: Header=BB28_2 Depth=1
	s_or_b64 exec, exec, s[16:17]
	v_add_u32_e32 v78, 1, v76
	v_add_u32_e32 v77, 1, v75
	v_cndmask_b32_e64 v78, v78, v76, s[14:15]
	v_cndmask_b32_e64 v77, v75, v77, s[14:15]
	v_cmp_ge_i32_e64 s[18:19], v78, v46
	s_waitcnt lgkmcnt(0)
	v_cmp_lt_i32_e64 s[20:21], v73, v74
	v_cmp_lt_i32_e64 s[16:17], v77, v47
	s_or_b64 s[18:19], s[18:19], s[20:21]
	s_and_b64 s[16:17], s[16:17], s[18:19]
	s_xor_b64 s[18:19], s[16:17], -1
                                        ; implicit-def: $vgpr75
	s_and_saveexec_b64 s[20:21], s[18:19]
	s_xor_b64 s[18:19], exec, s[20:21]
	s_cbranch_execz .LBB28_172
; %bb.171:                              ;   in Loop: Header=BB28_2 Depth=1
	v_lshlrev_b32_e32 v75, 2, v78
	ds_read_b32 v75, v75 offset:4
.LBB28_172:                             ;   in Loop: Header=BB28_2 Depth=1
	s_or_saveexec_b64 s[18:19], s[18:19]
	v_mov_b32_e32 v76, v73
	s_xor_b64 exec, exec, s[18:19]
	s_cbranch_execz .LBB28_174
; %bb.173:                              ;   in Loop: Header=BB28_2 Depth=1
	s_waitcnt lgkmcnt(0)
	v_lshlrev_b32_e32 v75, 2, v77
	ds_read_b32 v76, v75 offset:4
	v_mov_b32_e32 v75, v74
.LBB28_174:                             ;   in Loop: Header=BB28_2 Depth=1
	s_or_b64 exec, exec, s[18:19]
	v_add_u32_e32 v80, 1, v78
	v_add_u32_e32 v79, 1, v77
	v_cndmask_b32_e64 v80, v80, v78, s[16:17]
	v_cndmask_b32_e64 v79, v77, v79, s[16:17]
	v_cmp_ge_i32_e64 s[20:21], v80, v46
	s_waitcnt lgkmcnt(0)
	v_cmp_lt_i32_e64 s[22:23], v76, v75
	v_cmp_lt_i32_e64 s[18:19], v79, v47
	s_or_b64 s[20:21], s[20:21], s[22:23]
	s_and_b64 s[18:19], s[18:19], s[20:21]
	s_xor_b64 s[20:21], s[18:19], -1
                                        ; implicit-def: $vgpr77
	s_and_saveexec_b64 s[22:23], s[20:21]
	s_xor_b64 s[20:21], exec, s[22:23]
	s_cbranch_execz .LBB28_176
; %bb.175:                              ;   in Loop: Header=BB28_2 Depth=1
	v_lshlrev_b32_e32 v77, 2, v80
	ds_read_b32 v77, v77 offset:4
.LBB28_176:                             ;   in Loop: Header=BB28_2 Depth=1
	s_or_saveexec_b64 s[20:21], s[20:21]
	v_mov_b32_e32 v78, v76
	s_xor_b64 exec, exec, s[20:21]
	s_cbranch_execz .LBB28_178
; %bb.177:                              ;   in Loop: Header=BB28_2 Depth=1
	s_waitcnt lgkmcnt(0)
	v_lshlrev_b32_e32 v77, 2, v79
	ds_read_b32 v78, v77 offset:4
	v_mov_b32_e32 v77, v75
.LBB28_178:                             ;   in Loop: Header=BB28_2 Depth=1
	s_or_b64 exec, exec, s[20:21]
	v_add_u32_e32 v82, 1, v80
	v_add_u32_e32 v81, 1, v79
	v_cndmask_b32_e64 v82, v82, v80, s[18:19]
	v_cndmask_b32_e64 v81, v79, v81, s[18:19]
	v_cmp_ge_i32_e64 s[22:23], v82, v46
	s_waitcnt lgkmcnt(0)
	v_cmp_lt_i32_e64 s[24:25], v78, v77
	v_cmp_lt_i32_e64 s[20:21], v81, v47
	s_or_b64 s[22:23], s[22:23], s[24:25]
	s_and_b64 s[20:21], s[20:21], s[22:23]
	s_xor_b64 s[22:23], s[20:21], -1
                                        ; implicit-def: $vgpr79
	s_and_saveexec_b64 s[24:25], s[22:23]
	s_xor_b64 s[22:23], exec, s[24:25]
	s_cbranch_execz .LBB28_180
; %bb.179:                              ;   in Loop: Header=BB28_2 Depth=1
	v_lshlrev_b32_e32 v79, 2, v82
	ds_read_b32 v79, v79 offset:4
.LBB28_180:                             ;   in Loop: Header=BB28_2 Depth=1
	s_or_saveexec_b64 s[22:23], s[22:23]
	v_mov_b32_e32 v80, v78
	s_xor_b64 exec, exec, s[22:23]
	s_cbranch_execz .LBB28_182
; %bb.181:                              ;   in Loop: Header=BB28_2 Depth=1
	s_waitcnt lgkmcnt(0)
	v_lshlrev_b32_e32 v79, 2, v81
	ds_read_b32 v80, v79 offset:4
	v_mov_b32_e32 v79, v77
.LBB28_182:                             ;   in Loop: Header=BB28_2 Depth=1
	s_or_b64 exec, exec, s[22:23]
	v_add_u32_e32 v84, 1, v82
	v_add_u32_e32 v83, 1, v81
	v_cndmask_b32_e64 v84, v84, v82, s[20:21]
	v_cndmask_b32_e64 v83, v81, v83, s[20:21]
	v_cmp_ge_i32_e64 s[24:25], v84, v46
	s_waitcnt lgkmcnt(0)
	v_cmp_lt_i32_e64 s[26:27], v80, v79
	v_cmp_lt_i32_e64 s[22:23], v83, v47
	s_or_b64 s[24:25], s[24:25], s[26:27]
	s_and_b64 s[22:23], s[22:23], s[24:25]
	s_xor_b64 s[24:25], s[22:23], -1
                                        ; implicit-def: $vgpr81
	s_and_saveexec_b64 s[26:27], s[24:25]
	s_xor_b64 s[24:25], exec, s[26:27]
	s_cbranch_execz .LBB28_184
; %bb.183:                              ;   in Loop: Header=BB28_2 Depth=1
	v_lshlrev_b32_e32 v81, 2, v84
	ds_read_b32 v81, v81 offset:4
.LBB28_184:                             ;   in Loop: Header=BB28_2 Depth=1
	s_or_saveexec_b64 s[24:25], s[24:25]
	v_mov_b32_e32 v82, v80
	s_xor_b64 exec, exec, s[24:25]
	s_cbranch_execz .LBB28_186
; %bb.185:                              ;   in Loop: Header=BB28_2 Depth=1
	s_waitcnt lgkmcnt(0)
	v_lshlrev_b32_e32 v81, 2, v83
	ds_read_b32 v82, v81 offset:4
	v_mov_b32_e32 v81, v79
.LBB28_186:                             ;   in Loop: Header=BB28_2 Depth=1
	s_or_b64 exec, exec, s[24:25]
	v_add_u32_e32 v86, 1, v84
	v_add_u32_e32 v85, 1, v83
	v_cndmask_b32_e64 v86, v86, v84, s[22:23]
	v_cndmask_b32_e64 v85, v83, v85, s[22:23]
	v_cmp_ge_i32_e64 s[26:27], v86, v46
	s_waitcnt lgkmcnt(0)
	v_cmp_lt_i32_e64 s[28:29], v82, v81
	v_cmp_lt_i32_e64 s[24:25], v85, v47
	s_or_b64 s[26:27], s[26:27], s[28:29]
	s_and_b64 s[24:25], s[24:25], s[26:27]
	s_xor_b64 s[26:27], s[24:25], -1
                                        ; implicit-def: $vgpr83
	s_and_saveexec_b64 s[28:29], s[26:27]
	s_xor_b64 s[26:27], exec, s[28:29]
	s_cbranch_execz .LBB28_188
; %bb.187:                              ;   in Loop: Header=BB28_2 Depth=1
	v_lshlrev_b32_e32 v83, 2, v86
	ds_read_b32 v83, v83 offset:4
.LBB28_188:                             ;   in Loop: Header=BB28_2 Depth=1
	s_or_saveexec_b64 s[26:27], s[26:27]
	v_mov_b32_e32 v84, v82
	s_xor_b64 exec, exec, s[26:27]
	s_cbranch_execz .LBB28_190
; %bb.189:                              ;   in Loop: Header=BB28_2 Depth=1
	s_waitcnt lgkmcnt(0)
	v_lshlrev_b32_e32 v83, 2, v85
	ds_read_b32 v84, v83 offset:4
	v_mov_b32_e32 v83, v81
.LBB28_190:                             ;   in Loop: Header=BB28_2 Depth=1
	s_or_b64 exec, exec, s[26:27]
	v_add_u32_e32 v88, 1, v86
	v_add_u32_e32 v87, 1, v85
	v_cndmask_b32_e64 v86, v88, v86, s[24:25]
	v_cndmask_b32_e64 v85, v85, v87, s[24:25]
	v_cmp_ge_i32_e64 s[28:29], v86, v46
	s_waitcnt lgkmcnt(0)
	v_cmp_lt_i32_e64 s[30:31], v84, v83
	v_cmp_lt_i32_e64 s[26:27], v85, v47
	s_or_b64 s[28:29], s[28:29], s[30:31]
	s_and_b64 s[26:27], s[26:27], s[28:29]
	s_xor_b64 s[28:29], s[26:27], -1
                                        ; implicit-def: $vgpr87
	s_and_saveexec_b64 s[30:31], s[28:29]
	s_xor_b64 s[28:29], exec, s[30:31]
	s_cbranch_execz .LBB28_192
; %bb.191:                              ;   in Loop: Header=BB28_2 Depth=1
	v_lshlrev_b32_e32 v87, 2, v86
	ds_read_b32 v87, v87 offset:4
.LBB28_192:                             ;   in Loop: Header=BB28_2 Depth=1
	s_or_saveexec_b64 s[28:29], s[28:29]
	v_mov_b32_e32 v88, v84
	s_xor_b64 exec, exec, s[28:29]
	s_cbranch_execz .LBB28_194
; %bb.193:                              ;   in Loop: Header=BB28_2 Depth=1
	s_waitcnt lgkmcnt(0)
	v_lshlrev_b32_e32 v87, 2, v85
	ds_read_b32 v88, v87 offset:4
	v_mov_b32_e32 v87, v83
.LBB28_194:                             ;   in Loop: Header=BB28_2 Depth=1
	s_or_b64 exec, exec, s[28:29]
	v_cndmask_b32_e64 v83, v83, v84, s[26:27]
	v_add_u32_e32 v84, 1, v85
	v_add_u32_e32 v89, 1, v86
	v_cndmask_b32_e64 v84, v85, v84, s[26:27]
	v_cndmask_b32_e64 v85, v89, v86, s[26:27]
	;; [unrolled: 1-line block ×4, first 2 shown]
	v_cmp_ge_i32_e64 s[16:17], v85, v46
	s_waitcnt lgkmcnt(0)
	v_cmp_lt_i32_e64 s[18:19], v88, v87
	v_cndmask_b32_e64 v71, v71, v72, s[14:15]
	v_cmp_lt_i32_e64 s[14:15], v84, v47
	s_or_b64 s[16:17], s[16:17], s[18:19]
	s_and_b64 s[14:15], s[14:15], s[16:17]
	v_cndmask_b32_e64 v81, v81, v82, s[24:25]
	v_cndmask_b32_e64 v79, v79, v80, s[22:23]
	v_cndmask_b32_e64 v77, v77, v78, s[20:21]
	v_cndmask_b32_e64 v72, v87, v88, s[14:15]
	s_barrier
	ds_write2_b32 v2, v71, v73 offset1:1
	ds_write2_b32 v2, v75, v77 offset0:2 offset1:3
	ds_write2_b32 v2, v79, v81 offset0:4 offset1:5
	ds_write2_b32 v2, v83, v72 offset0:6 offset1:7
	v_mov_b32_e32 v73, v55
	s_waitcnt lgkmcnt(0)
	s_barrier
	s_and_saveexec_b64 s[16:17], s[10:11]
	s_cbranch_execz .LBB28_198
; %bb.195:                              ;   in Loop: Header=BB28_2 Depth=1
	s_mov_b64 s[18:19], 0
	v_mov_b32_e32 v73, v55
	v_mov_b32_e32 v71, v56
.LBB28_196:                             ;   Parent Loop BB28_2 Depth=1
                                        ; =>  This Inner Loop Header: Depth=2
	v_sub_u32_e32 v72, v71, v73
	v_lshrrev_b32_e32 v74, 31, v72
	v_add_u32_e32 v72, v72, v74
	v_ashrrev_i32_e32 v72, 1, v72
	v_add_u32_e32 v72, v72, v73
	v_xad_u32 v75, v72, -1, v52
	v_lshl_add_u32 v74, v72, 2, v66
	v_lshl_add_u32 v75, v75, 2, v67
	ds_read_b32 v74, v74
	ds_read_b32 v75, v75
	v_add_u32_e32 v76, 1, v72
	s_waitcnt lgkmcnt(0)
	v_cmp_lt_i32_e64 s[14:15], v75, v74
	s_nop 1
	v_cndmask_b32_e64 v71, v71, v72, s[14:15]
	v_cndmask_b32_e64 v73, v76, v73, s[14:15]
	v_cmp_ge_i32_e64 s[14:15], v73, v71
	s_or_b64 s[18:19], s[14:15], s[18:19]
	s_andn2_b64 exec, exec, s[18:19]
	s_cbranch_execnz .LBB28_196
; %bb.197:                              ;   in Loop: Header=BB28_2 Depth=1
	s_or_b64 exec, exec, s[18:19]
.LBB28_198:                             ;   in Loop: Header=BB28_2 Depth=1
	s_or_b64 exec, exec, s[16:17]
	v_sub_u32_e32 v75, v68, v73
	v_lshl_add_u32 v78, v73, 2, v66
	v_lshlrev_b32_e32 v77, 2, v75
	ds_read_b32 v71, v78
	ds_read_b32 v72, v77
	v_add_u32_e32 v76, v73, v51
	v_cmp_le_i32_e64 s[16:17], v53, v76
	v_cmp_gt_i32_e64 s[14:15], v54, v75
                                        ; implicit-def: $vgpr73
                                        ; implicit-def: $vgpr74
	s_waitcnt lgkmcnt(0)
	v_cmp_lt_i32_e64 s[18:19], v72, v71
	s_or_b64 s[16:17], s[16:17], s[18:19]
	s_and_b64 s[14:15], s[14:15], s[16:17]
	s_xor_b64 s[16:17], s[14:15], -1
	s_and_saveexec_b64 s[18:19], s[16:17]
	s_xor_b64 s[16:17], exec, s[18:19]
	s_cbranch_execz .LBB28_200
; %bb.199:                              ;   in Loop: Header=BB28_2 Depth=1
	ds_read_b32 v74, v78 offset:4
	v_mov_b32_e32 v73, v72
                                        ; implicit-def: $vgpr77
.LBB28_200:                             ;   in Loop: Header=BB28_2 Depth=1
	s_andn2_saveexec_b64 s[16:17], s[16:17]
	s_cbranch_execz .LBB28_202
; %bb.201:                              ;   in Loop: Header=BB28_2 Depth=1
	ds_read_b32 v73, v77 offset:4
	s_waitcnt lgkmcnt(1)
	v_mov_b32_e32 v74, v71
.LBB28_202:                             ;   in Loop: Header=BB28_2 Depth=1
	s_or_b64 exec, exec, s[16:17]
	v_add_u32_e32 v78, 1, v76
	v_add_u32_e32 v77, 1, v75
	v_cndmask_b32_e64 v78, v78, v76, s[14:15]
	v_cndmask_b32_e64 v77, v75, v77, s[14:15]
	v_cmp_ge_i32_e64 s[18:19], v78, v53
	s_waitcnt lgkmcnt(0)
	v_cmp_lt_i32_e64 s[20:21], v73, v74
	v_cmp_lt_i32_e64 s[16:17], v77, v54
	s_or_b64 s[18:19], s[18:19], s[20:21]
	s_and_b64 s[16:17], s[16:17], s[18:19]
	s_xor_b64 s[18:19], s[16:17], -1
                                        ; implicit-def: $vgpr75
	s_and_saveexec_b64 s[20:21], s[18:19]
	s_xor_b64 s[18:19], exec, s[20:21]
	s_cbranch_execz .LBB28_204
; %bb.203:                              ;   in Loop: Header=BB28_2 Depth=1
	v_lshlrev_b32_e32 v75, 2, v78
	ds_read_b32 v75, v75 offset:4
.LBB28_204:                             ;   in Loop: Header=BB28_2 Depth=1
	s_or_saveexec_b64 s[18:19], s[18:19]
	v_mov_b32_e32 v76, v73
	s_xor_b64 exec, exec, s[18:19]
	s_cbranch_execz .LBB28_206
; %bb.205:                              ;   in Loop: Header=BB28_2 Depth=1
	s_waitcnt lgkmcnt(0)
	v_lshlrev_b32_e32 v75, 2, v77
	ds_read_b32 v76, v75 offset:4
	v_mov_b32_e32 v75, v74
.LBB28_206:                             ;   in Loop: Header=BB28_2 Depth=1
	s_or_b64 exec, exec, s[18:19]
	v_add_u32_e32 v80, 1, v78
	v_add_u32_e32 v79, 1, v77
	v_cndmask_b32_e64 v80, v80, v78, s[16:17]
	v_cndmask_b32_e64 v79, v77, v79, s[16:17]
	v_cmp_ge_i32_e64 s[20:21], v80, v53
	s_waitcnt lgkmcnt(0)
	v_cmp_lt_i32_e64 s[22:23], v76, v75
	v_cmp_lt_i32_e64 s[18:19], v79, v54
	s_or_b64 s[20:21], s[20:21], s[22:23]
	s_and_b64 s[18:19], s[18:19], s[20:21]
	s_xor_b64 s[20:21], s[18:19], -1
                                        ; implicit-def: $vgpr77
	s_and_saveexec_b64 s[22:23], s[20:21]
	s_xor_b64 s[20:21], exec, s[22:23]
	s_cbranch_execz .LBB28_208
; %bb.207:                              ;   in Loop: Header=BB28_2 Depth=1
	v_lshlrev_b32_e32 v77, 2, v80
	ds_read_b32 v77, v77 offset:4
.LBB28_208:                             ;   in Loop: Header=BB28_2 Depth=1
	s_or_saveexec_b64 s[20:21], s[20:21]
	v_mov_b32_e32 v78, v76
	s_xor_b64 exec, exec, s[20:21]
	s_cbranch_execz .LBB28_210
; %bb.209:                              ;   in Loop: Header=BB28_2 Depth=1
	s_waitcnt lgkmcnt(0)
	v_lshlrev_b32_e32 v77, 2, v79
	ds_read_b32 v78, v77 offset:4
	v_mov_b32_e32 v77, v75
.LBB28_210:                             ;   in Loop: Header=BB28_2 Depth=1
	s_or_b64 exec, exec, s[20:21]
	v_add_u32_e32 v82, 1, v80
	v_add_u32_e32 v81, 1, v79
	v_cndmask_b32_e64 v82, v82, v80, s[18:19]
	v_cndmask_b32_e64 v81, v79, v81, s[18:19]
	v_cmp_ge_i32_e64 s[22:23], v82, v53
	s_waitcnt lgkmcnt(0)
	v_cmp_lt_i32_e64 s[24:25], v78, v77
	v_cmp_lt_i32_e64 s[20:21], v81, v54
	s_or_b64 s[22:23], s[22:23], s[24:25]
	s_and_b64 s[20:21], s[20:21], s[22:23]
	s_xor_b64 s[22:23], s[20:21], -1
                                        ; implicit-def: $vgpr79
	s_and_saveexec_b64 s[24:25], s[22:23]
	s_xor_b64 s[22:23], exec, s[24:25]
	s_cbranch_execz .LBB28_212
; %bb.211:                              ;   in Loop: Header=BB28_2 Depth=1
	v_lshlrev_b32_e32 v79, 2, v82
	ds_read_b32 v79, v79 offset:4
.LBB28_212:                             ;   in Loop: Header=BB28_2 Depth=1
	s_or_saveexec_b64 s[22:23], s[22:23]
	v_mov_b32_e32 v80, v78
	s_xor_b64 exec, exec, s[22:23]
	s_cbranch_execz .LBB28_214
; %bb.213:                              ;   in Loop: Header=BB28_2 Depth=1
	s_waitcnt lgkmcnt(0)
	v_lshlrev_b32_e32 v79, 2, v81
	ds_read_b32 v80, v79 offset:4
	v_mov_b32_e32 v79, v77
.LBB28_214:                             ;   in Loop: Header=BB28_2 Depth=1
	s_or_b64 exec, exec, s[22:23]
	v_add_u32_e32 v84, 1, v82
	v_add_u32_e32 v83, 1, v81
	v_cndmask_b32_e64 v84, v84, v82, s[20:21]
	v_cndmask_b32_e64 v83, v81, v83, s[20:21]
	v_cmp_ge_i32_e64 s[24:25], v84, v53
	s_waitcnt lgkmcnt(0)
	v_cmp_lt_i32_e64 s[26:27], v80, v79
	v_cmp_lt_i32_e64 s[22:23], v83, v54
	s_or_b64 s[24:25], s[24:25], s[26:27]
	s_and_b64 s[22:23], s[22:23], s[24:25]
	s_xor_b64 s[24:25], s[22:23], -1
                                        ; implicit-def: $vgpr81
	s_and_saveexec_b64 s[26:27], s[24:25]
	s_xor_b64 s[24:25], exec, s[26:27]
	s_cbranch_execz .LBB28_216
; %bb.215:                              ;   in Loop: Header=BB28_2 Depth=1
	v_lshlrev_b32_e32 v81, 2, v84
	ds_read_b32 v81, v81 offset:4
.LBB28_216:                             ;   in Loop: Header=BB28_2 Depth=1
	s_or_saveexec_b64 s[24:25], s[24:25]
	v_mov_b32_e32 v82, v80
	s_xor_b64 exec, exec, s[24:25]
	s_cbranch_execz .LBB28_218
; %bb.217:                              ;   in Loop: Header=BB28_2 Depth=1
	s_waitcnt lgkmcnt(0)
	v_lshlrev_b32_e32 v81, 2, v83
	ds_read_b32 v82, v81 offset:4
	v_mov_b32_e32 v81, v79
.LBB28_218:                             ;   in Loop: Header=BB28_2 Depth=1
	s_or_b64 exec, exec, s[24:25]
	v_add_u32_e32 v86, 1, v84
	v_add_u32_e32 v85, 1, v83
	v_cndmask_b32_e64 v86, v86, v84, s[22:23]
	v_cndmask_b32_e64 v85, v83, v85, s[22:23]
	v_cmp_ge_i32_e64 s[26:27], v86, v53
	s_waitcnt lgkmcnt(0)
	v_cmp_lt_i32_e64 s[28:29], v82, v81
	v_cmp_lt_i32_e64 s[24:25], v85, v54
	s_or_b64 s[26:27], s[26:27], s[28:29]
	s_and_b64 s[24:25], s[24:25], s[26:27]
	s_xor_b64 s[26:27], s[24:25], -1
                                        ; implicit-def: $vgpr83
	s_and_saveexec_b64 s[28:29], s[26:27]
	s_xor_b64 s[26:27], exec, s[28:29]
	s_cbranch_execz .LBB28_220
; %bb.219:                              ;   in Loop: Header=BB28_2 Depth=1
	v_lshlrev_b32_e32 v83, 2, v86
	ds_read_b32 v83, v83 offset:4
.LBB28_220:                             ;   in Loop: Header=BB28_2 Depth=1
	s_or_saveexec_b64 s[26:27], s[26:27]
	v_mov_b32_e32 v84, v82
	s_xor_b64 exec, exec, s[26:27]
	s_cbranch_execz .LBB28_222
; %bb.221:                              ;   in Loop: Header=BB28_2 Depth=1
	s_waitcnt lgkmcnt(0)
	v_lshlrev_b32_e32 v83, 2, v85
	ds_read_b32 v84, v83 offset:4
	v_mov_b32_e32 v83, v81
.LBB28_222:                             ;   in Loop: Header=BB28_2 Depth=1
	s_or_b64 exec, exec, s[26:27]
	v_add_u32_e32 v88, 1, v86
	v_add_u32_e32 v87, 1, v85
	v_cndmask_b32_e64 v86, v88, v86, s[24:25]
	v_cndmask_b32_e64 v85, v85, v87, s[24:25]
	v_cmp_ge_i32_e64 s[28:29], v86, v53
	s_waitcnt lgkmcnt(0)
	v_cmp_lt_i32_e64 s[30:31], v84, v83
	v_cmp_lt_i32_e64 s[26:27], v85, v54
	s_or_b64 s[28:29], s[28:29], s[30:31]
	s_and_b64 s[26:27], s[26:27], s[28:29]
	s_xor_b64 s[28:29], s[26:27], -1
                                        ; implicit-def: $vgpr87
	s_and_saveexec_b64 s[30:31], s[28:29]
	s_xor_b64 s[28:29], exec, s[30:31]
	s_cbranch_execz .LBB28_224
; %bb.223:                              ;   in Loop: Header=BB28_2 Depth=1
	v_lshlrev_b32_e32 v87, 2, v86
	ds_read_b32 v87, v87 offset:4
.LBB28_224:                             ;   in Loop: Header=BB28_2 Depth=1
	s_or_saveexec_b64 s[28:29], s[28:29]
	v_mov_b32_e32 v88, v84
	s_xor_b64 exec, exec, s[28:29]
	s_cbranch_execz .LBB28_226
; %bb.225:                              ;   in Loop: Header=BB28_2 Depth=1
	s_waitcnt lgkmcnt(0)
	v_lshlrev_b32_e32 v87, 2, v85
	ds_read_b32 v88, v87 offset:4
	v_mov_b32_e32 v87, v83
.LBB28_226:                             ;   in Loop: Header=BB28_2 Depth=1
	s_or_b64 exec, exec, s[28:29]
	v_cndmask_b32_e64 v83, v83, v84, s[26:27]
	v_add_u32_e32 v84, 1, v85
	v_add_u32_e32 v89, 1, v86
	v_cndmask_b32_e64 v84, v85, v84, s[26:27]
	v_cndmask_b32_e64 v85, v89, v86, s[26:27]
	;; [unrolled: 1-line block ×4, first 2 shown]
	v_cmp_ge_i32_e64 s[16:17], v85, v53
	s_waitcnt lgkmcnt(0)
	v_cmp_lt_i32_e64 s[18:19], v88, v87
	v_cndmask_b32_e64 v71, v71, v72, s[14:15]
	v_cmp_lt_i32_e64 s[14:15], v84, v54
	s_or_b64 s[16:17], s[16:17], s[18:19]
	s_and_b64 s[14:15], s[14:15], s[16:17]
	v_cndmask_b32_e64 v81, v81, v82, s[24:25]
	v_cndmask_b32_e64 v79, v79, v80, s[22:23]
	v_cndmask_b32_e64 v77, v77, v78, s[20:21]
	v_cndmask_b32_e64 v72, v87, v88, s[14:15]
	s_barrier
	ds_write2_b32 v2, v71, v73 offset1:1
	ds_write2_b32 v2, v75, v77 offset0:2 offset1:3
	ds_write2_b32 v2, v79, v81 offset0:4 offset1:5
	;; [unrolled: 1-line block ×3, first 2 shown]
	v_mov_b32_e32 v75, v57
	s_waitcnt lgkmcnt(0)
	s_barrier
	s_and_saveexec_b64 s[16:17], s[12:13]
	s_cbranch_execz .LBB28_230
; %bb.227:                              ;   in Loop: Header=BB28_2 Depth=1
	s_mov_b64 s[18:19], 0
	v_mov_b32_e32 v75, v57
	v_mov_b32_e32 v71, v58
.LBB28_228:                             ;   Parent Loop BB28_2 Depth=1
                                        ; =>  This Inner Loop Header: Depth=2
	v_sub_u32_e32 v72, v71, v75
	v_lshrrev_b32_e32 v73, 31, v72
	v_add_u32_e32 v72, v72, v73
	v_ashrrev_i32_e32 v72, 1, v72
	v_add_u32_e32 v72, v72, v75
	v_xad_u32 v74, v72, -1, v1
	v_lshlrev_b32_e32 v73, 2, v72
	v_lshl_add_u32 v74, v74, 2, v69
	ds_read_b32 v73, v73
	ds_read_b32 v74, v74
	v_add_u32_e32 v76, 1, v72
	s_waitcnt lgkmcnt(0)
	v_cmp_lt_i32_e64 s[14:15], v74, v73
	s_nop 1
	v_cndmask_b32_e64 v71, v71, v72, s[14:15]
	v_cndmask_b32_e64 v75, v76, v75, s[14:15]
	v_cmp_ge_i32_e64 s[14:15], v75, v71
	s_or_b64 s[18:19], s[14:15], s[18:19]
	s_andn2_b64 exec, exec, s[18:19]
	s_cbranch_execnz .LBB28_228
; %bb.229:                              ;   in Loop: Header=BB28_2 Depth=1
	s_or_b64 exec, exec, s[18:19]
.LBB28_230:                             ;   in Loop: Header=BB28_2 Depth=1
	s_or_b64 exec, exec, s[16:17]
	v_sub_u32_e32 v76, v70, v75
	v_lshlrev_b32_e32 v78, 2, v75
	v_lshlrev_b32_e32 v77, 2, v76
	ds_read_b32 v71, v78
	ds_read_b32 v72, v77
	v_cmp_le_i32_e64 s[16:17], v50, v75
	v_cmp_gt_i32_e64 s[14:15], s33, v76
                                        ; implicit-def: $vgpr73
                                        ; implicit-def: $vgpr74
	s_waitcnt lgkmcnt(0)
	v_cmp_lt_i32_e64 s[18:19], v72, v71
	s_or_b64 s[16:17], s[16:17], s[18:19]
	s_and_b64 s[14:15], s[14:15], s[16:17]
	s_xor_b64 s[16:17], s[14:15], -1
	s_and_saveexec_b64 s[18:19], s[16:17]
	s_xor_b64 s[16:17], exec, s[18:19]
	s_cbranch_execz .LBB28_232
; %bb.231:                              ;   in Loop: Header=BB28_2 Depth=1
	ds_read_b32 v74, v78 offset:4
	v_mov_b32_e32 v73, v72
                                        ; implicit-def: $vgpr77
.LBB28_232:                             ;   in Loop: Header=BB28_2 Depth=1
	s_andn2_saveexec_b64 s[16:17], s[16:17]
	s_cbranch_execz .LBB28_234
; %bb.233:                              ;   in Loop: Header=BB28_2 Depth=1
	ds_read_b32 v73, v77 offset:4
	s_waitcnt lgkmcnt(1)
	v_mov_b32_e32 v74, v71
.LBB28_234:                             ;   in Loop: Header=BB28_2 Depth=1
	s_or_b64 exec, exec, s[16:17]
	v_add_u32_e32 v78, 1, v75
	v_add_u32_e32 v77, 1, v76
	v_cndmask_b32_e64 v78, v78, v75, s[14:15]
	v_cndmask_b32_e64 v77, v76, v77, s[14:15]
	v_cmp_ge_i32_e64 s[18:19], v78, v50
	s_waitcnt lgkmcnt(0)
	v_cmp_lt_i32_e64 s[20:21], v73, v74
	v_cmp_gt_i32_e64 s[16:17], s33, v77
	s_or_b64 s[18:19], s[18:19], s[20:21]
	s_and_b64 s[16:17], s[16:17], s[18:19]
	s_xor_b64 s[18:19], s[16:17], -1
                                        ; implicit-def: $vgpr75
	s_and_saveexec_b64 s[20:21], s[18:19]
	s_xor_b64 s[18:19], exec, s[20:21]
	s_cbranch_execz .LBB28_236
; %bb.235:                              ;   in Loop: Header=BB28_2 Depth=1
	v_lshlrev_b32_e32 v75, 2, v78
	ds_read_b32 v75, v75 offset:4
.LBB28_236:                             ;   in Loop: Header=BB28_2 Depth=1
	s_or_saveexec_b64 s[18:19], s[18:19]
	v_mov_b32_e32 v76, v73
	s_xor_b64 exec, exec, s[18:19]
	s_cbranch_execz .LBB28_238
; %bb.237:                              ;   in Loop: Header=BB28_2 Depth=1
	s_waitcnt lgkmcnt(0)
	v_lshlrev_b32_e32 v75, 2, v77
	ds_read_b32 v76, v75 offset:4
	v_mov_b32_e32 v75, v74
.LBB28_238:                             ;   in Loop: Header=BB28_2 Depth=1
	s_or_b64 exec, exec, s[18:19]
	v_add_u32_e32 v80, 1, v78
	v_add_u32_e32 v79, 1, v77
	v_cndmask_b32_e64 v80, v80, v78, s[16:17]
	v_cndmask_b32_e64 v79, v77, v79, s[16:17]
	v_cmp_ge_i32_e64 s[20:21], v80, v50
	s_waitcnt lgkmcnt(0)
	v_cmp_lt_i32_e64 s[22:23], v76, v75
	v_cmp_gt_i32_e64 s[18:19], s33, v79
	s_or_b64 s[20:21], s[20:21], s[22:23]
	s_and_b64 s[18:19], s[18:19], s[20:21]
	s_xor_b64 s[20:21], s[18:19], -1
                                        ; implicit-def: $vgpr77
	s_and_saveexec_b64 s[22:23], s[20:21]
	s_xor_b64 s[20:21], exec, s[22:23]
	s_cbranch_execz .LBB28_240
; %bb.239:                              ;   in Loop: Header=BB28_2 Depth=1
	v_lshlrev_b32_e32 v77, 2, v80
	ds_read_b32 v77, v77 offset:4
.LBB28_240:                             ;   in Loop: Header=BB28_2 Depth=1
	s_or_saveexec_b64 s[20:21], s[20:21]
	v_mov_b32_e32 v78, v76
	s_xor_b64 exec, exec, s[20:21]
	s_cbranch_execz .LBB28_242
; %bb.241:                              ;   in Loop: Header=BB28_2 Depth=1
	s_waitcnt lgkmcnt(0)
	v_lshlrev_b32_e32 v77, 2, v79
	ds_read_b32 v78, v77 offset:4
	v_mov_b32_e32 v77, v75
.LBB28_242:                             ;   in Loop: Header=BB28_2 Depth=1
	s_or_b64 exec, exec, s[20:21]
	v_add_u32_e32 v82, 1, v80
	v_add_u32_e32 v81, 1, v79
	v_cndmask_b32_e64 v80, v82, v80, s[18:19]
	v_cndmask_b32_e64 v79, v79, v81, s[18:19]
	v_cmp_ge_i32_e64 s[22:23], v80, v50
	s_waitcnt lgkmcnt(0)
	v_cmp_lt_i32_e64 s[24:25], v78, v77
	v_cmp_gt_i32_e64 s[20:21], s33, v79
	s_or_b64 s[22:23], s[22:23], s[24:25]
	s_and_b64 s[20:21], s[20:21], s[22:23]
	s_xor_b64 s[22:23], s[20:21], -1
                                        ; implicit-def: $vgpr81
	s_and_saveexec_b64 s[24:25], s[22:23]
	s_xor_b64 s[22:23], exec, s[24:25]
	s_cbranch_execz .LBB28_244
; %bb.243:                              ;   in Loop: Header=BB28_2 Depth=1
	v_lshlrev_b32_e32 v81, 2, v80
	ds_read_b32 v81, v81 offset:4
.LBB28_244:                             ;   in Loop: Header=BB28_2 Depth=1
	s_or_saveexec_b64 s[22:23], s[22:23]
	v_mov_b32_e32 v82, v78
	s_xor_b64 exec, exec, s[22:23]
	s_cbranch_execz .LBB28_246
; %bb.245:                              ;   in Loop: Header=BB28_2 Depth=1
	s_waitcnt lgkmcnt(0)
	v_lshlrev_b32_e32 v81, 2, v79
	ds_read_b32 v82, v81 offset:4
	v_mov_b32_e32 v81, v77
.LBB28_246:                             ;   in Loop: Header=BB28_2 Depth=1
	s_or_b64 exec, exec, s[22:23]
	v_add_u32_e32 v84, 1, v80
	v_add_u32_e32 v83, 1, v79
	v_cndmask_b32_e64 v80, v84, v80, s[20:21]
	v_cndmask_b32_e64 v79, v79, v83, s[20:21]
	v_cmp_ge_i32_e64 s[24:25], v80, v50
	s_waitcnt lgkmcnt(0)
	v_cmp_lt_i32_e64 s[26:27], v82, v81
	v_cmp_gt_i32_e64 s[22:23], s33, v79
	s_or_b64 s[24:25], s[24:25], s[26:27]
	s_and_b64 s[22:23], s[22:23], s[24:25]
	s_xor_b64 s[24:25], s[22:23], -1
                                        ; implicit-def: $vgpr83
	s_and_saveexec_b64 s[26:27], s[24:25]
	s_xor_b64 s[24:25], exec, s[26:27]
	s_cbranch_execz .LBB28_248
; %bb.247:                              ;   in Loop: Header=BB28_2 Depth=1
	v_lshlrev_b32_e32 v83, 2, v80
	ds_read_b32 v83, v83 offset:4
.LBB28_248:                             ;   in Loop: Header=BB28_2 Depth=1
	s_or_saveexec_b64 s[24:25], s[24:25]
	v_mov_b32_e32 v84, v82
	s_xor_b64 exec, exec, s[24:25]
	s_cbranch_execz .LBB28_250
; %bb.249:                              ;   in Loop: Header=BB28_2 Depth=1
	s_waitcnt lgkmcnt(0)
	v_lshlrev_b32_e32 v83, 2, v79
	ds_read_b32 v84, v83 offset:4
	v_mov_b32_e32 v83, v81
.LBB28_250:                             ;   in Loop: Header=BB28_2 Depth=1
	s_or_b64 exec, exec, s[24:25]
	v_add_u32_e32 v86, 1, v80
	v_add_u32_e32 v85, 1, v79
	v_cndmask_b32_e64 v80, v86, v80, s[22:23]
	v_cndmask_b32_e64 v79, v79, v85, s[22:23]
	v_cmp_ge_i32_e64 s[26:27], v80, v50
	s_waitcnt lgkmcnt(0)
	v_cmp_lt_i32_e64 s[28:29], v84, v83
	v_cmp_gt_i32_e64 s[24:25], s33, v79
	s_or_b64 s[26:27], s[26:27], s[28:29]
	s_and_b64 s[24:25], s[24:25], s[26:27]
	s_xor_b64 s[26:27], s[24:25], -1
                                        ; implicit-def: $vgpr85
	s_and_saveexec_b64 s[28:29], s[26:27]
	s_xor_b64 s[26:27], exec, s[28:29]
	s_cbranch_execz .LBB28_252
; %bb.251:                              ;   in Loop: Header=BB28_2 Depth=1
	v_lshlrev_b32_e32 v85, 2, v80
	ds_read_b32 v85, v85 offset:4
.LBB28_252:                             ;   in Loop: Header=BB28_2 Depth=1
	s_or_saveexec_b64 s[26:27], s[26:27]
	v_mov_b32_e32 v86, v84
	s_xor_b64 exec, exec, s[26:27]
	s_cbranch_execz .LBB28_254
; %bb.253:                              ;   in Loop: Header=BB28_2 Depth=1
	s_waitcnt lgkmcnt(0)
	v_lshlrev_b32_e32 v85, 2, v79
	ds_read_b32 v86, v85 offset:4
	v_mov_b32_e32 v85, v83
.LBB28_254:                             ;   in Loop: Header=BB28_2 Depth=1
	s_or_b64 exec, exec, s[26:27]
	v_add_u32_e32 v87, 1, v79
	v_add_u32_e32 v88, 1, v80
	v_cndmask_b32_e64 v87, v79, v87, s[24:25]
	v_cndmask_b32_e64 v79, v88, v80, s[24:25]
	v_cmp_ge_i32_e64 s[28:29], v79, v50
	s_waitcnt lgkmcnt(0)
	v_cmp_lt_i32_e64 s[30:31], v86, v85
	v_cmp_gt_i32_e64 s[26:27], s33, v87
	s_or_b64 s[28:29], s[28:29], s[30:31]
	s_and_b64 s[26:27], s[26:27], s[28:29]
	s_xor_b64 s[28:29], s[26:27], -1
                                        ; implicit-def: $vgpr88
                                        ; implicit-def: $vgpr89
	s_and_saveexec_b64 s[30:31], s[28:29]
	s_xor_b64 s[28:29], exec, s[30:31]
	s_cbranch_execz .LBB28_256
; %bb.255:                              ;   in Loop: Header=BB28_2 Depth=1
	v_lshlrev_b32_e32 v80, 2, v79
	ds_read_b32 v88, v80 offset:4
	v_add_u32_e32 v89, 1, v79
                                        ; implicit-def: $vgpr79
.LBB28_256:                             ;   in Loop: Header=BB28_2 Depth=1
	s_or_saveexec_b64 s[28:29], s[28:29]
	v_mov_b32_e32 v90, v86
	s_xor_b64 exec, exec, s[28:29]
	s_cbranch_execz .LBB28_1
; %bb.257:                              ;   in Loop: Header=BB28_2 Depth=1
	v_lshlrev_b32_e32 v80, 2, v87
	ds_read_b32 v90, v80 offset:4
	v_add_u32_e32 v87, 1, v87
	v_mov_b32_e32 v89, v79
	s_waitcnt lgkmcnt(1)
	v_mov_b32_e32 v88, v85
	s_branch .LBB28_1
.LBB28_258:
	s_add_u32 s0, s38, s40
	s_addc_u32 s1, s39, s41
	v_lshlrev_b32_e32 v0, 2, v0
	v_mov_b32_e32 v1, 0
	v_lshl_add_u64 v[2:3], s[0:1], 0, v[0:1]
	global_store_dword v0, v80, s[0:1]
	global_store_dword v0, v79, s[0:1] offset:1024
	global_store_dword v0, v74, s[0:1] offset:2048
	;; [unrolled: 1-line block ×3, first 2 shown]
	v_add_co_u32_e32 v0, vcc, 0x1000, v2
	s_nop 1
	v_addc_co_u32_e32 v1, vcc, 0, v3, vcc
	global_store_dword v[0:1], v72, off
	global_store_dword v[0:1], v73, off offset:1024
	global_store_dword v[0:1], v71, off offset:2048
	global_store_dword v[0:1], v76, off offset:3072
	s_endpgm
	.section	.rodata,"a",@progbits
	.p2align	6, 0x0
	.amdhsa_kernel _Z16sort_keys_kernelIiLj256ELj8EN10test_utils4lessELj10EEvPKT_PS2_T2_
		.amdhsa_group_segment_fixed_size 8196
		.amdhsa_private_segment_fixed_size 0
		.amdhsa_kernarg_size 20
		.amdhsa_user_sgpr_count 2
		.amdhsa_user_sgpr_dispatch_ptr 0
		.amdhsa_user_sgpr_queue_ptr 0
		.amdhsa_user_sgpr_kernarg_segment_ptr 1
		.amdhsa_user_sgpr_dispatch_id 0
		.amdhsa_user_sgpr_kernarg_preload_length 0
		.amdhsa_user_sgpr_kernarg_preload_offset 0
		.amdhsa_user_sgpr_private_segment_size 0
		.amdhsa_uses_dynamic_stack 0
		.amdhsa_enable_private_segment 0
		.amdhsa_system_sgpr_workgroup_id_x 1
		.amdhsa_system_sgpr_workgroup_id_y 0
		.amdhsa_system_sgpr_workgroup_id_z 0
		.amdhsa_system_sgpr_workgroup_info 0
		.amdhsa_system_vgpr_workitem_id 0
		.amdhsa_next_free_vgpr 91
		.amdhsa_next_free_sgpr 42
		.amdhsa_accum_offset 92
		.amdhsa_reserve_vcc 1
		.amdhsa_float_round_mode_32 0
		.amdhsa_float_round_mode_16_64 0
		.amdhsa_float_denorm_mode_32 3
		.amdhsa_float_denorm_mode_16_64 3
		.amdhsa_dx10_clamp 1
		.amdhsa_ieee_mode 1
		.amdhsa_fp16_overflow 0
		.amdhsa_tg_split 0
		.amdhsa_exception_fp_ieee_invalid_op 0
		.amdhsa_exception_fp_denorm_src 0
		.amdhsa_exception_fp_ieee_div_zero 0
		.amdhsa_exception_fp_ieee_overflow 0
		.amdhsa_exception_fp_ieee_underflow 0
		.amdhsa_exception_fp_ieee_inexact 0
		.amdhsa_exception_int_div_zero 0
	.end_amdhsa_kernel
	.section	.text._Z16sort_keys_kernelIiLj256ELj8EN10test_utils4lessELj10EEvPKT_PS2_T2_,"axG",@progbits,_Z16sort_keys_kernelIiLj256ELj8EN10test_utils4lessELj10EEvPKT_PS2_T2_,comdat
.Lfunc_end28:
	.size	_Z16sort_keys_kernelIiLj256ELj8EN10test_utils4lessELj10EEvPKT_PS2_T2_, .Lfunc_end28-_Z16sort_keys_kernelIiLj256ELj8EN10test_utils4lessELj10EEvPKT_PS2_T2_
                                        ; -- End function
	.section	.AMDGPU.csdata,"",@progbits
; Kernel info:
; codeLenInByte = 11452
; NumSgprs: 48
; NumVgprs: 91
; NumAgprs: 0
; TotalNumVgprs: 91
; ScratchSize: 0
; MemoryBound: 0
; FloatMode: 240
; IeeeMode: 1
; LDSByteSize: 8196 bytes/workgroup (compile time only)
; SGPRBlocks: 5
; VGPRBlocks: 11
; NumSGPRsForWavesPerEU: 48
; NumVGPRsForWavesPerEU: 91
; AccumOffset: 92
; Occupancy: 5
; WaveLimiterHint : 1
; COMPUTE_PGM_RSRC2:SCRATCH_EN: 0
; COMPUTE_PGM_RSRC2:USER_SGPR: 2
; COMPUTE_PGM_RSRC2:TRAP_HANDLER: 0
; COMPUTE_PGM_RSRC2:TGID_X_EN: 1
; COMPUTE_PGM_RSRC2:TGID_Y_EN: 0
; COMPUTE_PGM_RSRC2:TGID_Z_EN: 0
; COMPUTE_PGM_RSRC2:TIDIG_COMP_CNT: 0
; COMPUTE_PGM_RSRC3_GFX90A:ACCUM_OFFSET: 22
; COMPUTE_PGM_RSRC3_GFX90A:TG_SPLIT: 0
	.section	.text._Z17sort_pairs_kernelIiLj256ELj8EN10test_utils4lessELj10EEvPKT_PS2_T2_,"axG",@progbits,_Z17sort_pairs_kernelIiLj256ELj8EN10test_utils4lessELj10EEvPKT_PS2_T2_,comdat
	.protected	_Z17sort_pairs_kernelIiLj256ELj8EN10test_utils4lessELj10EEvPKT_PS2_T2_ ; -- Begin function _Z17sort_pairs_kernelIiLj256ELj8EN10test_utils4lessELj10EEvPKT_PS2_T2_
	.globl	_Z17sort_pairs_kernelIiLj256ELj8EN10test_utils4lessELj10EEvPKT_PS2_T2_
	.p2align	8
	.type	_Z17sort_pairs_kernelIiLj256ELj8EN10test_utils4lessELj10EEvPKT_PS2_T2_,@function
_Z17sort_pairs_kernelIiLj256ELj8EN10test_utils4lessELj10EEvPKT_PS2_T2_: ; @_Z17sort_pairs_kernelIiLj256ELj8EN10test_utils4lessELj10EEvPKT_PS2_T2_
; %bb.0:
	s_load_dwordx4 s[88:91], s[0:1], 0x0
	s_lshl_b32 s94, s2, 11
	s_mov_b32 s95, 0
	s_lshl_b64 s[92:93], s[94:95], 2
	v_mov_b32_e32 v3, 0
	s_waitcnt lgkmcnt(0)
	s_add_u32 s0, s88, s92
	s_addc_u32 s1, s89, s93
	v_lshlrev_b32_e32 v2, 2, v0
	v_lshl_add_u64 v[4:5], s[0:1], 0, v[2:3]
	global_load_dword v81, v2, s[0:1]
	global_load_dword v83, v2, s[0:1] offset:1024
	global_load_dword v80, v2, s[0:1] offset:2048
	;; [unrolled: 1-line block ×3, first 2 shown]
	s_movk_i32 s0, 0x1000
	v_add_co_u32_e32 v2, vcc, s0, v4
	v_lshlrev_b32_e32 v1, 3, v0
	s_nop 0
	v_addc_co_u32_e32 v3, vcc, 0, v5, vcc
	global_load_dword v84, v[2:3], off
	global_load_dword v79, v[2:3], off offset:1024
	global_load_dword v85, v[2:3], off offset:2048
	;; [unrolled: 1-line block ×3, first 2 shown]
	v_and_b32_e32 v3, 0x7f0, v1
	v_and_b32_e32 v5, 0x7e0, v1
	v_or_b32_e32 v13, 8, v3
	v_add_u32_e32 v14, 16, v3
	v_and_b32_e32 v4, 8, v1
	v_and_b32_e32 v7, 0x7c0, v1
	v_or_b32_e32 v16, 16, v5
	v_add_u32_e32 v17, 32, v5
	v_sub_u32_e32 v30, v14, v13
	v_and_b32_e32 v6, 24, v1
	v_and_b32_e32 v9, 0x780, v1
	v_or_b32_e32 v18, 32, v7
	v_add_u32_e32 v19, 64, v7
	v_sub_u32_e32 v31, v17, v16
	v_sub_u32_e32 v36, v4, v30
	v_cmp_ge_i32_e32 vcc, v4, v30
	v_and_b32_e32 v8, 56, v1
	v_and_b32_e32 v11, 0x700, v1
	v_or_b32_e32 v20, 64, v9
	v_add_u32_e32 v21, 0x80, v9
	v_sub_u32_e32 v32, v19, v18
	v_sub_u32_e32 v37, v6, v31
	v_cndmask_b32_e32 v30, 0, v36, vcc
	v_cmp_ge_i32_e32 vcc, v6, v31
	v_and_b32_e32 v10, 0x78, v1
	v_or_b32_e32 v22, 0x80, v11
	v_add_u32_e32 v23, 0x100, v11
	v_sub_u32_e32 v33, v21, v20
	v_sub_u32_e32 v38, v8, v32
	v_cndmask_b32_e32 v31, 0, v37, vcc
	v_cmp_ge_i32_e32 vcc, v8, v32
	v_and_b32_e32 v12, 0xf8, v1
	v_sub_u32_e32 v34, v23, v22
	v_sub_u32_e32 v39, v10, v33
	v_cndmask_b32_e32 v32, 0, v38, vcc
	v_cmp_ge_i32_e32 vcc, v10, v33
	v_and_b32_e32 v36, 0x600, v1
	v_sub_u32_e32 v40, v12, v34
	v_cndmask_b32_e32 v33, 0, v39, vcc
	v_cmp_ge_i32_e32 vcc, v12, v34
	v_or_b32_e32 v38, 0x100, v36
	v_add_u32_e32 v39, 0x200, v36
	v_and_b32_e32 v43, 0x400, v1
	v_cndmask_b32_e32 v34, 0, v40, vcc
	v_and_b32_e32 v37, 0x1f8, v1
	v_sub_u32_e32 v40, v39, v38
	v_or_b32_e32 v45, 0x200, v43
	v_add_u32_e32 v46, 0x400, v43
	v_sub_u32_e32 v42, v37, v40
	v_cmp_ge_i32_e64 s[8:9], v37, v40
	v_and_b32_e32 v44, 0x3f8, v1
	v_sub_u32_e32 v47, v46, v45
	v_sub_u32_e32 v26, v13, v3
	;; [unrolled: 1-line block ×7, first 2 shown]
	v_cndmask_b32_e64 v40, 0, v42, s[8:9]
	v_mov_b32_e32 v42, 0x400
	v_sub_u32_e32 v48, v45, v43
	v_sub_u32_e32 v49, v44, v47
	v_cmp_ge_i32_e64 s[10:11], v44, v47
	v_min_i32_e32 v26, v4, v26
	v_min_i32_e32 v27, v6, v27
	;; [unrolled: 1-line block ×6, first 2 shown]
	v_cndmask_b32_e64 v47, 0, v49, s[10:11]
	v_min_i32_e32 v48, v44, v48
	v_sub_u32_e64 v49, v1, v42 clamp
	v_min_i32_e32 v50, 0x400, v1
	v_lshlrev_b32_e32 v2, 5, v0
	v_lshlrev_b32_e32 v15, 2, v3
	;; [unrolled: 1-line block ×3, first 2 shown]
	v_add_u32_e32 v25, v13, v4
	v_cmp_lt_i32_e32 vcc, v30, v26
	v_cmp_lt_i32_e64 s[0:1], v31, v27
	v_cmp_lt_i32_e64 s[2:3], v32, v28
	;; [unrolled: 1-line block ×3, first 2 shown]
	s_waitcnt vmcnt(7)
	v_add_u32_e32 v70, 1, v81
	s_waitcnt vmcnt(6)
	v_add_u32_e32 v74, 1, v83
	;; [unrolled: 2-line block ×8, first 2 shown]
	v_cmp_lt_i32_e64 s[6:7], v34, v35
	v_cmp_lt_i32_e64 s[8:9], v40, v41
	;; [unrolled: 1-line block ×4, first 2 shown]
	s_movk_i32 s33, 0x800
	v_lshlrev_b32_e32 v51, 2, v5
	v_lshlrev_b32_e32 v52, 2, v16
	v_add_u32_e32 v53, v16, v6
	v_lshlrev_b32_e32 v54, 2, v7
	v_lshlrev_b32_e32 v55, 2, v18
	v_add_u32_e32 v56, v18, v8
	;; [unrolled: 3-line block ×6, first 2 shown]
	v_add_u32_e32 v69, 0x400, v1
	s_branch .LBB29_2
.LBB29_1:                               ;   in Loop: Header=BB29_2 Depth=1
	s_or_b64 exec, exec, s[28:29]
	v_cndmask_b32_e64 v81, v80, v81, s[14:15]
	v_cndmask_b32_e64 v83, v83, v82, s[16:17]
	;; [unrolled: 1-line block ×5, first 2 shown]
	v_cmp_ge_i32_e64 s[16:17], v106, v42
	s_waitcnt lgkmcnt(0)
	v_cmp_lt_i32_e64 s[18:19], v109, v107
	v_cndmask_b32_e64 v79, v78, v79, s[14:15]
	v_cmp_gt_i32_e64 s[14:15], s33, v104
	s_or_b64 s[16:17], s[16:17], s[18:19]
	v_cndmask_b32_e64 v82, v90, v91, s[20:21]
	v_cndmask_b32_e64 v87, v103, v102, s[22:23]
	;; [unrolled: 1-line block ×4, first 2 shown]
	s_and_b64 s[14:15], s[14:15], s[16:17]
	v_cndmask_b32_e64 v86, v106, v104, s[14:15]
	s_barrier
	ds_write2_b32 v2, v70, v71 offset1:1
	ds_write2_b32 v2, v72, v73 offset0:2 offset1:3
	ds_write2_b32 v2, v74, v75 offset0:4 offset1:5
	;; [unrolled: 1-line block ×3, first 2 shown]
	v_lshlrev_b32_e32 v70, 2, v79
	v_lshlrev_b32_e32 v71, 2, v85
	;; [unrolled: 1-line block ×6, first 2 shown]
	s_waitcnt lgkmcnt(0)
	s_barrier
	v_lshlrev_b32_e32 v79, 2, v105
	v_lshlrev_b32_e32 v85, 2, v86
	ds_read_b32 v70, v70
	ds_read_b32 v74, v71
	;; [unrolled: 1-line block ×8, first 2 shown]
	s_add_i32 s95, s95, 1
	v_cndmask_b32_e64 v84, v95, v97, s[24:25]
	v_cndmask_b32_e64 v78, v107, v109, s[14:15]
	;; [unrolled: 1-line block ×3, first 2 shown]
	s_cmp_eq_u32 s95, 10
	v_cndmask_b32_e64 v85, v100, v101, s[26:27]
	s_cbranch_scc1 .LBB29_258
.LBB29_2:                               ; =>This Loop Header: Depth=1
                                        ;     Child Loop BB29_4 Depth 2
                                        ;     Child Loop BB29_36 Depth 2
	;; [unrolled: 1-line block ×8, first 2 shown]
	v_cmp_lt_i32_e64 s[14:15], v83, v81
	v_cmp_lt_i32_e64 s[16:17], v82, v80
	v_cmp_lt_i32_e64 s[18:19], v79, v84
	v_cmp_lt_i32_e64 s[20:21], v78, v85
	v_cndmask_b32_e64 v86, v81, v83, s[14:15]
	v_cndmask_b32_e64 v81, v83, v81, s[14:15]
	v_cndmask_b32_e64 v83, v82, v80, s[16:17]
	v_cndmask_b32_e64 v80, v80, v82, s[16:17]
	v_cndmask_b32_e64 v82, v79, v84, s[18:19]
	v_cndmask_b32_e64 v79, v84, v79, s[18:19]
	v_cndmask_b32_e64 v84, v78, v85, s[20:21]
	v_cndmask_b32_e64 v78, v85, v78, s[20:21]
	v_cmp_lt_i32_e64 s[22:23], v80, v81
	v_cmp_lt_i32_e64 s[24:25], v79, v83
	v_cmp_lt_i32_e64 s[26:27], v78, v82
	v_cndmask_b32_e64 v85, v80, v81, s[22:23]
	v_cndmask_b32_e64 v80, v81, v80, s[22:23]
	v_cndmask_b32_e64 v81, v79, v83, s[24:25]
	v_cndmask_b32_e64 v79, v83, v79, s[24:25]
	v_cndmask_b32_e64 v83, v78, v82, s[26:27]
	v_cndmask_b32_e64 v78, v82, v78, s[26:27]
	v_cmp_lt_i32_e64 s[28:29], v80, v86
	v_cmp_lt_i32_e64 s[30:31], v79, v85
	v_cmp_lt_i32_e64 s[34:35], v78, v81
	v_cmp_lt_i32_e64 s[36:37], v84, v83
	v_cndmask_b32_e64 v82, v86, v80, s[28:29]
	v_cndmask_b32_e64 v80, v80, v86, s[28:29]
	v_cndmask_b32_e64 v86, v79, v85, s[30:31]
	v_cndmask_b32_e64 v79, v85, v79, s[30:31]
	v_cndmask_b32_e64 v85, v78, v81, s[34:35]
	v_cndmask_b32_e64 v78, v81, v78, s[34:35]
	v_cndmask_b32_e64 v81, v84, v83, s[36:37]
	v_cndmask_b32_e64 v83, v83, v84, s[36:37]
	v_cmp_lt_i32_e64 s[38:39], v79, v80
	v_cmp_lt_i32_e64 s[40:41], v78, v86
	v_cmp_lt_i32_e64 s[42:43], v83, v85
	v_cndmask_b32_e64 v84, v79, v80, s[38:39]
	v_cndmask_b32_e64 v79, v80, v79, s[38:39]
	v_cndmask_b32_e64 v80, v78, v86, s[40:41]
	v_cndmask_b32_e64 v78, v86, v78, s[40:41]
	v_cndmask_b32_e64 v86, v83, v85, s[42:43]
	v_cndmask_b32_e64 v83, v85, v83, s[42:43]
	;; [unrolled: 21-line block ×3, first 2 shown]
	v_cmp_lt_i32_e64 s[58:59], v78, v85
	v_cmp_lt_i32_e64 s[60:61], v80, v86
	;; [unrolled: 1-line block ×3, first 2 shown]
	v_cndmask_b32_e64 v84, v85, v78, s[58:59]
	v_cndmask_b32_e64 v78, v78, v85, s[58:59]
	;; [unrolled: 1-line block ×6, first 2 shown]
	v_cmp_lt_i32_e64 s[64:65], v83, v82
	v_cmp_lt_i32_e64 s[66:67], v80, v78
	;; [unrolled: 1-line block ×3, first 2 shown]
	v_cndmask_b32_e64 v81, v83, v82, s[64:65]
	v_cndmask_b32_e64 v82, v82, v83, s[64:65]
	;; [unrolled: 1-line block ×5, first 2 shown]
	v_cmp_lt_i32_e64 s[70:71], v82, v86
	v_cndmask_b32_e64 v79, v85, v79, s[68:69]
	s_nop 0
	v_cndmask_b32_e64 v85, v82, v86, s[70:71]
	v_cndmask_b32_e64 v82, v86, v82, s[70:71]
	s_barrier
	ds_write2_b32 v2, v84, v78 offset1:1
	ds_write2_b32 v2, v83, v79 offset0:2 offset1:3
	ds_write2_b32 v2, v80, v82 offset0:4 offset1:5
	;; [unrolled: 1-line block ×3, first 2 shown]
	v_mov_b32_e32 v80, v30
	s_waitcnt lgkmcnt(0)
	s_barrier
	s_and_saveexec_b64 s[74:75], vcc
	s_cbranch_execz .LBB29_6
; %bb.3:                                ;   in Loop: Header=BB29_2 Depth=1
	s_mov_b64 s[76:77], 0
	v_mov_b32_e32 v80, v30
	v_mov_b32_e32 v78, v26
.LBB29_4:                               ;   Parent Loop BB29_2 Depth=1
                                        ; =>  This Inner Loop Header: Depth=2
	v_sub_u32_e32 v79, v78, v80
	v_lshrrev_b32_e32 v81, 31, v79
	v_add_u32_e32 v79, v79, v81
	v_ashrrev_i32_e32 v79, 1, v79
	v_add_u32_e32 v79, v79, v80
	v_xad_u32 v82, v79, -1, v4
	v_lshl_add_u32 v81, v79, 2, v15
	v_lshl_add_u32 v82, v82, 2, v24
	ds_read_b32 v81, v81
	ds_read_b32 v82, v82
	v_add_u32_e32 v83, 1, v79
	s_waitcnt lgkmcnt(0)
	v_cmp_lt_i32_e64 s[72:73], v82, v81
	s_nop 1
	v_cndmask_b32_e64 v78, v78, v79, s[72:73]
	v_cndmask_b32_e64 v80, v83, v80, s[72:73]
	v_cmp_ge_i32_e64 s[72:73], v80, v78
	s_or_b64 s[76:77], s[72:73], s[76:77]
	s_andn2_b64 exec, exec, s[76:77]
	s_cbranch_execnz .LBB29_4
; %bb.5:                                ;   in Loop: Header=BB29_2 Depth=1
	s_or_b64 exec, exec, s[76:77]
.LBB29_6:                               ;   in Loop: Header=BB29_2 Depth=1
	s_or_b64 exec, exec, s[74:75]
	v_sub_u32_e32 v78, v25, v80
	v_lshl_add_u32 v85, v80, 2, v15
	v_lshlrev_b32_e32 v84, 2, v78
	ds_read_b32 v79, v85
	ds_read_b32 v81, v84
	v_add_u32_e32 v80, v80, v3
	v_cmp_le_i32_e64 s[74:75], v13, v80
	v_cmp_gt_i32_e64 s[72:73], v14, v78
                                        ; implicit-def: $vgpr82
                                        ; implicit-def: $vgpr83
	s_waitcnt lgkmcnt(0)
	v_cmp_lt_i32_e64 s[76:77], v81, v79
	s_or_b64 s[74:75], s[74:75], s[76:77]
	s_and_b64 s[72:73], s[72:73], s[74:75]
	s_xor_b64 s[74:75], s[72:73], -1
	s_and_saveexec_b64 s[76:77], s[74:75]
	s_xor_b64 s[74:75], exec, s[76:77]
	s_cbranch_execz .LBB29_8
; %bb.7:                                ;   in Loop: Header=BB29_2 Depth=1
	ds_read_b32 v83, v85 offset:4
	v_mov_b32_e32 v82, v81
                                        ; implicit-def: $vgpr84
.LBB29_8:                               ;   in Loop: Header=BB29_2 Depth=1
	s_andn2_saveexec_b64 s[74:75], s[74:75]
	s_cbranch_execz .LBB29_10
; %bb.9:                                ;   in Loop: Header=BB29_2 Depth=1
	ds_read_b32 v82, v84 offset:4
	s_waitcnt lgkmcnt(1)
	v_mov_b32_e32 v83, v79
.LBB29_10:                              ;   in Loop: Header=BB29_2 Depth=1
	s_or_b64 exec, exec, s[74:75]
	v_add_u32_e32 v85, 1, v80
	v_add_u32_e32 v84, 1, v78
	v_cndmask_b32_e64 v85, v85, v80, s[72:73]
	v_cndmask_b32_e64 v84, v78, v84, s[72:73]
	v_cmp_ge_i32_e64 s[76:77], v85, v13
	s_waitcnt lgkmcnt(0)
	v_cmp_lt_i32_e64 s[78:79], v82, v83
	v_cmp_lt_i32_e64 s[74:75], v84, v14
	s_or_b64 s[76:77], s[76:77], s[78:79]
	s_and_b64 s[74:75], s[74:75], s[76:77]
	s_xor_b64 s[76:77], s[74:75], -1
                                        ; implicit-def: $vgpr86
	s_and_saveexec_b64 s[78:79], s[76:77]
	s_xor_b64 s[76:77], exec, s[78:79]
	s_cbranch_execz .LBB29_12
; %bb.11:                               ;   in Loop: Header=BB29_2 Depth=1
	v_lshlrev_b32_e32 v86, 2, v85
	ds_read_b32 v86, v86 offset:4
.LBB29_12:                              ;   in Loop: Header=BB29_2 Depth=1
	s_or_saveexec_b64 s[76:77], s[76:77]
	v_mov_b32_e32 v87, v82
	s_xor_b64 exec, exec, s[76:77]
	s_cbranch_execz .LBB29_14
; %bb.13:                               ;   in Loop: Header=BB29_2 Depth=1
	s_waitcnt lgkmcnt(0)
	v_lshlrev_b32_e32 v86, 2, v84
	ds_read_b32 v87, v86 offset:4
	v_mov_b32_e32 v86, v83
.LBB29_14:                              ;   in Loop: Header=BB29_2 Depth=1
	s_or_b64 exec, exec, s[76:77]
	v_add_u32_e32 v89, 1, v85
	v_add_u32_e32 v88, 1, v84
	v_cndmask_b32_e64 v89, v89, v85, s[74:75]
	v_cndmask_b32_e64 v88, v84, v88, s[74:75]
	v_cmp_ge_i32_e64 s[78:79], v89, v13
	s_waitcnt lgkmcnt(0)
	v_cmp_lt_i32_e64 s[80:81], v87, v86
	v_cmp_lt_i32_e64 s[76:77], v88, v14
	s_or_b64 s[78:79], s[78:79], s[80:81]
	s_and_b64 s[76:77], s[76:77], s[78:79]
	s_xor_b64 s[78:79], s[76:77], -1
                                        ; implicit-def: $vgpr90
	s_and_saveexec_b64 s[80:81], s[78:79]
	s_xor_b64 s[78:79], exec, s[80:81]
	s_cbranch_execz .LBB29_16
; %bb.15:                               ;   in Loop: Header=BB29_2 Depth=1
	v_lshlrev_b32_e32 v90, 2, v89
	ds_read_b32 v90, v90 offset:4
.LBB29_16:                              ;   in Loop: Header=BB29_2 Depth=1
	s_or_saveexec_b64 s[78:79], s[78:79]
	v_mov_b32_e32 v91, v87
	s_xor_b64 exec, exec, s[78:79]
	s_cbranch_execz .LBB29_18
; %bb.17:                               ;   in Loop: Header=BB29_2 Depth=1
	s_waitcnt lgkmcnt(0)
	v_lshlrev_b32_e32 v90, 2, v88
	ds_read_b32 v91, v90 offset:4
	v_mov_b32_e32 v90, v86
.LBB29_18:                              ;   in Loop: Header=BB29_2 Depth=1
	s_or_b64 exec, exec, s[78:79]
	v_add_u32_e32 v93, 1, v89
	v_add_u32_e32 v92, 1, v88
	v_cndmask_b32_e64 v93, v93, v89, s[76:77]
	v_cndmask_b32_e64 v92, v88, v92, s[76:77]
	v_cmp_ge_i32_e64 s[80:81], v93, v13
	s_waitcnt lgkmcnt(0)
	v_cmp_lt_i32_e64 s[82:83], v91, v90
	v_cmp_lt_i32_e64 s[78:79], v92, v14
	s_or_b64 s[80:81], s[80:81], s[82:83]
	s_and_b64 s[78:79], s[78:79], s[80:81]
	s_xor_b64 s[80:81], s[78:79], -1
                                        ; implicit-def: $vgpr94
	s_and_saveexec_b64 s[82:83], s[80:81]
	s_xor_b64 s[80:81], exec, s[82:83]
	s_cbranch_execz .LBB29_20
; %bb.19:                               ;   in Loop: Header=BB29_2 Depth=1
	v_lshlrev_b32_e32 v94, 2, v93
	ds_read_b32 v94, v94 offset:4
.LBB29_20:                              ;   in Loop: Header=BB29_2 Depth=1
	s_or_saveexec_b64 s[80:81], s[80:81]
	v_mov_b32_e32 v95, v91
	s_xor_b64 exec, exec, s[80:81]
	s_cbranch_execz .LBB29_22
; %bb.21:                               ;   in Loop: Header=BB29_2 Depth=1
	s_waitcnt lgkmcnt(0)
	v_lshlrev_b32_e32 v94, 2, v92
	ds_read_b32 v95, v94 offset:4
	v_mov_b32_e32 v94, v90
.LBB29_22:                              ;   in Loop: Header=BB29_2 Depth=1
	s_or_b64 exec, exec, s[80:81]
	v_add_u32_e32 v97, 1, v93
	v_add_u32_e32 v96, 1, v92
	v_cndmask_b32_e64 v97, v97, v93, s[78:79]
	v_cndmask_b32_e64 v96, v92, v96, s[78:79]
	v_cmp_ge_i32_e64 s[82:83], v97, v13
	s_waitcnt lgkmcnt(0)
	v_cmp_lt_i32_e64 s[84:85], v95, v94
	v_cmp_lt_i32_e64 s[80:81], v96, v14
	s_or_b64 s[82:83], s[82:83], s[84:85]
	s_and_b64 s[80:81], s[80:81], s[82:83]
	s_xor_b64 s[82:83], s[80:81], -1
                                        ; implicit-def: $vgpr98
	s_and_saveexec_b64 s[84:85], s[82:83]
	s_xor_b64 s[82:83], exec, s[84:85]
	s_cbranch_execz .LBB29_24
; %bb.23:                               ;   in Loop: Header=BB29_2 Depth=1
	v_lshlrev_b32_e32 v98, 2, v97
	ds_read_b32 v98, v98 offset:4
.LBB29_24:                              ;   in Loop: Header=BB29_2 Depth=1
	s_or_saveexec_b64 s[82:83], s[82:83]
	v_mov_b32_e32 v100, v95
	s_xor_b64 exec, exec, s[82:83]
	s_cbranch_execz .LBB29_26
; %bb.25:                               ;   in Loop: Header=BB29_2 Depth=1
	s_waitcnt lgkmcnt(0)
	v_lshlrev_b32_e32 v98, 2, v96
	ds_read_b32 v100, v98 offset:4
	v_mov_b32_e32 v98, v94
.LBB29_26:                              ;   in Loop: Header=BB29_2 Depth=1
	s_or_b64 exec, exec, s[82:83]
	v_add_u32_e32 v102, 1, v97
	v_add_u32_e32 v99, 1, v96
	v_cndmask_b32_e64 v102, v102, v97, s[80:81]
	v_cndmask_b32_e64 v101, v96, v99, s[80:81]
	v_cmp_ge_i32_e64 s[84:85], v102, v13
	s_waitcnt lgkmcnt(0)
	v_cmp_lt_i32_e64 s[86:87], v100, v98
	v_cmp_lt_i32_e64 s[82:83], v101, v14
	s_or_b64 s[84:85], s[84:85], s[86:87]
	s_and_b64 s[82:83], s[82:83], s[84:85]
	s_xor_b64 s[84:85], s[82:83], -1
                                        ; implicit-def: $vgpr104
	s_and_saveexec_b64 s[86:87], s[84:85]
	s_xor_b64 s[84:85], exec, s[86:87]
	s_cbranch_execz .LBB29_28
; %bb.27:                               ;   in Loop: Header=BB29_2 Depth=1
	v_lshlrev_b32_e32 v99, 2, v102
	ds_read_b32 v104, v99 offset:4
.LBB29_28:                              ;   in Loop: Header=BB29_2 Depth=1
	s_or_saveexec_b64 s[84:85], s[84:85]
	v_mov_b32_e32 v105, v100
	s_xor_b64 exec, exec, s[84:85]
	s_cbranch_execz .LBB29_30
; %bb.29:                               ;   in Loop: Header=BB29_2 Depth=1
	v_lshlrev_b32_e32 v99, 2, v101
	ds_read_b32 v105, v99 offset:4
	s_waitcnt lgkmcnt(1)
	v_mov_b32_e32 v104, v98
.LBB29_30:                              ;   in Loop: Header=BB29_2 Depth=1
	s_or_b64 exec, exec, s[84:85]
	v_add_u32_e32 v103, 1, v102
	v_add_u32_e32 v99, 1, v101
	v_cndmask_b32_e64 v107, v103, v102, s[82:83]
	v_cndmask_b32_e64 v106, v101, v99, s[82:83]
	v_cmp_ge_i32_e64 s[86:87], v107, v13
	s_waitcnt lgkmcnt(0)
	v_cmp_lt_i32_e64 s[88:89], v105, v104
	v_cmp_lt_i32_e64 s[84:85], v106, v14
	s_or_b64 s[86:87], s[86:87], s[88:89]
	s_and_b64 s[84:85], s[84:85], s[86:87]
	s_xor_b64 s[86:87], s[84:85], -1
                                        ; implicit-def: $vgpr99
	s_and_saveexec_b64 s[88:89], s[86:87]
	s_xor_b64 s[86:87], exec, s[88:89]
	s_cbranch_execz .LBB29_32
; %bb.31:                               ;   in Loop: Header=BB29_2 Depth=1
	v_lshlrev_b32_e32 v99, 2, v107
	ds_read_b32 v99, v99 offset:4
.LBB29_32:                              ;   in Loop: Header=BB29_2 Depth=1
	s_or_saveexec_b64 s[86:87], s[86:87]
	v_mov_b32_e32 v103, v105
	s_xor_b64 exec, exec, s[86:87]
	s_cbranch_execz .LBB29_34
; %bb.33:                               ;   in Loop: Header=BB29_2 Depth=1
	s_waitcnt lgkmcnt(0)
	v_lshlrev_b32_e32 v99, 2, v106
	ds_read_b32 v103, v99 offset:4
	v_mov_b32_e32 v99, v104
.LBB29_34:                              ;   in Loop: Header=BB29_2 Depth=1
	s_or_b64 exec, exec, s[86:87]
	v_cndmask_b32_e64 v78, v80, v78, s[72:73]
	v_cndmask_b32_e64 v80, v70, v74, s[14:15]
	;; [unrolled: 1-line block ×15, first 2 shown]
	v_add_u32_e32 v108, 1, v107
	v_cndmask_b32_e64 v75, v80, v70, s[28:29]
	v_cndmask_b32_e64 v70, v70, v80, s[28:29]
	;; [unrolled: 1-line block ×9, first 2 shown]
	v_add_u32_e32 v105, 1, v106
	v_cndmask_b32_e64 v108, v108, v107, s[84:85]
	v_cndmask_b32_e64 v76, v72, v70, s[38:39]
	;; [unrolled: 1-line block ×16, first 2 shown]
	v_cmp_ge_i32_e64 s[16:17], v108, v13
	s_waitcnt lgkmcnt(0)
	v_cmp_lt_i32_e64 s[18:19], v103, v99
	v_cndmask_b32_e64 v80, v71, v70, s[52:53]
	v_cndmask_b32_e64 v70, v70, v71, s[52:53]
	;; [unrolled: 1-line block ×6, first 2 shown]
	v_cmp_lt_i32_e64 s[14:15], v105, v14
	s_or_b64 s[16:17], s[16:17], s[18:19]
	v_cndmask_b32_e64 v76, v77, v70, s[58:59]
	v_cndmask_b32_e64 v70, v70, v77, s[58:59]
	;; [unrolled: 1-line block ×8, first 2 shown]
	s_and_b64 s[14:15], s[14:15], s[16:17]
	v_cndmask_b32_e64 v106, v107, v106, s[84:85]
	v_cndmask_b32_e64 v98, v98, v100, s[82:83]
	v_cndmask_b32_e64 v100, v102, v101, s[82:83]
	v_cndmask_b32_e64 v94, v94, v95, s[80:81]
	v_cndmask_b32_e64 v95, v97, v96, s[80:81]
	v_cndmask_b32_e64 v90, v90, v91, s[78:79]
	v_cndmask_b32_e64 v91, v93, v92, s[78:79]
	v_cndmask_b32_e64 v86, v86, v87, s[76:77]
	v_cndmask_b32_e64 v87, v89, v88, s[76:77]
	v_cndmask_b32_e64 v82, v83, v82, s[74:75]
	v_cndmask_b32_e64 v83, v85, v84, s[74:75]
	v_cndmask_b32_e64 v79, v79, v81, s[72:73]
	v_cndmask_b32_e64 v75, v72, v70, s[66:67]
	v_cndmask_b32_e64 v70, v70, v72, s[66:67]
	v_cndmask_b32_e64 v72, v71, v77, s[68:69]
	v_cndmask_b32_e64 v71, v77, v71, s[68:69]
	v_cndmask_b32_e64 v77, v74, v80, s[70:71]
	v_cndmask_b32_e64 v74, v80, v74, s[70:71]
	v_cndmask_b32_e64 v81, v108, v105, s[14:15]
	s_barrier
	ds_write2_b32 v2, v76, v70 offset1:1
	ds_write2_b32 v2, v75, v71 offset0:2 offset1:3
	ds_write2_b32 v2, v72, v74 offset0:4 offset1:5
	;; [unrolled: 1-line block ×3, first 2 shown]
	v_lshlrev_b32_e32 v70, 2, v78
	v_lshlrev_b32_e32 v71, 2, v83
	;; [unrolled: 1-line block ×8, first 2 shown]
	s_waitcnt lgkmcnt(0)
	s_barrier
	ds_read_b32 v70, v70
	ds_read_b32 v71, v71
	ds_read_b32 v72, v72
	ds_read_b32 v73, v73
	ds_read_b32 v74, v74
	ds_read_b32 v75, v75
	ds_read_b32 v76, v76
	ds_read_b32 v77, v77
	v_cndmask_b32_e64 v80, v99, v103, s[14:15]
	s_waitcnt lgkmcnt(0)
	s_barrier
	ds_write2_b32 v2, v79, v82 offset1:1
	ds_write2_b32 v2, v86, v90 offset0:2 offset1:3
	ds_write2_b32 v2, v94, v98 offset0:4 offset1:5
	;; [unrolled: 1-line block ×3, first 2 shown]
	v_mov_b32_e32 v80, v31
	s_waitcnt lgkmcnt(0)
	s_barrier
	s_and_saveexec_b64 s[16:17], s[0:1]
	s_cbranch_execz .LBB29_38
; %bb.35:                               ;   in Loop: Header=BB29_2 Depth=1
	s_mov_b64 s[18:19], 0
	v_mov_b32_e32 v80, v31
	v_mov_b32_e32 v78, v27
.LBB29_36:                              ;   Parent Loop BB29_2 Depth=1
                                        ; =>  This Inner Loop Header: Depth=2
	v_sub_u32_e32 v79, v78, v80
	v_lshrrev_b32_e32 v81, 31, v79
	v_add_u32_e32 v79, v79, v81
	v_ashrrev_i32_e32 v79, 1, v79
	v_add_u32_e32 v79, v79, v80
	v_xad_u32 v82, v79, -1, v6
	v_lshl_add_u32 v81, v79, 2, v51
	v_lshl_add_u32 v82, v82, 2, v52
	ds_read_b32 v81, v81
	ds_read_b32 v82, v82
	v_add_u32_e32 v83, 1, v79
	s_waitcnt lgkmcnt(0)
	v_cmp_lt_i32_e64 s[14:15], v82, v81
	s_nop 1
	v_cndmask_b32_e64 v78, v78, v79, s[14:15]
	v_cndmask_b32_e64 v80, v83, v80, s[14:15]
	v_cmp_ge_i32_e64 s[14:15], v80, v78
	s_or_b64 s[18:19], s[14:15], s[18:19]
	s_andn2_b64 exec, exec, s[18:19]
	s_cbranch_execnz .LBB29_36
; %bb.37:                               ;   in Loop: Header=BB29_2 Depth=1
	s_or_b64 exec, exec, s[18:19]
.LBB29_38:                              ;   in Loop: Header=BB29_2 Depth=1
	s_or_b64 exec, exec, s[16:17]
	v_sub_u32_e32 v78, v53, v80
	v_lshl_add_u32 v85, v80, 2, v51
	v_lshlrev_b32_e32 v84, 2, v78
	ds_read_b32 v79, v85
	ds_read_b32 v81, v84
	v_add_u32_e32 v80, v80, v5
	v_cmp_le_i32_e64 s[16:17], v16, v80
	v_cmp_gt_i32_e64 s[14:15], v17, v78
                                        ; implicit-def: $vgpr82
                                        ; implicit-def: $vgpr83
	s_waitcnt lgkmcnt(0)
	v_cmp_lt_i32_e64 s[18:19], v81, v79
	s_or_b64 s[16:17], s[16:17], s[18:19]
	s_and_b64 s[14:15], s[14:15], s[16:17]
	s_xor_b64 s[16:17], s[14:15], -1
	s_and_saveexec_b64 s[18:19], s[16:17]
	s_xor_b64 s[16:17], exec, s[18:19]
	s_cbranch_execz .LBB29_40
; %bb.39:                               ;   in Loop: Header=BB29_2 Depth=1
	ds_read_b32 v83, v85 offset:4
	v_mov_b32_e32 v82, v81
                                        ; implicit-def: $vgpr84
.LBB29_40:                              ;   in Loop: Header=BB29_2 Depth=1
	s_andn2_saveexec_b64 s[16:17], s[16:17]
	s_cbranch_execz .LBB29_42
; %bb.41:                               ;   in Loop: Header=BB29_2 Depth=1
	ds_read_b32 v82, v84 offset:4
	s_waitcnt lgkmcnt(1)
	v_mov_b32_e32 v83, v79
.LBB29_42:                              ;   in Loop: Header=BB29_2 Depth=1
	s_or_b64 exec, exec, s[16:17]
	v_add_u32_e32 v85, 1, v80
	v_add_u32_e32 v84, 1, v78
	v_cndmask_b32_e64 v85, v85, v80, s[14:15]
	v_cndmask_b32_e64 v84, v78, v84, s[14:15]
	v_cmp_ge_i32_e64 s[18:19], v85, v16
	s_waitcnt lgkmcnt(0)
	v_cmp_lt_i32_e64 s[20:21], v82, v83
	v_cmp_lt_i32_e64 s[16:17], v84, v17
	s_or_b64 s[18:19], s[18:19], s[20:21]
	s_and_b64 s[16:17], s[16:17], s[18:19]
	s_xor_b64 s[18:19], s[16:17], -1
                                        ; implicit-def: $vgpr86
	s_and_saveexec_b64 s[20:21], s[18:19]
	s_xor_b64 s[18:19], exec, s[20:21]
	s_cbranch_execz .LBB29_44
; %bb.43:                               ;   in Loop: Header=BB29_2 Depth=1
	v_lshlrev_b32_e32 v86, 2, v85
	ds_read_b32 v86, v86 offset:4
.LBB29_44:                              ;   in Loop: Header=BB29_2 Depth=1
	s_or_saveexec_b64 s[18:19], s[18:19]
	v_mov_b32_e32 v87, v82
	s_xor_b64 exec, exec, s[18:19]
	s_cbranch_execz .LBB29_46
; %bb.45:                               ;   in Loop: Header=BB29_2 Depth=1
	s_waitcnt lgkmcnt(0)
	v_lshlrev_b32_e32 v86, 2, v84
	ds_read_b32 v87, v86 offset:4
	v_mov_b32_e32 v86, v83
.LBB29_46:                              ;   in Loop: Header=BB29_2 Depth=1
	s_or_b64 exec, exec, s[18:19]
	v_add_u32_e32 v89, 1, v85
	v_add_u32_e32 v88, 1, v84
	v_cndmask_b32_e64 v89, v89, v85, s[16:17]
	v_cndmask_b32_e64 v88, v84, v88, s[16:17]
	v_cmp_ge_i32_e64 s[20:21], v89, v16
	s_waitcnt lgkmcnt(0)
	v_cmp_lt_i32_e64 s[22:23], v87, v86
	v_cmp_lt_i32_e64 s[18:19], v88, v17
	s_or_b64 s[20:21], s[20:21], s[22:23]
	s_and_b64 s[18:19], s[18:19], s[20:21]
	s_xor_b64 s[20:21], s[18:19], -1
                                        ; implicit-def: $vgpr90
	s_and_saveexec_b64 s[22:23], s[20:21]
	s_xor_b64 s[20:21], exec, s[22:23]
	s_cbranch_execz .LBB29_48
; %bb.47:                               ;   in Loop: Header=BB29_2 Depth=1
	v_lshlrev_b32_e32 v90, 2, v89
	ds_read_b32 v90, v90 offset:4
.LBB29_48:                              ;   in Loop: Header=BB29_2 Depth=1
	s_or_saveexec_b64 s[20:21], s[20:21]
	v_mov_b32_e32 v91, v87
	s_xor_b64 exec, exec, s[20:21]
	s_cbranch_execz .LBB29_50
; %bb.49:                               ;   in Loop: Header=BB29_2 Depth=1
	s_waitcnt lgkmcnt(0)
	v_lshlrev_b32_e32 v90, 2, v88
	ds_read_b32 v91, v90 offset:4
	v_mov_b32_e32 v90, v86
.LBB29_50:                              ;   in Loop: Header=BB29_2 Depth=1
	s_or_b64 exec, exec, s[20:21]
	v_add_u32_e32 v93, 1, v89
	v_add_u32_e32 v92, 1, v88
	v_cndmask_b32_e64 v93, v93, v89, s[18:19]
	v_cndmask_b32_e64 v92, v88, v92, s[18:19]
	v_cmp_ge_i32_e64 s[22:23], v93, v16
	s_waitcnt lgkmcnt(0)
	v_cmp_lt_i32_e64 s[24:25], v91, v90
	v_cmp_lt_i32_e64 s[20:21], v92, v17
	s_or_b64 s[22:23], s[22:23], s[24:25]
	s_and_b64 s[20:21], s[20:21], s[22:23]
	s_xor_b64 s[22:23], s[20:21], -1
                                        ; implicit-def: $vgpr94
	s_and_saveexec_b64 s[24:25], s[22:23]
	s_xor_b64 s[22:23], exec, s[24:25]
	s_cbranch_execz .LBB29_52
; %bb.51:                               ;   in Loop: Header=BB29_2 Depth=1
	v_lshlrev_b32_e32 v94, 2, v93
	ds_read_b32 v94, v94 offset:4
.LBB29_52:                              ;   in Loop: Header=BB29_2 Depth=1
	s_or_saveexec_b64 s[22:23], s[22:23]
	v_mov_b32_e32 v95, v91
	s_xor_b64 exec, exec, s[22:23]
	s_cbranch_execz .LBB29_54
; %bb.53:                               ;   in Loop: Header=BB29_2 Depth=1
	s_waitcnt lgkmcnt(0)
	v_lshlrev_b32_e32 v94, 2, v92
	ds_read_b32 v95, v94 offset:4
	v_mov_b32_e32 v94, v90
.LBB29_54:                              ;   in Loop: Header=BB29_2 Depth=1
	s_or_b64 exec, exec, s[22:23]
	v_add_u32_e32 v97, 1, v93
	v_add_u32_e32 v96, 1, v92
	v_cndmask_b32_e64 v97, v97, v93, s[20:21]
	v_cndmask_b32_e64 v96, v92, v96, s[20:21]
	v_cmp_ge_i32_e64 s[24:25], v97, v16
	s_waitcnt lgkmcnt(0)
	v_cmp_lt_i32_e64 s[26:27], v95, v94
	v_cmp_lt_i32_e64 s[22:23], v96, v17
	s_or_b64 s[24:25], s[24:25], s[26:27]
	s_and_b64 s[22:23], s[22:23], s[24:25]
	s_xor_b64 s[24:25], s[22:23], -1
                                        ; implicit-def: $vgpr98
	s_and_saveexec_b64 s[26:27], s[24:25]
	s_xor_b64 s[24:25], exec, s[26:27]
	s_cbranch_execz .LBB29_56
; %bb.55:                               ;   in Loop: Header=BB29_2 Depth=1
	v_lshlrev_b32_e32 v98, 2, v97
	ds_read_b32 v98, v98 offset:4
.LBB29_56:                              ;   in Loop: Header=BB29_2 Depth=1
	s_or_saveexec_b64 s[24:25], s[24:25]
	v_mov_b32_e32 v99, v95
	s_xor_b64 exec, exec, s[24:25]
	s_cbranch_execz .LBB29_58
; %bb.57:                               ;   in Loop: Header=BB29_2 Depth=1
	s_waitcnt lgkmcnt(0)
	v_lshlrev_b32_e32 v98, 2, v96
	ds_read_b32 v99, v98 offset:4
	v_mov_b32_e32 v98, v94
.LBB29_58:                              ;   in Loop: Header=BB29_2 Depth=1
	s_or_b64 exec, exec, s[24:25]
	v_add_u32_e32 v101, 1, v97
	v_add_u32_e32 v100, 1, v96
	v_cndmask_b32_e64 v101, v101, v97, s[22:23]
	v_cndmask_b32_e64 v100, v96, v100, s[22:23]
	v_cmp_ge_i32_e64 s[26:27], v101, v16
	s_waitcnt lgkmcnt(0)
	v_cmp_lt_i32_e64 s[28:29], v99, v98
	v_cmp_lt_i32_e64 s[24:25], v100, v17
	s_or_b64 s[26:27], s[26:27], s[28:29]
	s_and_b64 s[24:25], s[24:25], s[26:27]
	s_xor_b64 s[26:27], s[24:25], -1
                                        ; implicit-def: $vgpr102
	s_and_saveexec_b64 s[28:29], s[26:27]
	s_xor_b64 s[26:27], exec, s[28:29]
	s_cbranch_execz .LBB29_60
; %bb.59:                               ;   in Loop: Header=BB29_2 Depth=1
	v_lshlrev_b32_e32 v102, 2, v101
	ds_read_b32 v102, v102 offset:4
.LBB29_60:                              ;   in Loop: Header=BB29_2 Depth=1
	s_or_saveexec_b64 s[26:27], s[26:27]
	v_mov_b32_e32 v103, v99
	s_xor_b64 exec, exec, s[26:27]
	s_cbranch_execz .LBB29_62
; %bb.61:                               ;   in Loop: Header=BB29_2 Depth=1
	s_waitcnt lgkmcnt(0)
	v_lshlrev_b32_e32 v102, 2, v100
	ds_read_b32 v103, v102 offset:4
	v_mov_b32_e32 v102, v98
.LBB29_62:                              ;   in Loop: Header=BB29_2 Depth=1
	s_or_b64 exec, exec, s[26:27]
	v_add_u32_e32 v106, 1, v101
	v_add_u32_e32 v104, 1, v100
	v_cndmask_b32_e64 v106, v106, v101, s[24:25]
	v_cndmask_b32_e64 v105, v100, v104, s[24:25]
	v_cmp_ge_i32_e64 s[28:29], v106, v16
	s_waitcnt lgkmcnt(0)
	v_cmp_lt_i32_e64 s[30:31], v103, v102
	v_cmp_lt_i32_e64 s[26:27], v105, v17
	s_or_b64 s[28:29], s[28:29], s[30:31]
	s_and_b64 s[26:27], s[26:27], s[28:29]
	s_xor_b64 s[28:29], s[26:27], -1
                                        ; implicit-def: $vgpr104
	s_and_saveexec_b64 s[30:31], s[28:29]
	s_xor_b64 s[28:29], exec, s[30:31]
	s_cbranch_execz .LBB29_64
; %bb.63:                               ;   in Loop: Header=BB29_2 Depth=1
	v_lshlrev_b32_e32 v104, 2, v106
	ds_read_b32 v104, v104 offset:4
.LBB29_64:                              ;   in Loop: Header=BB29_2 Depth=1
	s_or_saveexec_b64 s[28:29], s[28:29]
	v_mov_b32_e32 v107, v103
	s_xor_b64 exec, exec, s[28:29]
	s_cbranch_execz .LBB29_66
; %bb.65:                               ;   in Loop: Header=BB29_2 Depth=1
	s_waitcnt lgkmcnt(0)
	v_lshlrev_b32_e32 v104, 2, v105
	ds_read_b32 v107, v104 offset:4
	v_mov_b32_e32 v104, v102
.LBB29_66:                              ;   in Loop: Header=BB29_2 Depth=1
	s_or_b64 exec, exec, s[28:29]
	v_add_u32_e32 v108, 1, v106
	v_cndmask_b32_e64 v102, v102, v103, s[26:27]
	v_add_u32_e32 v103, 1, v105
	v_cndmask_b32_e64 v108, v108, v106, s[26:27]
	v_cndmask_b32_e64 v103, v105, v103, s[26:27]
	;; [unrolled: 1-line block ×6, first 2 shown]
	v_cmp_ge_i32_e64 s[16:17], v108, v16
	s_waitcnt lgkmcnt(0)
	v_cmp_lt_i32_e64 s[18:19], v107, v104
	v_cndmask_b32_e64 v79, v79, v81, s[14:15]
	v_cndmask_b32_e64 v78, v80, v78, s[14:15]
	v_cmp_lt_i32_e64 s[14:15], v103, v17
	s_or_b64 s[16:17], s[16:17], s[18:19]
	s_and_b64 s[14:15], s[14:15], s[16:17]
	v_cndmask_b32_e64 v105, v106, v105, s[26:27]
	v_cndmask_b32_e64 v98, v98, v99, s[24:25]
	;; [unrolled: 1-line block ×8, first 2 shown]
	s_barrier
	ds_write2_b32 v2, v70, v71 offset1:1
	ds_write2_b32 v2, v72, v73 offset0:2 offset1:3
	ds_write2_b32 v2, v74, v75 offset0:4 offset1:5
	;; [unrolled: 1-line block ×3, first 2 shown]
	v_lshlrev_b32_e32 v70, 2, v78
	v_lshlrev_b32_e32 v71, 2, v83
	v_lshlrev_b32_e32 v72, 2, v87
	v_lshlrev_b32_e32 v73, 2, v91
	v_lshlrev_b32_e32 v74, 2, v95
	v_lshlrev_b32_e32 v75, 2, v99
	v_lshlrev_b32_e32 v76, 2, v105
	v_lshlrev_b32_e32 v77, 2, v81
	s_waitcnt lgkmcnt(0)
	s_barrier
	ds_read_b32 v70, v70
	ds_read_b32 v71, v71
	;; [unrolled: 1-line block ×8, first 2 shown]
	v_cndmask_b32_e64 v80, v104, v107, s[14:15]
	s_waitcnt lgkmcnt(0)
	s_barrier
	ds_write2_b32 v2, v79, v82 offset1:1
	ds_write2_b32 v2, v86, v90 offset0:2 offset1:3
	ds_write2_b32 v2, v94, v98 offset0:4 offset1:5
	;; [unrolled: 1-line block ×3, first 2 shown]
	v_mov_b32_e32 v80, v32
	s_waitcnt lgkmcnt(0)
	s_barrier
	s_and_saveexec_b64 s[16:17], s[2:3]
	s_cbranch_execz .LBB29_70
; %bb.67:                               ;   in Loop: Header=BB29_2 Depth=1
	s_mov_b64 s[18:19], 0
	v_mov_b32_e32 v80, v32
	v_mov_b32_e32 v78, v28
.LBB29_68:                              ;   Parent Loop BB29_2 Depth=1
                                        ; =>  This Inner Loop Header: Depth=2
	v_sub_u32_e32 v79, v78, v80
	v_lshrrev_b32_e32 v81, 31, v79
	v_add_u32_e32 v79, v79, v81
	v_ashrrev_i32_e32 v79, 1, v79
	v_add_u32_e32 v79, v79, v80
	v_xad_u32 v82, v79, -1, v8
	v_lshl_add_u32 v81, v79, 2, v54
	v_lshl_add_u32 v82, v82, 2, v55
	ds_read_b32 v81, v81
	ds_read_b32 v82, v82
	v_add_u32_e32 v83, 1, v79
	s_waitcnt lgkmcnt(0)
	v_cmp_lt_i32_e64 s[14:15], v82, v81
	s_nop 1
	v_cndmask_b32_e64 v78, v78, v79, s[14:15]
	v_cndmask_b32_e64 v80, v83, v80, s[14:15]
	v_cmp_ge_i32_e64 s[14:15], v80, v78
	s_or_b64 s[18:19], s[14:15], s[18:19]
	s_andn2_b64 exec, exec, s[18:19]
	s_cbranch_execnz .LBB29_68
; %bb.69:                               ;   in Loop: Header=BB29_2 Depth=1
	s_or_b64 exec, exec, s[18:19]
.LBB29_70:                              ;   in Loop: Header=BB29_2 Depth=1
	s_or_b64 exec, exec, s[16:17]
	v_sub_u32_e32 v78, v56, v80
	v_lshl_add_u32 v85, v80, 2, v54
	v_lshlrev_b32_e32 v84, 2, v78
	ds_read_b32 v79, v85
	ds_read_b32 v81, v84
	v_add_u32_e32 v80, v80, v7
	v_cmp_le_i32_e64 s[16:17], v18, v80
	v_cmp_gt_i32_e64 s[14:15], v19, v78
                                        ; implicit-def: $vgpr82
                                        ; implicit-def: $vgpr83
	s_waitcnt lgkmcnt(0)
	v_cmp_lt_i32_e64 s[18:19], v81, v79
	s_or_b64 s[16:17], s[16:17], s[18:19]
	s_and_b64 s[14:15], s[14:15], s[16:17]
	s_xor_b64 s[16:17], s[14:15], -1
	s_and_saveexec_b64 s[18:19], s[16:17]
	s_xor_b64 s[16:17], exec, s[18:19]
	s_cbranch_execz .LBB29_72
; %bb.71:                               ;   in Loop: Header=BB29_2 Depth=1
	ds_read_b32 v83, v85 offset:4
	v_mov_b32_e32 v82, v81
                                        ; implicit-def: $vgpr84
.LBB29_72:                              ;   in Loop: Header=BB29_2 Depth=1
	s_andn2_saveexec_b64 s[16:17], s[16:17]
	s_cbranch_execz .LBB29_74
; %bb.73:                               ;   in Loop: Header=BB29_2 Depth=1
	ds_read_b32 v82, v84 offset:4
	s_waitcnt lgkmcnt(1)
	v_mov_b32_e32 v83, v79
.LBB29_74:                              ;   in Loop: Header=BB29_2 Depth=1
	s_or_b64 exec, exec, s[16:17]
	v_add_u32_e32 v85, 1, v80
	v_add_u32_e32 v84, 1, v78
	v_cndmask_b32_e64 v85, v85, v80, s[14:15]
	v_cndmask_b32_e64 v84, v78, v84, s[14:15]
	v_cmp_ge_i32_e64 s[18:19], v85, v18
	s_waitcnt lgkmcnt(0)
	v_cmp_lt_i32_e64 s[20:21], v82, v83
	v_cmp_lt_i32_e64 s[16:17], v84, v19
	s_or_b64 s[18:19], s[18:19], s[20:21]
	s_and_b64 s[16:17], s[16:17], s[18:19]
	s_xor_b64 s[18:19], s[16:17], -1
                                        ; implicit-def: $vgpr86
	s_and_saveexec_b64 s[20:21], s[18:19]
	s_xor_b64 s[18:19], exec, s[20:21]
	s_cbranch_execz .LBB29_76
; %bb.75:                               ;   in Loop: Header=BB29_2 Depth=1
	v_lshlrev_b32_e32 v86, 2, v85
	ds_read_b32 v86, v86 offset:4
.LBB29_76:                              ;   in Loop: Header=BB29_2 Depth=1
	s_or_saveexec_b64 s[18:19], s[18:19]
	v_mov_b32_e32 v87, v82
	s_xor_b64 exec, exec, s[18:19]
	s_cbranch_execz .LBB29_78
; %bb.77:                               ;   in Loop: Header=BB29_2 Depth=1
	s_waitcnt lgkmcnt(0)
	v_lshlrev_b32_e32 v86, 2, v84
	ds_read_b32 v87, v86 offset:4
	v_mov_b32_e32 v86, v83
.LBB29_78:                              ;   in Loop: Header=BB29_2 Depth=1
	s_or_b64 exec, exec, s[18:19]
	v_add_u32_e32 v89, 1, v85
	v_add_u32_e32 v88, 1, v84
	v_cndmask_b32_e64 v89, v89, v85, s[16:17]
	v_cndmask_b32_e64 v88, v84, v88, s[16:17]
	v_cmp_ge_i32_e64 s[20:21], v89, v18
	s_waitcnt lgkmcnt(0)
	v_cmp_lt_i32_e64 s[22:23], v87, v86
	v_cmp_lt_i32_e64 s[18:19], v88, v19
	s_or_b64 s[20:21], s[20:21], s[22:23]
	s_and_b64 s[18:19], s[18:19], s[20:21]
	s_xor_b64 s[20:21], s[18:19], -1
                                        ; implicit-def: $vgpr90
	s_and_saveexec_b64 s[22:23], s[20:21]
	s_xor_b64 s[20:21], exec, s[22:23]
	s_cbranch_execz .LBB29_80
; %bb.79:                               ;   in Loop: Header=BB29_2 Depth=1
	v_lshlrev_b32_e32 v90, 2, v89
	ds_read_b32 v90, v90 offset:4
.LBB29_80:                              ;   in Loop: Header=BB29_2 Depth=1
	s_or_saveexec_b64 s[20:21], s[20:21]
	v_mov_b32_e32 v91, v87
	s_xor_b64 exec, exec, s[20:21]
	s_cbranch_execz .LBB29_82
; %bb.81:                               ;   in Loop: Header=BB29_2 Depth=1
	s_waitcnt lgkmcnt(0)
	v_lshlrev_b32_e32 v90, 2, v88
	ds_read_b32 v91, v90 offset:4
	v_mov_b32_e32 v90, v86
.LBB29_82:                              ;   in Loop: Header=BB29_2 Depth=1
	s_or_b64 exec, exec, s[20:21]
	v_add_u32_e32 v93, 1, v89
	v_add_u32_e32 v92, 1, v88
	v_cndmask_b32_e64 v93, v93, v89, s[18:19]
	v_cndmask_b32_e64 v92, v88, v92, s[18:19]
	v_cmp_ge_i32_e64 s[22:23], v93, v18
	s_waitcnt lgkmcnt(0)
	v_cmp_lt_i32_e64 s[24:25], v91, v90
	v_cmp_lt_i32_e64 s[20:21], v92, v19
	s_or_b64 s[22:23], s[22:23], s[24:25]
	s_and_b64 s[20:21], s[20:21], s[22:23]
	s_xor_b64 s[22:23], s[20:21], -1
                                        ; implicit-def: $vgpr94
	s_and_saveexec_b64 s[24:25], s[22:23]
	s_xor_b64 s[22:23], exec, s[24:25]
	s_cbranch_execz .LBB29_84
; %bb.83:                               ;   in Loop: Header=BB29_2 Depth=1
	v_lshlrev_b32_e32 v94, 2, v93
	ds_read_b32 v94, v94 offset:4
.LBB29_84:                              ;   in Loop: Header=BB29_2 Depth=1
	s_or_saveexec_b64 s[22:23], s[22:23]
	v_mov_b32_e32 v95, v91
	s_xor_b64 exec, exec, s[22:23]
	s_cbranch_execz .LBB29_86
; %bb.85:                               ;   in Loop: Header=BB29_2 Depth=1
	s_waitcnt lgkmcnt(0)
	v_lshlrev_b32_e32 v94, 2, v92
	ds_read_b32 v95, v94 offset:4
	v_mov_b32_e32 v94, v90
.LBB29_86:                              ;   in Loop: Header=BB29_2 Depth=1
	s_or_b64 exec, exec, s[22:23]
	v_add_u32_e32 v97, 1, v93
	v_add_u32_e32 v96, 1, v92
	v_cndmask_b32_e64 v97, v97, v93, s[20:21]
	v_cndmask_b32_e64 v96, v92, v96, s[20:21]
	v_cmp_ge_i32_e64 s[24:25], v97, v18
	s_waitcnt lgkmcnt(0)
	v_cmp_lt_i32_e64 s[26:27], v95, v94
	v_cmp_lt_i32_e64 s[22:23], v96, v19
	s_or_b64 s[24:25], s[24:25], s[26:27]
	s_and_b64 s[22:23], s[22:23], s[24:25]
	s_xor_b64 s[24:25], s[22:23], -1
                                        ; implicit-def: $vgpr98
	s_and_saveexec_b64 s[26:27], s[24:25]
	s_xor_b64 s[24:25], exec, s[26:27]
	s_cbranch_execz .LBB29_88
; %bb.87:                               ;   in Loop: Header=BB29_2 Depth=1
	v_lshlrev_b32_e32 v98, 2, v97
	ds_read_b32 v98, v98 offset:4
.LBB29_88:                              ;   in Loop: Header=BB29_2 Depth=1
	s_or_saveexec_b64 s[24:25], s[24:25]
	v_mov_b32_e32 v99, v95
	s_xor_b64 exec, exec, s[24:25]
	s_cbranch_execz .LBB29_90
; %bb.89:                               ;   in Loop: Header=BB29_2 Depth=1
	s_waitcnt lgkmcnt(0)
	v_lshlrev_b32_e32 v98, 2, v96
	ds_read_b32 v99, v98 offset:4
	v_mov_b32_e32 v98, v94
.LBB29_90:                              ;   in Loop: Header=BB29_2 Depth=1
	s_or_b64 exec, exec, s[24:25]
	v_add_u32_e32 v101, 1, v97
	v_add_u32_e32 v100, 1, v96
	v_cndmask_b32_e64 v101, v101, v97, s[22:23]
	v_cndmask_b32_e64 v100, v96, v100, s[22:23]
	v_cmp_ge_i32_e64 s[26:27], v101, v18
	s_waitcnt lgkmcnt(0)
	v_cmp_lt_i32_e64 s[28:29], v99, v98
	v_cmp_lt_i32_e64 s[24:25], v100, v19
	s_or_b64 s[26:27], s[26:27], s[28:29]
	s_and_b64 s[24:25], s[24:25], s[26:27]
	s_xor_b64 s[26:27], s[24:25], -1
                                        ; implicit-def: $vgpr102
	s_and_saveexec_b64 s[28:29], s[26:27]
	s_xor_b64 s[26:27], exec, s[28:29]
	s_cbranch_execz .LBB29_92
; %bb.91:                               ;   in Loop: Header=BB29_2 Depth=1
	v_lshlrev_b32_e32 v102, 2, v101
	ds_read_b32 v102, v102 offset:4
.LBB29_92:                              ;   in Loop: Header=BB29_2 Depth=1
	s_or_saveexec_b64 s[26:27], s[26:27]
	v_mov_b32_e32 v103, v99
	s_xor_b64 exec, exec, s[26:27]
	s_cbranch_execz .LBB29_94
; %bb.93:                               ;   in Loop: Header=BB29_2 Depth=1
	s_waitcnt lgkmcnt(0)
	v_lshlrev_b32_e32 v102, 2, v100
	ds_read_b32 v103, v102 offset:4
	v_mov_b32_e32 v102, v98
.LBB29_94:                              ;   in Loop: Header=BB29_2 Depth=1
	s_or_b64 exec, exec, s[26:27]
	v_add_u32_e32 v106, 1, v101
	v_add_u32_e32 v104, 1, v100
	v_cndmask_b32_e64 v106, v106, v101, s[24:25]
	v_cndmask_b32_e64 v105, v100, v104, s[24:25]
	v_cmp_ge_i32_e64 s[28:29], v106, v18
	s_waitcnt lgkmcnt(0)
	v_cmp_lt_i32_e64 s[30:31], v103, v102
	v_cmp_lt_i32_e64 s[26:27], v105, v19
	s_or_b64 s[28:29], s[28:29], s[30:31]
	s_and_b64 s[26:27], s[26:27], s[28:29]
	s_xor_b64 s[28:29], s[26:27], -1
                                        ; implicit-def: $vgpr104
	s_and_saveexec_b64 s[30:31], s[28:29]
	s_xor_b64 s[28:29], exec, s[30:31]
	s_cbranch_execz .LBB29_96
; %bb.95:                               ;   in Loop: Header=BB29_2 Depth=1
	v_lshlrev_b32_e32 v104, 2, v106
	ds_read_b32 v104, v104 offset:4
.LBB29_96:                              ;   in Loop: Header=BB29_2 Depth=1
	s_or_saveexec_b64 s[28:29], s[28:29]
	v_mov_b32_e32 v107, v103
	s_xor_b64 exec, exec, s[28:29]
	s_cbranch_execz .LBB29_98
; %bb.97:                               ;   in Loop: Header=BB29_2 Depth=1
	s_waitcnt lgkmcnt(0)
	v_lshlrev_b32_e32 v104, 2, v105
	ds_read_b32 v107, v104 offset:4
	v_mov_b32_e32 v104, v102
.LBB29_98:                              ;   in Loop: Header=BB29_2 Depth=1
	s_or_b64 exec, exec, s[28:29]
	v_add_u32_e32 v108, 1, v106
	v_cndmask_b32_e64 v102, v102, v103, s[26:27]
	v_add_u32_e32 v103, 1, v105
	v_cndmask_b32_e64 v108, v108, v106, s[26:27]
	v_cndmask_b32_e64 v103, v105, v103, s[26:27]
	;; [unrolled: 1-line block ×6, first 2 shown]
	v_cmp_ge_i32_e64 s[16:17], v108, v18
	s_waitcnt lgkmcnt(0)
	v_cmp_lt_i32_e64 s[18:19], v107, v104
	v_cndmask_b32_e64 v79, v79, v81, s[14:15]
	v_cndmask_b32_e64 v78, v80, v78, s[14:15]
	v_cmp_lt_i32_e64 s[14:15], v103, v19
	s_or_b64 s[16:17], s[16:17], s[18:19]
	s_and_b64 s[14:15], s[14:15], s[16:17]
	v_cndmask_b32_e64 v105, v106, v105, s[26:27]
	v_cndmask_b32_e64 v98, v98, v99, s[24:25]
	;; [unrolled: 1-line block ×8, first 2 shown]
	s_barrier
	ds_write2_b32 v2, v70, v71 offset1:1
	ds_write2_b32 v2, v72, v73 offset0:2 offset1:3
	ds_write2_b32 v2, v74, v75 offset0:4 offset1:5
	;; [unrolled: 1-line block ×3, first 2 shown]
	v_lshlrev_b32_e32 v70, 2, v78
	v_lshlrev_b32_e32 v71, 2, v83
	;; [unrolled: 1-line block ×8, first 2 shown]
	s_waitcnt lgkmcnt(0)
	s_barrier
	ds_read_b32 v70, v70
	ds_read_b32 v71, v71
	;; [unrolled: 1-line block ×8, first 2 shown]
	v_cndmask_b32_e64 v80, v104, v107, s[14:15]
	s_waitcnt lgkmcnt(0)
	s_barrier
	ds_write2_b32 v2, v79, v82 offset1:1
	ds_write2_b32 v2, v86, v90 offset0:2 offset1:3
	ds_write2_b32 v2, v94, v98 offset0:4 offset1:5
	;; [unrolled: 1-line block ×3, first 2 shown]
	v_mov_b32_e32 v80, v33
	s_waitcnt lgkmcnt(0)
	s_barrier
	s_and_saveexec_b64 s[16:17], s[4:5]
	s_cbranch_execz .LBB29_102
; %bb.99:                               ;   in Loop: Header=BB29_2 Depth=1
	s_mov_b64 s[18:19], 0
	v_mov_b32_e32 v80, v33
	v_mov_b32_e32 v78, v29
.LBB29_100:                             ;   Parent Loop BB29_2 Depth=1
                                        ; =>  This Inner Loop Header: Depth=2
	v_sub_u32_e32 v79, v78, v80
	v_lshrrev_b32_e32 v81, 31, v79
	v_add_u32_e32 v79, v79, v81
	v_ashrrev_i32_e32 v79, 1, v79
	v_add_u32_e32 v79, v79, v80
	v_xad_u32 v82, v79, -1, v10
	v_lshl_add_u32 v81, v79, 2, v57
	v_lshl_add_u32 v82, v82, 2, v58
	ds_read_b32 v81, v81
	ds_read_b32 v82, v82
	v_add_u32_e32 v83, 1, v79
	s_waitcnt lgkmcnt(0)
	v_cmp_lt_i32_e64 s[14:15], v82, v81
	s_nop 1
	v_cndmask_b32_e64 v78, v78, v79, s[14:15]
	v_cndmask_b32_e64 v80, v83, v80, s[14:15]
	v_cmp_ge_i32_e64 s[14:15], v80, v78
	s_or_b64 s[18:19], s[14:15], s[18:19]
	s_andn2_b64 exec, exec, s[18:19]
	s_cbranch_execnz .LBB29_100
; %bb.101:                              ;   in Loop: Header=BB29_2 Depth=1
	s_or_b64 exec, exec, s[18:19]
.LBB29_102:                             ;   in Loop: Header=BB29_2 Depth=1
	s_or_b64 exec, exec, s[16:17]
	v_sub_u32_e32 v78, v59, v80
	v_lshl_add_u32 v85, v80, 2, v57
	v_lshlrev_b32_e32 v84, 2, v78
	ds_read_b32 v79, v85
	ds_read_b32 v81, v84
	v_add_u32_e32 v80, v80, v9
	v_cmp_le_i32_e64 s[16:17], v20, v80
	v_cmp_gt_i32_e64 s[14:15], v21, v78
                                        ; implicit-def: $vgpr82
                                        ; implicit-def: $vgpr83
	s_waitcnt lgkmcnt(0)
	v_cmp_lt_i32_e64 s[18:19], v81, v79
	s_or_b64 s[16:17], s[16:17], s[18:19]
	s_and_b64 s[14:15], s[14:15], s[16:17]
	s_xor_b64 s[16:17], s[14:15], -1
	s_and_saveexec_b64 s[18:19], s[16:17]
	s_xor_b64 s[16:17], exec, s[18:19]
	s_cbranch_execz .LBB29_104
; %bb.103:                              ;   in Loop: Header=BB29_2 Depth=1
	ds_read_b32 v83, v85 offset:4
	v_mov_b32_e32 v82, v81
                                        ; implicit-def: $vgpr84
.LBB29_104:                             ;   in Loop: Header=BB29_2 Depth=1
	s_andn2_saveexec_b64 s[16:17], s[16:17]
	s_cbranch_execz .LBB29_106
; %bb.105:                              ;   in Loop: Header=BB29_2 Depth=1
	ds_read_b32 v82, v84 offset:4
	s_waitcnt lgkmcnt(1)
	v_mov_b32_e32 v83, v79
.LBB29_106:                             ;   in Loop: Header=BB29_2 Depth=1
	s_or_b64 exec, exec, s[16:17]
	v_add_u32_e32 v85, 1, v80
	v_add_u32_e32 v84, 1, v78
	v_cndmask_b32_e64 v85, v85, v80, s[14:15]
	v_cndmask_b32_e64 v84, v78, v84, s[14:15]
	v_cmp_ge_i32_e64 s[18:19], v85, v20
	s_waitcnt lgkmcnt(0)
	v_cmp_lt_i32_e64 s[20:21], v82, v83
	v_cmp_lt_i32_e64 s[16:17], v84, v21
	s_or_b64 s[18:19], s[18:19], s[20:21]
	s_and_b64 s[16:17], s[16:17], s[18:19]
	s_xor_b64 s[18:19], s[16:17], -1
                                        ; implicit-def: $vgpr86
	s_and_saveexec_b64 s[20:21], s[18:19]
	s_xor_b64 s[18:19], exec, s[20:21]
	s_cbranch_execz .LBB29_108
; %bb.107:                              ;   in Loop: Header=BB29_2 Depth=1
	v_lshlrev_b32_e32 v86, 2, v85
	ds_read_b32 v86, v86 offset:4
.LBB29_108:                             ;   in Loop: Header=BB29_2 Depth=1
	s_or_saveexec_b64 s[18:19], s[18:19]
	v_mov_b32_e32 v87, v82
	s_xor_b64 exec, exec, s[18:19]
	s_cbranch_execz .LBB29_110
; %bb.109:                              ;   in Loop: Header=BB29_2 Depth=1
	s_waitcnt lgkmcnt(0)
	v_lshlrev_b32_e32 v86, 2, v84
	ds_read_b32 v87, v86 offset:4
	v_mov_b32_e32 v86, v83
.LBB29_110:                             ;   in Loop: Header=BB29_2 Depth=1
	s_or_b64 exec, exec, s[18:19]
	v_add_u32_e32 v89, 1, v85
	v_add_u32_e32 v88, 1, v84
	v_cndmask_b32_e64 v89, v89, v85, s[16:17]
	v_cndmask_b32_e64 v88, v84, v88, s[16:17]
	v_cmp_ge_i32_e64 s[20:21], v89, v20
	s_waitcnt lgkmcnt(0)
	v_cmp_lt_i32_e64 s[22:23], v87, v86
	v_cmp_lt_i32_e64 s[18:19], v88, v21
	s_or_b64 s[20:21], s[20:21], s[22:23]
	s_and_b64 s[18:19], s[18:19], s[20:21]
	s_xor_b64 s[20:21], s[18:19], -1
                                        ; implicit-def: $vgpr90
	s_and_saveexec_b64 s[22:23], s[20:21]
	s_xor_b64 s[20:21], exec, s[22:23]
	s_cbranch_execz .LBB29_112
; %bb.111:                              ;   in Loop: Header=BB29_2 Depth=1
	v_lshlrev_b32_e32 v90, 2, v89
	ds_read_b32 v90, v90 offset:4
.LBB29_112:                             ;   in Loop: Header=BB29_2 Depth=1
	s_or_saveexec_b64 s[20:21], s[20:21]
	v_mov_b32_e32 v91, v87
	s_xor_b64 exec, exec, s[20:21]
	s_cbranch_execz .LBB29_114
; %bb.113:                              ;   in Loop: Header=BB29_2 Depth=1
	s_waitcnt lgkmcnt(0)
	v_lshlrev_b32_e32 v90, 2, v88
	ds_read_b32 v91, v90 offset:4
	v_mov_b32_e32 v90, v86
.LBB29_114:                             ;   in Loop: Header=BB29_2 Depth=1
	s_or_b64 exec, exec, s[20:21]
	v_add_u32_e32 v93, 1, v89
	v_add_u32_e32 v92, 1, v88
	v_cndmask_b32_e64 v93, v93, v89, s[18:19]
	v_cndmask_b32_e64 v92, v88, v92, s[18:19]
	v_cmp_ge_i32_e64 s[22:23], v93, v20
	s_waitcnt lgkmcnt(0)
	v_cmp_lt_i32_e64 s[24:25], v91, v90
	v_cmp_lt_i32_e64 s[20:21], v92, v21
	s_or_b64 s[22:23], s[22:23], s[24:25]
	s_and_b64 s[20:21], s[20:21], s[22:23]
	s_xor_b64 s[22:23], s[20:21], -1
                                        ; implicit-def: $vgpr94
	s_and_saveexec_b64 s[24:25], s[22:23]
	s_xor_b64 s[22:23], exec, s[24:25]
	s_cbranch_execz .LBB29_116
; %bb.115:                              ;   in Loop: Header=BB29_2 Depth=1
	v_lshlrev_b32_e32 v94, 2, v93
	ds_read_b32 v94, v94 offset:4
.LBB29_116:                             ;   in Loop: Header=BB29_2 Depth=1
	s_or_saveexec_b64 s[22:23], s[22:23]
	v_mov_b32_e32 v95, v91
	s_xor_b64 exec, exec, s[22:23]
	s_cbranch_execz .LBB29_118
; %bb.117:                              ;   in Loop: Header=BB29_2 Depth=1
	s_waitcnt lgkmcnt(0)
	v_lshlrev_b32_e32 v94, 2, v92
	ds_read_b32 v95, v94 offset:4
	v_mov_b32_e32 v94, v90
.LBB29_118:                             ;   in Loop: Header=BB29_2 Depth=1
	s_or_b64 exec, exec, s[22:23]
	v_add_u32_e32 v97, 1, v93
	v_add_u32_e32 v96, 1, v92
	v_cndmask_b32_e64 v97, v97, v93, s[20:21]
	v_cndmask_b32_e64 v96, v92, v96, s[20:21]
	v_cmp_ge_i32_e64 s[24:25], v97, v20
	s_waitcnt lgkmcnt(0)
	v_cmp_lt_i32_e64 s[26:27], v95, v94
	v_cmp_lt_i32_e64 s[22:23], v96, v21
	s_or_b64 s[24:25], s[24:25], s[26:27]
	s_and_b64 s[22:23], s[22:23], s[24:25]
	s_xor_b64 s[24:25], s[22:23], -1
                                        ; implicit-def: $vgpr98
	s_and_saveexec_b64 s[26:27], s[24:25]
	s_xor_b64 s[24:25], exec, s[26:27]
	s_cbranch_execz .LBB29_120
; %bb.119:                              ;   in Loop: Header=BB29_2 Depth=1
	v_lshlrev_b32_e32 v98, 2, v97
	ds_read_b32 v98, v98 offset:4
.LBB29_120:                             ;   in Loop: Header=BB29_2 Depth=1
	s_or_saveexec_b64 s[24:25], s[24:25]
	v_mov_b32_e32 v99, v95
	s_xor_b64 exec, exec, s[24:25]
	s_cbranch_execz .LBB29_122
; %bb.121:                              ;   in Loop: Header=BB29_2 Depth=1
	s_waitcnt lgkmcnt(0)
	v_lshlrev_b32_e32 v98, 2, v96
	ds_read_b32 v99, v98 offset:4
	v_mov_b32_e32 v98, v94
.LBB29_122:                             ;   in Loop: Header=BB29_2 Depth=1
	s_or_b64 exec, exec, s[24:25]
	v_add_u32_e32 v101, 1, v97
	v_add_u32_e32 v100, 1, v96
	v_cndmask_b32_e64 v101, v101, v97, s[22:23]
	v_cndmask_b32_e64 v100, v96, v100, s[22:23]
	v_cmp_ge_i32_e64 s[26:27], v101, v20
	s_waitcnt lgkmcnt(0)
	v_cmp_lt_i32_e64 s[28:29], v99, v98
	v_cmp_lt_i32_e64 s[24:25], v100, v21
	s_or_b64 s[26:27], s[26:27], s[28:29]
	s_and_b64 s[24:25], s[24:25], s[26:27]
	s_xor_b64 s[26:27], s[24:25], -1
                                        ; implicit-def: $vgpr102
	s_and_saveexec_b64 s[28:29], s[26:27]
	s_xor_b64 s[26:27], exec, s[28:29]
	s_cbranch_execz .LBB29_124
; %bb.123:                              ;   in Loop: Header=BB29_2 Depth=1
	v_lshlrev_b32_e32 v102, 2, v101
	ds_read_b32 v102, v102 offset:4
.LBB29_124:                             ;   in Loop: Header=BB29_2 Depth=1
	s_or_saveexec_b64 s[26:27], s[26:27]
	v_mov_b32_e32 v103, v99
	s_xor_b64 exec, exec, s[26:27]
	s_cbranch_execz .LBB29_126
; %bb.125:                              ;   in Loop: Header=BB29_2 Depth=1
	s_waitcnt lgkmcnt(0)
	v_lshlrev_b32_e32 v102, 2, v100
	ds_read_b32 v103, v102 offset:4
	v_mov_b32_e32 v102, v98
.LBB29_126:                             ;   in Loop: Header=BB29_2 Depth=1
	s_or_b64 exec, exec, s[26:27]
	v_add_u32_e32 v106, 1, v101
	v_add_u32_e32 v104, 1, v100
	v_cndmask_b32_e64 v106, v106, v101, s[24:25]
	v_cndmask_b32_e64 v105, v100, v104, s[24:25]
	v_cmp_ge_i32_e64 s[28:29], v106, v20
	s_waitcnt lgkmcnt(0)
	v_cmp_lt_i32_e64 s[30:31], v103, v102
	v_cmp_lt_i32_e64 s[26:27], v105, v21
	s_or_b64 s[28:29], s[28:29], s[30:31]
	s_and_b64 s[26:27], s[26:27], s[28:29]
	s_xor_b64 s[28:29], s[26:27], -1
                                        ; implicit-def: $vgpr104
	s_and_saveexec_b64 s[30:31], s[28:29]
	s_xor_b64 s[28:29], exec, s[30:31]
	s_cbranch_execz .LBB29_128
; %bb.127:                              ;   in Loop: Header=BB29_2 Depth=1
	v_lshlrev_b32_e32 v104, 2, v106
	ds_read_b32 v104, v104 offset:4
.LBB29_128:                             ;   in Loop: Header=BB29_2 Depth=1
	s_or_saveexec_b64 s[28:29], s[28:29]
	v_mov_b32_e32 v107, v103
	s_xor_b64 exec, exec, s[28:29]
	s_cbranch_execz .LBB29_130
; %bb.129:                              ;   in Loop: Header=BB29_2 Depth=1
	s_waitcnt lgkmcnt(0)
	v_lshlrev_b32_e32 v104, 2, v105
	ds_read_b32 v107, v104 offset:4
	v_mov_b32_e32 v104, v102
.LBB29_130:                             ;   in Loop: Header=BB29_2 Depth=1
	s_or_b64 exec, exec, s[28:29]
	v_add_u32_e32 v108, 1, v106
	v_cndmask_b32_e64 v102, v102, v103, s[26:27]
	v_add_u32_e32 v103, 1, v105
	v_cndmask_b32_e64 v108, v108, v106, s[26:27]
	v_cndmask_b32_e64 v103, v105, v103, s[26:27]
	;; [unrolled: 1-line block ×6, first 2 shown]
	v_cmp_ge_i32_e64 s[16:17], v108, v20
	s_waitcnt lgkmcnt(0)
	v_cmp_lt_i32_e64 s[18:19], v107, v104
	v_cndmask_b32_e64 v79, v79, v81, s[14:15]
	v_cndmask_b32_e64 v78, v80, v78, s[14:15]
	v_cmp_lt_i32_e64 s[14:15], v103, v21
	s_or_b64 s[16:17], s[16:17], s[18:19]
	s_and_b64 s[14:15], s[14:15], s[16:17]
	v_cndmask_b32_e64 v105, v106, v105, s[26:27]
	v_cndmask_b32_e64 v98, v98, v99, s[24:25]
	;; [unrolled: 1-line block ×8, first 2 shown]
	s_barrier
	ds_write2_b32 v2, v70, v71 offset1:1
	ds_write2_b32 v2, v72, v73 offset0:2 offset1:3
	ds_write2_b32 v2, v74, v75 offset0:4 offset1:5
	;; [unrolled: 1-line block ×3, first 2 shown]
	v_lshlrev_b32_e32 v70, 2, v78
	v_lshlrev_b32_e32 v71, 2, v83
	;; [unrolled: 1-line block ×8, first 2 shown]
	s_waitcnt lgkmcnt(0)
	s_barrier
	ds_read_b32 v70, v70
	ds_read_b32 v71, v71
	;; [unrolled: 1-line block ×8, first 2 shown]
	v_cndmask_b32_e64 v80, v104, v107, s[14:15]
	s_waitcnt lgkmcnt(0)
	s_barrier
	ds_write2_b32 v2, v79, v82 offset1:1
	ds_write2_b32 v2, v86, v90 offset0:2 offset1:3
	ds_write2_b32 v2, v94, v98 offset0:4 offset1:5
	;; [unrolled: 1-line block ×3, first 2 shown]
	v_mov_b32_e32 v80, v34
	s_waitcnt lgkmcnt(0)
	s_barrier
	s_and_saveexec_b64 s[16:17], s[6:7]
	s_cbranch_execz .LBB29_134
; %bb.131:                              ;   in Loop: Header=BB29_2 Depth=1
	s_mov_b64 s[18:19], 0
	v_mov_b32_e32 v80, v34
	v_mov_b32_e32 v78, v35
.LBB29_132:                             ;   Parent Loop BB29_2 Depth=1
                                        ; =>  This Inner Loop Header: Depth=2
	v_sub_u32_e32 v79, v78, v80
	v_lshrrev_b32_e32 v81, 31, v79
	v_add_u32_e32 v79, v79, v81
	v_ashrrev_i32_e32 v79, 1, v79
	v_add_u32_e32 v79, v79, v80
	v_xad_u32 v82, v79, -1, v12
	v_lshl_add_u32 v81, v79, 2, v60
	v_lshl_add_u32 v82, v82, 2, v61
	ds_read_b32 v81, v81
	ds_read_b32 v82, v82
	v_add_u32_e32 v83, 1, v79
	s_waitcnt lgkmcnt(0)
	v_cmp_lt_i32_e64 s[14:15], v82, v81
	s_nop 1
	v_cndmask_b32_e64 v78, v78, v79, s[14:15]
	v_cndmask_b32_e64 v80, v83, v80, s[14:15]
	v_cmp_ge_i32_e64 s[14:15], v80, v78
	s_or_b64 s[18:19], s[14:15], s[18:19]
	s_andn2_b64 exec, exec, s[18:19]
	s_cbranch_execnz .LBB29_132
; %bb.133:                              ;   in Loop: Header=BB29_2 Depth=1
	s_or_b64 exec, exec, s[18:19]
.LBB29_134:                             ;   in Loop: Header=BB29_2 Depth=1
	s_or_b64 exec, exec, s[16:17]
	v_sub_u32_e32 v78, v62, v80
	v_lshl_add_u32 v85, v80, 2, v60
	v_lshlrev_b32_e32 v84, 2, v78
	ds_read_b32 v79, v85
	ds_read_b32 v81, v84
	v_add_u32_e32 v80, v80, v11
	v_cmp_le_i32_e64 s[16:17], v22, v80
	v_cmp_gt_i32_e64 s[14:15], v23, v78
                                        ; implicit-def: $vgpr82
                                        ; implicit-def: $vgpr83
	s_waitcnt lgkmcnt(0)
	v_cmp_lt_i32_e64 s[18:19], v81, v79
	s_or_b64 s[16:17], s[16:17], s[18:19]
	s_and_b64 s[14:15], s[14:15], s[16:17]
	s_xor_b64 s[16:17], s[14:15], -1
	s_and_saveexec_b64 s[18:19], s[16:17]
	s_xor_b64 s[16:17], exec, s[18:19]
	s_cbranch_execz .LBB29_136
; %bb.135:                              ;   in Loop: Header=BB29_2 Depth=1
	ds_read_b32 v83, v85 offset:4
	v_mov_b32_e32 v82, v81
                                        ; implicit-def: $vgpr84
.LBB29_136:                             ;   in Loop: Header=BB29_2 Depth=1
	s_andn2_saveexec_b64 s[16:17], s[16:17]
	s_cbranch_execz .LBB29_138
; %bb.137:                              ;   in Loop: Header=BB29_2 Depth=1
	ds_read_b32 v82, v84 offset:4
	s_waitcnt lgkmcnt(1)
	v_mov_b32_e32 v83, v79
.LBB29_138:                             ;   in Loop: Header=BB29_2 Depth=1
	s_or_b64 exec, exec, s[16:17]
	v_add_u32_e32 v85, 1, v80
	v_add_u32_e32 v84, 1, v78
	v_cndmask_b32_e64 v85, v85, v80, s[14:15]
	v_cndmask_b32_e64 v84, v78, v84, s[14:15]
	v_cmp_ge_i32_e64 s[18:19], v85, v22
	s_waitcnt lgkmcnt(0)
	v_cmp_lt_i32_e64 s[20:21], v82, v83
	v_cmp_lt_i32_e64 s[16:17], v84, v23
	s_or_b64 s[18:19], s[18:19], s[20:21]
	s_and_b64 s[16:17], s[16:17], s[18:19]
	s_xor_b64 s[18:19], s[16:17], -1
                                        ; implicit-def: $vgpr86
	s_and_saveexec_b64 s[20:21], s[18:19]
	s_xor_b64 s[18:19], exec, s[20:21]
	s_cbranch_execz .LBB29_140
; %bb.139:                              ;   in Loop: Header=BB29_2 Depth=1
	v_lshlrev_b32_e32 v86, 2, v85
	ds_read_b32 v86, v86 offset:4
.LBB29_140:                             ;   in Loop: Header=BB29_2 Depth=1
	s_or_saveexec_b64 s[18:19], s[18:19]
	v_mov_b32_e32 v87, v82
	s_xor_b64 exec, exec, s[18:19]
	s_cbranch_execz .LBB29_142
; %bb.141:                              ;   in Loop: Header=BB29_2 Depth=1
	s_waitcnt lgkmcnt(0)
	v_lshlrev_b32_e32 v86, 2, v84
	ds_read_b32 v87, v86 offset:4
	v_mov_b32_e32 v86, v83
.LBB29_142:                             ;   in Loop: Header=BB29_2 Depth=1
	s_or_b64 exec, exec, s[18:19]
	v_add_u32_e32 v89, 1, v85
	v_add_u32_e32 v88, 1, v84
	v_cndmask_b32_e64 v89, v89, v85, s[16:17]
	v_cndmask_b32_e64 v88, v84, v88, s[16:17]
	v_cmp_ge_i32_e64 s[20:21], v89, v22
	s_waitcnt lgkmcnt(0)
	v_cmp_lt_i32_e64 s[22:23], v87, v86
	v_cmp_lt_i32_e64 s[18:19], v88, v23
	s_or_b64 s[20:21], s[20:21], s[22:23]
	s_and_b64 s[18:19], s[18:19], s[20:21]
	s_xor_b64 s[20:21], s[18:19], -1
                                        ; implicit-def: $vgpr90
	s_and_saveexec_b64 s[22:23], s[20:21]
	s_xor_b64 s[20:21], exec, s[22:23]
	s_cbranch_execz .LBB29_144
; %bb.143:                              ;   in Loop: Header=BB29_2 Depth=1
	v_lshlrev_b32_e32 v90, 2, v89
	ds_read_b32 v90, v90 offset:4
.LBB29_144:                             ;   in Loop: Header=BB29_2 Depth=1
	s_or_saveexec_b64 s[20:21], s[20:21]
	v_mov_b32_e32 v91, v87
	s_xor_b64 exec, exec, s[20:21]
	s_cbranch_execz .LBB29_146
; %bb.145:                              ;   in Loop: Header=BB29_2 Depth=1
	s_waitcnt lgkmcnt(0)
	v_lshlrev_b32_e32 v90, 2, v88
	ds_read_b32 v91, v90 offset:4
	v_mov_b32_e32 v90, v86
.LBB29_146:                             ;   in Loop: Header=BB29_2 Depth=1
	s_or_b64 exec, exec, s[20:21]
	v_add_u32_e32 v93, 1, v89
	v_add_u32_e32 v92, 1, v88
	v_cndmask_b32_e64 v93, v93, v89, s[18:19]
	v_cndmask_b32_e64 v92, v88, v92, s[18:19]
	v_cmp_ge_i32_e64 s[22:23], v93, v22
	s_waitcnt lgkmcnt(0)
	v_cmp_lt_i32_e64 s[24:25], v91, v90
	v_cmp_lt_i32_e64 s[20:21], v92, v23
	s_or_b64 s[22:23], s[22:23], s[24:25]
	s_and_b64 s[20:21], s[20:21], s[22:23]
	s_xor_b64 s[22:23], s[20:21], -1
                                        ; implicit-def: $vgpr94
	s_and_saveexec_b64 s[24:25], s[22:23]
	s_xor_b64 s[22:23], exec, s[24:25]
	s_cbranch_execz .LBB29_148
; %bb.147:                              ;   in Loop: Header=BB29_2 Depth=1
	v_lshlrev_b32_e32 v94, 2, v93
	ds_read_b32 v94, v94 offset:4
.LBB29_148:                             ;   in Loop: Header=BB29_2 Depth=1
	s_or_saveexec_b64 s[22:23], s[22:23]
	v_mov_b32_e32 v95, v91
	s_xor_b64 exec, exec, s[22:23]
	s_cbranch_execz .LBB29_150
; %bb.149:                              ;   in Loop: Header=BB29_2 Depth=1
	s_waitcnt lgkmcnt(0)
	v_lshlrev_b32_e32 v94, 2, v92
	ds_read_b32 v95, v94 offset:4
	v_mov_b32_e32 v94, v90
.LBB29_150:                             ;   in Loop: Header=BB29_2 Depth=1
	s_or_b64 exec, exec, s[22:23]
	v_add_u32_e32 v97, 1, v93
	v_add_u32_e32 v96, 1, v92
	v_cndmask_b32_e64 v97, v97, v93, s[20:21]
	v_cndmask_b32_e64 v96, v92, v96, s[20:21]
	v_cmp_ge_i32_e64 s[24:25], v97, v22
	s_waitcnt lgkmcnt(0)
	v_cmp_lt_i32_e64 s[26:27], v95, v94
	v_cmp_lt_i32_e64 s[22:23], v96, v23
	s_or_b64 s[24:25], s[24:25], s[26:27]
	s_and_b64 s[22:23], s[22:23], s[24:25]
	s_xor_b64 s[24:25], s[22:23], -1
                                        ; implicit-def: $vgpr98
	s_and_saveexec_b64 s[26:27], s[24:25]
	s_xor_b64 s[24:25], exec, s[26:27]
	s_cbranch_execz .LBB29_152
; %bb.151:                              ;   in Loop: Header=BB29_2 Depth=1
	v_lshlrev_b32_e32 v98, 2, v97
	ds_read_b32 v98, v98 offset:4
.LBB29_152:                             ;   in Loop: Header=BB29_2 Depth=1
	s_or_saveexec_b64 s[24:25], s[24:25]
	v_mov_b32_e32 v99, v95
	s_xor_b64 exec, exec, s[24:25]
	s_cbranch_execz .LBB29_154
; %bb.153:                              ;   in Loop: Header=BB29_2 Depth=1
	s_waitcnt lgkmcnt(0)
	v_lshlrev_b32_e32 v98, 2, v96
	ds_read_b32 v99, v98 offset:4
	v_mov_b32_e32 v98, v94
.LBB29_154:                             ;   in Loop: Header=BB29_2 Depth=1
	s_or_b64 exec, exec, s[24:25]
	v_add_u32_e32 v101, 1, v97
	v_add_u32_e32 v100, 1, v96
	v_cndmask_b32_e64 v101, v101, v97, s[22:23]
	v_cndmask_b32_e64 v100, v96, v100, s[22:23]
	v_cmp_ge_i32_e64 s[26:27], v101, v22
	s_waitcnt lgkmcnt(0)
	v_cmp_lt_i32_e64 s[28:29], v99, v98
	v_cmp_lt_i32_e64 s[24:25], v100, v23
	s_or_b64 s[26:27], s[26:27], s[28:29]
	s_and_b64 s[24:25], s[24:25], s[26:27]
	s_xor_b64 s[26:27], s[24:25], -1
                                        ; implicit-def: $vgpr102
	s_and_saveexec_b64 s[28:29], s[26:27]
	s_xor_b64 s[26:27], exec, s[28:29]
	s_cbranch_execz .LBB29_156
; %bb.155:                              ;   in Loop: Header=BB29_2 Depth=1
	v_lshlrev_b32_e32 v102, 2, v101
	ds_read_b32 v102, v102 offset:4
.LBB29_156:                             ;   in Loop: Header=BB29_2 Depth=1
	s_or_saveexec_b64 s[26:27], s[26:27]
	v_mov_b32_e32 v103, v99
	s_xor_b64 exec, exec, s[26:27]
	s_cbranch_execz .LBB29_158
; %bb.157:                              ;   in Loop: Header=BB29_2 Depth=1
	s_waitcnt lgkmcnt(0)
	v_lshlrev_b32_e32 v102, 2, v100
	ds_read_b32 v103, v102 offset:4
	v_mov_b32_e32 v102, v98
.LBB29_158:                             ;   in Loop: Header=BB29_2 Depth=1
	s_or_b64 exec, exec, s[26:27]
	v_add_u32_e32 v106, 1, v101
	v_add_u32_e32 v104, 1, v100
	v_cndmask_b32_e64 v106, v106, v101, s[24:25]
	v_cndmask_b32_e64 v105, v100, v104, s[24:25]
	v_cmp_ge_i32_e64 s[28:29], v106, v22
	s_waitcnt lgkmcnt(0)
	v_cmp_lt_i32_e64 s[30:31], v103, v102
	v_cmp_lt_i32_e64 s[26:27], v105, v23
	s_or_b64 s[28:29], s[28:29], s[30:31]
	s_and_b64 s[26:27], s[26:27], s[28:29]
	s_xor_b64 s[28:29], s[26:27], -1
                                        ; implicit-def: $vgpr104
	s_and_saveexec_b64 s[30:31], s[28:29]
	s_xor_b64 s[28:29], exec, s[30:31]
	s_cbranch_execz .LBB29_160
; %bb.159:                              ;   in Loop: Header=BB29_2 Depth=1
	v_lshlrev_b32_e32 v104, 2, v106
	ds_read_b32 v104, v104 offset:4
.LBB29_160:                             ;   in Loop: Header=BB29_2 Depth=1
	s_or_saveexec_b64 s[28:29], s[28:29]
	v_mov_b32_e32 v107, v103
	s_xor_b64 exec, exec, s[28:29]
	s_cbranch_execz .LBB29_162
; %bb.161:                              ;   in Loop: Header=BB29_2 Depth=1
	s_waitcnt lgkmcnt(0)
	v_lshlrev_b32_e32 v104, 2, v105
	ds_read_b32 v107, v104 offset:4
	v_mov_b32_e32 v104, v102
.LBB29_162:                             ;   in Loop: Header=BB29_2 Depth=1
	s_or_b64 exec, exec, s[28:29]
	v_add_u32_e32 v108, 1, v106
	v_cndmask_b32_e64 v102, v102, v103, s[26:27]
	v_add_u32_e32 v103, 1, v105
	v_cndmask_b32_e64 v108, v108, v106, s[26:27]
	v_cndmask_b32_e64 v103, v105, v103, s[26:27]
	;; [unrolled: 1-line block ×6, first 2 shown]
	v_cmp_ge_i32_e64 s[16:17], v108, v22
	s_waitcnt lgkmcnt(0)
	v_cmp_lt_i32_e64 s[18:19], v107, v104
	v_cndmask_b32_e64 v79, v79, v81, s[14:15]
	v_cndmask_b32_e64 v78, v80, v78, s[14:15]
	v_cmp_lt_i32_e64 s[14:15], v103, v23
	s_or_b64 s[16:17], s[16:17], s[18:19]
	s_and_b64 s[14:15], s[14:15], s[16:17]
	v_cndmask_b32_e64 v105, v106, v105, s[26:27]
	v_cndmask_b32_e64 v98, v98, v99, s[24:25]
	;; [unrolled: 1-line block ×8, first 2 shown]
	s_barrier
	ds_write2_b32 v2, v70, v71 offset1:1
	ds_write2_b32 v2, v72, v73 offset0:2 offset1:3
	ds_write2_b32 v2, v74, v75 offset0:4 offset1:5
	;; [unrolled: 1-line block ×3, first 2 shown]
	v_lshlrev_b32_e32 v70, 2, v78
	v_lshlrev_b32_e32 v71, 2, v83
	;; [unrolled: 1-line block ×8, first 2 shown]
	s_waitcnt lgkmcnt(0)
	s_barrier
	ds_read_b32 v70, v70
	ds_read_b32 v71, v71
	;; [unrolled: 1-line block ×8, first 2 shown]
	v_cndmask_b32_e64 v80, v104, v107, s[14:15]
	s_waitcnt lgkmcnt(0)
	s_barrier
	ds_write2_b32 v2, v79, v82 offset1:1
	ds_write2_b32 v2, v86, v90 offset0:2 offset1:3
	ds_write2_b32 v2, v94, v98 offset0:4 offset1:5
	;; [unrolled: 1-line block ×3, first 2 shown]
	v_mov_b32_e32 v80, v40
	s_waitcnt lgkmcnt(0)
	s_barrier
	s_and_saveexec_b64 s[16:17], s[8:9]
	s_cbranch_execz .LBB29_166
; %bb.163:                              ;   in Loop: Header=BB29_2 Depth=1
	s_mov_b64 s[18:19], 0
	v_mov_b32_e32 v80, v40
	v_mov_b32_e32 v78, v41
.LBB29_164:                             ;   Parent Loop BB29_2 Depth=1
                                        ; =>  This Inner Loop Header: Depth=2
	v_sub_u32_e32 v79, v78, v80
	v_lshrrev_b32_e32 v81, 31, v79
	v_add_u32_e32 v79, v79, v81
	v_ashrrev_i32_e32 v79, 1, v79
	v_add_u32_e32 v79, v79, v80
	v_xad_u32 v82, v79, -1, v37
	v_lshl_add_u32 v81, v79, 2, v63
	v_lshl_add_u32 v82, v82, 2, v64
	ds_read_b32 v81, v81
	ds_read_b32 v82, v82
	v_add_u32_e32 v83, 1, v79
	s_waitcnt lgkmcnt(0)
	v_cmp_lt_i32_e64 s[14:15], v82, v81
	s_nop 1
	v_cndmask_b32_e64 v78, v78, v79, s[14:15]
	v_cndmask_b32_e64 v80, v83, v80, s[14:15]
	v_cmp_ge_i32_e64 s[14:15], v80, v78
	s_or_b64 s[18:19], s[14:15], s[18:19]
	s_andn2_b64 exec, exec, s[18:19]
	s_cbranch_execnz .LBB29_164
; %bb.165:                              ;   in Loop: Header=BB29_2 Depth=1
	s_or_b64 exec, exec, s[18:19]
.LBB29_166:                             ;   in Loop: Header=BB29_2 Depth=1
	s_or_b64 exec, exec, s[16:17]
	v_sub_u32_e32 v78, v65, v80
	v_lshl_add_u32 v85, v80, 2, v63
	v_lshlrev_b32_e32 v84, 2, v78
	ds_read_b32 v79, v85
	ds_read_b32 v81, v84
	v_add_u32_e32 v80, v80, v36
	v_cmp_le_i32_e64 s[16:17], v38, v80
	v_cmp_gt_i32_e64 s[14:15], v39, v78
                                        ; implicit-def: $vgpr82
                                        ; implicit-def: $vgpr83
	s_waitcnt lgkmcnt(0)
	v_cmp_lt_i32_e64 s[18:19], v81, v79
	s_or_b64 s[16:17], s[16:17], s[18:19]
	s_and_b64 s[14:15], s[14:15], s[16:17]
	s_xor_b64 s[16:17], s[14:15], -1
	s_and_saveexec_b64 s[18:19], s[16:17]
	s_xor_b64 s[16:17], exec, s[18:19]
	s_cbranch_execz .LBB29_168
; %bb.167:                              ;   in Loop: Header=BB29_2 Depth=1
	ds_read_b32 v83, v85 offset:4
	v_mov_b32_e32 v82, v81
                                        ; implicit-def: $vgpr84
.LBB29_168:                             ;   in Loop: Header=BB29_2 Depth=1
	s_andn2_saveexec_b64 s[16:17], s[16:17]
	s_cbranch_execz .LBB29_170
; %bb.169:                              ;   in Loop: Header=BB29_2 Depth=1
	ds_read_b32 v82, v84 offset:4
	s_waitcnt lgkmcnt(1)
	v_mov_b32_e32 v83, v79
.LBB29_170:                             ;   in Loop: Header=BB29_2 Depth=1
	s_or_b64 exec, exec, s[16:17]
	v_add_u32_e32 v85, 1, v80
	v_add_u32_e32 v84, 1, v78
	v_cndmask_b32_e64 v85, v85, v80, s[14:15]
	v_cndmask_b32_e64 v84, v78, v84, s[14:15]
	v_cmp_ge_i32_e64 s[18:19], v85, v38
	s_waitcnt lgkmcnt(0)
	v_cmp_lt_i32_e64 s[20:21], v82, v83
	v_cmp_lt_i32_e64 s[16:17], v84, v39
	s_or_b64 s[18:19], s[18:19], s[20:21]
	s_and_b64 s[16:17], s[16:17], s[18:19]
	s_xor_b64 s[18:19], s[16:17], -1
                                        ; implicit-def: $vgpr86
	s_and_saveexec_b64 s[20:21], s[18:19]
	s_xor_b64 s[18:19], exec, s[20:21]
	s_cbranch_execz .LBB29_172
; %bb.171:                              ;   in Loop: Header=BB29_2 Depth=1
	v_lshlrev_b32_e32 v86, 2, v85
	ds_read_b32 v86, v86 offset:4
.LBB29_172:                             ;   in Loop: Header=BB29_2 Depth=1
	s_or_saveexec_b64 s[18:19], s[18:19]
	v_mov_b32_e32 v87, v82
	s_xor_b64 exec, exec, s[18:19]
	s_cbranch_execz .LBB29_174
; %bb.173:                              ;   in Loop: Header=BB29_2 Depth=1
	s_waitcnt lgkmcnt(0)
	v_lshlrev_b32_e32 v86, 2, v84
	ds_read_b32 v87, v86 offset:4
	v_mov_b32_e32 v86, v83
.LBB29_174:                             ;   in Loop: Header=BB29_2 Depth=1
	s_or_b64 exec, exec, s[18:19]
	v_add_u32_e32 v89, 1, v85
	v_add_u32_e32 v88, 1, v84
	v_cndmask_b32_e64 v89, v89, v85, s[16:17]
	v_cndmask_b32_e64 v88, v84, v88, s[16:17]
	v_cmp_ge_i32_e64 s[20:21], v89, v38
	s_waitcnt lgkmcnt(0)
	v_cmp_lt_i32_e64 s[22:23], v87, v86
	v_cmp_lt_i32_e64 s[18:19], v88, v39
	s_or_b64 s[20:21], s[20:21], s[22:23]
	s_and_b64 s[18:19], s[18:19], s[20:21]
	s_xor_b64 s[20:21], s[18:19], -1
                                        ; implicit-def: $vgpr90
	s_and_saveexec_b64 s[22:23], s[20:21]
	s_xor_b64 s[20:21], exec, s[22:23]
	s_cbranch_execz .LBB29_176
; %bb.175:                              ;   in Loop: Header=BB29_2 Depth=1
	v_lshlrev_b32_e32 v90, 2, v89
	ds_read_b32 v90, v90 offset:4
.LBB29_176:                             ;   in Loop: Header=BB29_2 Depth=1
	s_or_saveexec_b64 s[20:21], s[20:21]
	v_mov_b32_e32 v91, v87
	s_xor_b64 exec, exec, s[20:21]
	s_cbranch_execz .LBB29_178
; %bb.177:                              ;   in Loop: Header=BB29_2 Depth=1
	s_waitcnt lgkmcnt(0)
	v_lshlrev_b32_e32 v90, 2, v88
	ds_read_b32 v91, v90 offset:4
	v_mov_b32_e32 v90, v86
.LBB29_178:                             ;   in Loop: Header=BB29_2 Depth=1
	s_or_b64 exec, exec, s[20:21]
	v_add_u32_e32 v93, 1, v89
	v_add_u32_e32 v92, 1, v88
	v_cndmask_b32_e64 v93, v93, v89, s[18:19]
	v_cndmask_b32_e64 v92, v88, v92, s[18:19]
	v_cmp_ge_i32_e64 s[22:23], v93, v38
	s_waitcnt lgkmcnt(0)
	v_cmp_lt_i32_e64 s[24:25], v91, v90
	v_cmp_lt_i32_e64 s[20:21], v92, v39
	s_or_b64 s[22:23], s[22:23], s[24:25]
	s_and_b64 s[20:21], s[20:21], s[22:23]
	s_xor_b64 s[22:23], s[20:21], -1
                                        ; implicit-def: $vgpr94
	s_and_saveexec_b64 s[24:25], s[22:23]
	s_xor_b64 s[22:23], exec, s[24:25]
	s_cbranch_execz .LBB29_180
; %bb.179:                              ;   in Loop: Header=BB29_2 Depth=1
	v_lshlrev_b32_e32 v94, 2, v93
	ds_read_b32 v94, v94 offset:4
.LBB29_180:                             ;   in Loop: Header=BB29_2 Depth=1
	s_or_saveexec_b64 s[22:23], s[22:23]
	v_mov_b32_e32 v95, v91
	s_xor_b64 exec, exec, s[22:23]
	s_cbranch_execz .LBB29_182
; %bb.181:                              ;   in Loop: Header=BB29_2 Depth=1
	s_waitcnt lgkmcnt(0)
	v_lshlrev_b32_e32 v94, 2, v92
	ds_read_b32 v95, v94 offset:4
	v_mov_b32_e32 v94, v90
.LBB29_182:                             ;   in Loop: Header=BB29_2 Depth=1
	s_or_b64 exec, exec, s[22:23]
	v_add_u32_e32 v97, 1, v93
	v_add_u32_e32 v96, 1, v92
	v_cndmask_b32_e64 v97, v97, v93, s[20:21]
	v_cndmask_b32_e64 v96, v92, v96, s[20:21]
	v_cmp_ge_i32_e64 s[24:25], v97, v38
	s_waitcnt lgkmcnt(0)
	v_cmp_lt_i32_e64 s[26:27], v95, v94
	v_cmp_lt_i32_e64 s[22:23], v96, v39
	s_or_b64 s[24:25], s[24:25], s[26:27]
	s_and_b64 s[22:23], s[22:23], s[24:25]
	s_xor_b64 s[24:25], s[22:23], -1
                                        ; implicit-def: $vgpr98
	s_and_saveexec_b64 s[26:27], s[24:25]
	s_xor_b64 s[24:25], exec, s[26:27]
	s_cbranch_execz .LBB29_184
; %bb.183:                              ;   in Loop: Header=BB29_2 Depth=1
	v_lshlrev_b32_e32 v98, 2, v97
	ds_read_b32 v98, v98 offset:4
.LBB29_184:                             ;   in Loop: Header=BB29_2 Depth=1
	s_or_saveexec_b64 s[24:25], s[24:25]
	v_mov_b32_e32 v99, v95
	s_xor_b64 exec, exec, s[24:25]
	s_cbranch_execz .LBB29_186
; %bb.185:                              ;   in Loop: Header=BB29_2 Depth=1
	s_waitcnt lgkmcnt(0)
	v_lshlrev_b32_e32 v98, 2, v96
	ds_read_b32 v99, v98 offset:4
	v_mov_b32_e32 v98, v94
.LBB29_186:                             ;   in Loop: Header=BB29_2 Depth=1
	s_or_b64 exec, exec, s[24:25]
	v_add_u32_e32 v101, 1, v97
	v_add_u32_e32 v100, 1, v96
	v_cndmask_b32_e64 v101, v101, v97, s[22:23]
	v_cndmask_b32_e64 v100, v96, v100, s[22:23]
	v_cmp_ge_i32_e64 s[26:27], v101, v38
	s_waitcnt lgkmcnt(0)
	v_cmp_lt_i32_e64 s[28:29], v99, v98
	v_cmp_lt_i32_e64 s[24:25], v100, v39
	s_or_b64 s[26:27], s[26:27], s[28:29]
	s_and_b64 s[24:25], s[24:25], s[26:27]
	s_xor_b64 s[26:27], s[24:25], -1
                                        ; implicit-def: $vgpr102
	s_and_saveexec_b64 s[28:29], s[26:27]
	s_xor_b64 s[26:27], exec, s[28:29]
	s_cbranch_execz .LBB29_188
; %bb.187:                              ;   in Loop: Header=BB29_2 Depth=1
	v_lshlrev_b32_e32 v102, 2, v101
	ds_read_b32 v102, v102 offset:4
.LBB29_188:                             ;   in Loop: Header=BB29_2 Depth=1
	s_or_saveexec_b64 s[26:27], s[26:27]
	v_mov_b32_e32 v103, v99
	s_xor_b64 exec, exec, s[26:27]
	s_cbranch_execz .LBB29_190
; %bb.189:                              ;   in Loop: Header=BB29_2 Depth=1
	s_waitcnt lgkmcnt(0)
	v_lshlrev_b32_e32 v102, 2, v100
	ds_read_b32 v103, v102 offset:4
	v_mov_b32_e32 v102, v98
.LBB29_190:                             ;   in Loop: Header=BB29_2 Depth=1
	s_or_b64 exec, exec, s[26:27]
	v_add_u32_e32 v106, 1, v101
	v_add_u32_e32 v104, 1, v100
	v_cndmask_b32_e64 v106, v106, v101, s[24:25]
	v_cndmask_b32_e64 v105, v100, v104, s[24:25]
	v_cmp_ge_i32_e64 s[28:29], v106, v38
	s_waitcnt lgkmcnt(0)
	v_cmp_lt_i32_e64 s[30:31], v103, v102
	v_cmp_lt_i32_e64 s[26:27], v105, v39
	s_or_b64 s[28:29], s[28:29], s[30:31]
	s_and_b64 s[26:27], s[26:27], s[28:29]
	s_xor_b64 s[28:29], s[26:27], -1
                                        ; implicit-def: $vgpr104
	s_and_saveexec_b64 s[30:31], s[28:29]
	s_xor_b64 s[28:29], exec, s[30:31]
	s_cbranch_execz .LBB29_192
; %bb.191:                              ;   in Loop: Header=BB29_2 Depth=1
	v_lshlrev_b32_e32 v104, 2, v106
	ds_read_b32 v104, v104 offset:4
.LBB29_192:                             ;   in Loop: Header=BB29_2 Depth=1
	s_or_saveexec_b64 s[28:29], s[28:29]
	v_mov_b32_e32 v107, v103
	s_xor_b64 exec, exec, s[28:29]
	s_cbranch_execz .LBB29_194
; %bb.193:                              ;   in Loop: Header=BB29_2 Depth=1
	s_waitcnt lgkmcnt(0)
	v_lshlrev_b32_e32 v104, 2, v105
	ds_read_b32 v107, v104 offset:4
	v_mov_b32_e32 v104, v102
.LBB29_194:                             ;   in Loop: Header=BB29_2 Depth=1
	s_or_b64 exec, exec, s[28:29]
	v_add_u32_e32 v108, 1, v106
	v_cndmask_b32_e64 v102, v102, v103, s[26:27]
	v_add_u32_e32 v103, 1, v105
	v_cndmask_b32_e64 v108, v108, v106, s[26:27]
	v_cndmask_b32_e64 v103, v105, v103, s[26:27]
	;; [unrolled: 1-line block ×6, first 2 shown]
	v_cmp_ge_i32_e64 s[16:17], v108, v38
	s_waitcnt lgkmcnt(0)
	v_cmp_lt_i32_e64 s[18:19], v107, v104
	v_cndmask_b32_e64 v79, v79, v81, s[14:15]
	v_cndmask_b32_e64 v78, v80, v78, s[14:15]
	v_cmp_lt_i32_e64 s[14:15], v103, v39
	s_or_b64 s[16:17], s[16:17], s[18:19]
	s_and_b64 s[14:15], s[14:15], s[16:17]
	v_cndmask_b32_e64 v105, v106, v105, s[26:27]
	v_cndmask_b32_e64 v98, v98, v99, s[24:25]
	;; [unrolled: 1-line block ×8, first 2 shown]
	s_barrier
	ds_write2_b32 v2, v70, v71 offset1:1
	ds_write2_b32 v2, v72, v73 offset0:2 offset1:3
	ds_write2_b32 v2, v74, v75 offset0:4 offset1:5
	;; [unrolled: 1-line block ×3, first 2 shown]
	v_lshlrev_b32_e32 v70, 2, v78
	v_lshlrev_b32_e32 v71, 2, v83
	;; [unrolled: 1-line block ×8, first 2 shown]
	s_waitcnt lgkmcnt(0)
	s_barrier
	ds_read_b32 v70, v70
	ds_read_b32 v71, v71
	ds_read_b32 v72, v72
	ds_read_b32 v73, v73
	ds_read_b32 v74, v74
	ds_read_b32 v75, v75
	ds_read_b32 v76, v76
	ds_read_b32 v77, v77
	v_cndmask_b32_e64 v80, v104, v107, s[14:15]
	s_waitcnt lgkmcnt(0)
	s_barrier
	ds_write2_b32 v2, v79, v82 offset1:1
	ds_write2_b32 v2, v86, v90 offset0:2 offset1:3
	ds_write2_b32 v2, v94, v98 offset0:4 offset1:5
	;; [unrolled: 1-line block ×3, first 2 shown]
	v_mov_b32_e32 v80, v47
	s_waitcnt lgkmcnt(0)
	s_barrier
	s_and_saveexec_b64 s[16:17], s[10:11]
	s_cbranch_execz .LBB29_198
; %bb.195:                              ;   in Loop: Header=BB29_2 Depth=1
	s_mov_b64 s[18:19], 0
	v_mov_b32_e32 v80, v47
	v_mov_b32_e32 v78, v48
.LBB29_196:                             ;   Parent Loop BB29_2 Depth=1
                                        ; =>  This Inner Loop Header: Depth=2
	v_sub_u32_e32 v79, v78, v80
	v_lshrrev_b32_e32 v81, 31, v79
	v_add_u32_e32 v79, v79, v81
	v_ashrrev_i32_e32 v79, 1, v79
	v_add_u32_e32 v79, v79, v80
	v_xad_u32 v82, v79, -1, v44
	v_lshl_add_u32 v81, v79, 2, v66
	v_lshl_add_u32 v82, v82, 2, v67
	ds_read_b32 v81, v81
	ds_read_b32 v82, v82
	v_add_u32_e32 v83, 1, v79
	s_waitcnt lgkmcnt(0)
	v_cmp_lt_i32_e64 s[14:15], v82, v81
	s_nop 1
	v_cndmask_b32_e64 v78, v78, v79, s[14:15]
	v_cndmask_b32_e64 v80, v83, v80, s[14:15]
	v_cmp_ge_i32_e64 s[14:15], v80, v78
	s_or_b64 s[18:19], s[14:15], s[18:19]
	s_andn2_b64 exec, exec, s[18:19]
	s_cbranch_execnz .LBB29_196
; %bb.197:                              ;   in Loop: Header=BB29_2 Depth=1
	s_or_b64 exec, exec, s[18:19]
.LBB29_198:                             ;   in Loop: Header=BB29_2 Depth=1
	s_or_b64 exec, exec, s[16:17]
	v_sub_u32_e32 v78, v68, v80
	v_lshl_add_u32 v85, v80, 2, v66
	v_lshlrev_b32_e32 v84, 2, v78
	ds_read_b32 v79, v85
	ds_read_b32 v81, v84
	v_add_u32_e32 v80, v80, v43
	v_cmp_le_i32_e64 s[16:17], v45, v80
	v_cmp_gt_i32_e64 s[14:15], v46, v78
                                        ; implicit-def: $vgpr82
                                        ; implicit-def: $vgpr83
	s_waitcnt lgkmcnt(0)
	v_cmp_lt_i32_e64 s[18:19], v81, v79
	s_or_b64 s[16:17], s[16:17], s[18:19]
	s_and_b64 s[14:15], s[14:15], s[16:17]
	s_xor_b64 s[16:17], s[14:15], -1
	s_and_saveexec_b64 s[18:19], s[16:17]
	s_xor_b64 s[16:17], exec, s[18:19]
	s_cbranch_execz .LBB29_200
; %bb.199:                              ;   in Loop: Header=BB29_2 Depth=1
	ds_read_b32 v83, v85 offset:4
	v_mov_b32_e32 v82, v81
                                        ; implicit-def: $vgpr84
.LBB29_200:                             ;   in Loop: Header=BB29_2 Depth=1
	s_andn2_saveexec_b64 s[16:17], s[16:17]
	s_cbranch_execz .LBB29_202
; %bb.201:                              ;   in Loop: Header=BB29_2 Depth=1
	ds_read_b32 v82, v84 offset:4
	s_waitcnt lgkmcnt(1)
	v_mov_b32_e32 v83, v79
.LBB29_202:                             ;   in Loop: Header=BB29_2 Depth=1
	s_or_b64 exec, exec, s[16:17]
	v_add_u32_e32 v85, 1, v80
	v_add_u32_e32 v84, 1, v78
	v_cndmask_b32_e64 v85, v85, v80, s[14:15]
	v_cndmask_b32_e64 v84, v78, v84, s[14:15]
	v_cmp_ge_i32_e64 s[18:19], v85, v45
	s_waitcnt lgkmcnt(0)
	v_cmp_lt_i32_e64 s[20:21], v82, v83
	v_cmp_lt_i32_e64 s[16:17], v84, v46
	s_or_b64 s[18:19], s[18:19], s[20:21]
	s_and_b64 s[16:17], s[16:17], s[18:19]
	s_xor_b64 s[18:19], s[16:17], -1
                                        ; implicit-def: $vgpr86
	s_and_saveexec_b64 s[20:21], s[18:19]
	s_xor_b64 s[18:19], exec, s[20:21]
	s_cbranch_execz .LBB29_204
; %bb.203:                              ;   in Loop: Header=BB29_2 Depth=1
	v_lshlrev_b32_e32 v86, 2, v85
	ds_read_b32 v86, v86 offset:4
.LBB29_204:                             ;   in Loop: Header=BB29_2 Depth=1
	s_or_saveexec_b64 s[18:19], s[18:19]
	v_mov_b32_e32 v87, v82
	s_xor_b64 exec, exec, s[18:19]
	s_cbranch_execz .LBB29_206
; %bb.205:                              ;   in Loop: Header=BB29_2 Depth=1
	s_waitcnt lgkmcnt(0)
	v_lshlrev_b32_e32 v86, 2, v84
	ds_read_b32 v87, v86 offset:4
	v_mov_b32_e32 v86, v83
.LBB29_206:                             ;   in Loop: Header=BB29_2 Depth=1
	s_or_b64 exec, exec, s[18:19]
	v_add_u32_e32 v89, 1, v85
	v_add_u32_e32 v88, 1, v84
	v_cndmask_b32_e64 v89, v89, v85, s[16:17]
	v_cndmask_b32_e64 v88, v84, v88, s[16:17]
	v_cmp_ge_i32_e64 s[20:21], v89, v45
	s_waitcnt lgkmcnt(0)
	v_cmp_lt_i32_e64 s[22:23], v87, v86
	v_cmp_lt_i32_e64 s[18:19], v88, v46
	s_or_b64 s[20:21], s[20:21], s[22:23]
	s_and_b64 s[18:19], s[18:19], s[20:21]
	s_xor_b64 s[20:21], s[18:19], -1
                                        ; implicit-def: $vgpr90
	s_and_saveexec_b64 s[22:23], s[20:21]
	s_xor_b64 s[20:21], exec, s[22:23]
	s_cbranch_execz .LBB29_208
; %bb.207:                              ;   in Loop: Header=BB29_2 Depth=1
	v_lshlrev_b32_e32 v90, 2, v89
	ds_read_b32 v90, v90 offset:4
.LBB29_208:                             ;   in Loop: Header=BB29_2 Depth=1
	s_or_saveexec_b64 s[20:21], s[20:21]
	v_mov_b32_e32 v91, v87
	s_xor_b64 exec, exec, s[20:21]
	s_cbranch_execz .LBB29_210
; %bb.209:                              ;   in Loop: Header=BB29_2 Depth=1
	s_waitcnt lgkmcnt(0)
	v_lshlrev_b32_e32 v90, 2, v88
	ds_read_b32 v91, v90 offset:4
	v_mov_b32_e32 v90, v86
.LBB29_210:                             ;   in Loop: Header=BB29_2 Depth=1
	s_or_b64 exec, exec, s[20:21]
	v_add_u32_e32 v93, 1, v89
	v_add_u32_e32 v92, 1, v88
	v_cndmask_b32_e64 v93, v93, v89, s[18:19]
	v_cndmask_b32_e64 v92, v88, v92, s[18:19]
	v_cmp_ge_i32_e64 s[22:23], v93, v45
	s_waitcnt lgkmcnt(0)
	v_cmp_lt_i32_e64 s[24:25], v91, v90
	v_cmp_lt_i32_e64 s[20:21], v92, v46
	s_or_b64 s[22:23], s[22:23], s[24:25]
	s_and_b64 s[20:21], s[20:21], s[22:23]
	s_xor_b64 s[22:23], s[20:21], -1
                                        ; implicit-def: $vgpr94
	s_and_saveexec_b64 s[24:25], s[22:23]
	s_xor_b64 s[22:23], exec, s[24:25]
	s_cbranch_execz .LBB29_212
; %bb.211:                              ;   in Loop: Header=BB29_2 Depth=1
	v_lshlrev_b32_e32 v94, 2, v93
	ds_read_b32 v94, v94 offset:4
.LBB29_212:                             ;   in Loop: Header=BB29_2 Depth=1
	s_or_saveexec_b64 s[22:23], s[22:23]
	v_mov_b32_e32 v95, v91
	s_xor_b64 exec, exec, s[22:23]
	s_cbranch_execz .LBB29_214
; %bb.213:                              ;   in Loop: Header=BB29_2 Depth=1
	s_waitcnt lgkmcnt(0)
	v_lshlrev_b32_e32 v94, 2, v92
	ds_read_b32 v95, v94 offset:4
	v_mov_b32_e32 v94, v90
.LBB29_214:                             ;   in Loop: Header=BB29_2 Depth=1
	s_or_b64 exec, exec, s[22:23]
	v_add_u32_e32 v97, 1, v93
	v_add_u32_e32 v96, 1, v92
	v_cndmask_b32_e64 v97, v97, v93, s[20:21]
	v_cndmask_b32_e64 v96, v92, v96, s[20:21]
	v_cmp_ge_i32_e64 s[24:25], v97, v45
	s_waitcnt lgkmcnt(0)
	v_cmp_lt_i32_e64 s[26:27], v95, v94
	v_cmp_lt_i32_e64 s[22:23], v96, v46
	s_or_b64 s[24:25], s[24:25], s[26:27]
	s_and_b64 s[22:23], s[22:23], s[24:25]
	s_xor_b64 s[24:25], s[22:23], -1
                                        ; implicit-def: $vgpr98
	s_and_saveexec_b64 s[26:27], s[24:25]
	s_xor_b64 s[24:25], exec, s[26:27]
	s_cbranch_execz .LBB29_216
; %bb.215:                              ;   in Loop: Header=BB29_2 Depth=1
	v_lshlrev_b32_e32 v98, 2, v97
	ds_read_b32 v98, v98 offset:4
.LBB29_216:                             ;   in Loop: Header=BB29_2 Depth=1
	s_or_saveexec_b64 s[24:25], s[24:25]
	v_mov_b32_e32 v99, v95
	s_xor_b64 exec, exec, s[24:25]
	s_cbranch_execz .LBB29_218
; %bb.217:                              ;   in Loop: Header=BB29_2 Depth=1
	s_waitcnt lgkmcnt(0)
	v_lshlrev_b32_e32 v98, 2, v96
	ds_read_b32 v99, v98 offset:4
	v_mov_b32_e32 v98, v94
.LBB29_218:                             ;   in Loop: Header=BB29_2 Depth=1
	s_or_b64 exec, exec, s[24:25]
	v_add_u32_e32 v101, 1, v97
	v_add_u32_e32 v100, 1, v96
	v_cndmask_b32_e64 v101, v101, v97, s[22:23]
	v_cndmask_b32_e64 v100, v96, v100, s[22:23]
	v_cmp_ge_i32_e64 s[26:27], v101, v45
	s_waitcnt lgkmcnt(0)
	v_cmp_lt_i32_e64 s[28:29], v99, v98
	v_cmp_lt_i32_e64 s[24:25], v100, v46
	s_or_b64 s[26:27], s[26:27], s[28:29]
	s_and_b64 s[24:25], s[24:25], s[26:27]
	s_xor_b64 s[26:27], s[24:25], -1
                                        ; implicit-def: $vgpr102
	s_and_saveexec_b64 s[28:29], s[26:27]
	s_xor_b64 s[26:27], exec, s[28:29]
	s_cbranch_execz .LBB29_220
; %bb.219:                              ;   in Loop: Header=BB29_2 Depth=1
	v_lshlrev_b32_e32 v102, 2, v101
	ds_read_b32 v102, v102 offset:4
.LBB29_220:                             ;   in Loop: Header=BB29_2 Depth=1
	s_or_saveexec_b64 s[26:27], s[26:27]
	v_mov_b32_e32 v103, v99
	s_xor_b64 exec, exec, s[26:27]
	s_cbranch_execz .LBB29_222
; %bb.221:                              ;   in Loop: Header=BB29_2 Depth=1
	s_waitcnt lgkmcnt(0)
	v_lshlrev_b32_e32 v102, 2, v100
	ds_read_b32 v103, v102 offset:4
	v_mov_b32_e32 v102, v98
.LBB29_222:                             ;   in Loop: Header=BB29_2 Depth=1
	s_or_b64 exec, exec, s[26:27]
	v_add_u32_e32 v106, 1, v101
	v_add_u32_e32 v104, 1, v100
	v_cndmask_b32_e64 v106, v106, v101, s[24:25]
	v_cndmask_b32_e64 v105, v100, v104, s[24:25]
	v_cmp_ge_i32_e64 s[28:29], v106, v45
	s_waitcnt lgkmcnt(0)
	v_cmp_lt_i32_e64 s[30:31], v103, v102
	v_cmp_lt_i32_e64 s[26:27], v105, v46
	s_or_b64 s[28:29], s[28:29], s[30:31]
	s_and_b64 s[26:27], s[26:27], s[28:29]
	s_xor_b64 s[28:29], s[26:27], -1
                                        ; implicit-def: $vgpr104
	s_and_saveexec_b64 s[30:31], s[28:29]
	s_xor_b64 s[28:29], exec, s[30:31]
	s_cbranch_execz .LBB29_224
; %bb.223:                              ;   in Loop: Header=BB29_2 Depth=1
	v_lshlrev_b32_e32 v104, 2, v106
	ds_read_b32 v104, v104 offset:4
.LBB29_224:                             ;   in Loop: Header=BB29_2 Depth=1
	s_or_saveexec_b64 s[28:29], s[28:29]
	v_mov_b32_e32 v107, v103
	s_xor_b64 exec, exec, s[28:29]
	s_cbranch_execz .LBB29_226
; %bb.225:                              ;   in Loop: Header=BB29_2 Depth=1
	s_waitcnt lgkmcnt(0)
	v_lshlrev_b32_e32 v104, 2, v105
	ds_read_b32 v107, v104 offset:4
	v_mov_b32_e32 v104, v102
.LBB29_226:                             ;   in Loop: Header=BB29_2 Depth=1
	s_or_b64 exec, exec, s[28:29]
	v_add_u32_e32 v108, 1, v106
	v_cndmask_b32_e64 v102, v102, v103, s[26:27]
	v_add_u32_e32 v103, 1, v105
	v_cndmask_b32_e64 v108, v108, v106, s[26:27]
	v_cndmask_b32_e64 v103, v105, v103, s[26:27]
	;; [unrolled: 1-line block ×6, first 2 shown]
	v_cmp_ge_i32_e64 s[16:17], v108, v45
	s_waitcnt lgkmcnt(0)
	v_cmp_lt_i32_e64 s[18:19], v107, v104
	v_cndmask_b32_e64 v79, v79, v81, s[14:15]
	v_cndmask_b32_e64 v78, v80, v78, s[14:15]
	v_cmp_lt_i32_e64 s[14:15], v103, v46
	s_or_b64 s[16:17], s[16:17], s[18:19]
	s_and_b64 s[14:15], s[14:15], s[16:17]
	v_cndmask_b32_e64 v105, v106, v105, s[26:27]
	v_cndmask_b32_e64 v98, v98, v99, s[24:25]
	;; [unrolled: 1-line block ×8, first 2 shown]
	s_barrier
	ds_write2_b32 v2, v70, v71 offset1:1
	ds_write2_b32 v2, v72, v73 offset0:2 offset1:3
	ds_write2_b32 v2, v74, v75 offset0:4 offset1:5
	;; [unrolled: 1-line block ×3, first 2 shown]
	v_lshlrev_b32_e32 v70, 2, v78
	v_lshlrev_b32_e32 v71, 2, v83
	;; [unrolled: 1-line block ×8, first 2 shown]
	s_waitcnt lgkmcnt(0)
	s_barrier
	ds_read_b32 v70, v70
	ds_read_b32 v71, v71
	;; [unrolled: 1-line block ×8, first 2 shown]
	v_mov_b32_e32 v78, v49
	v_cndmask_b32_e64 v80, v104, v107, s[14:15]
	s_waitcnt lgkmcnt(0)
	s_barrier
	ds_write2_b32 v2, v79, v82 offset1:1
	ds_write2_b32 v2, v86, v90 offset0:2 offset1:3
	ds_write2_b32 v2, v94, v98 offset0:4 offset1:5
	ds_write2_b32 v2, v102, v80 offset0:6 offset1:7
	s_waitcnt lgkmcnt(0)
	s_barrier
	s_and_saveexec_b64 s[16:17], s[12:13]
	s_cbranch_execz .LBB29_230
; %bb.227:                              ;   in Loop: Header=BB29_2 Depth=1
	s_mov_b64 s[18:19], 0
	v_mov_b32_e32 v78, v49
	v_mov_b32_e32 v79, v50
.LBB29_228:                             ;   Parent Loop BB29_2 Depth=1
                                        ; =>  This Inner Loop Header: Depth=2
	v_sub_u32_e32 v80, v79, v78
	v_lshrrev_b32_e32 v81, 31, v80
	v_add_u32_e32 v80, v80, v81
	v_ashrrev_i32_e32 v80, 1, v80
	v_add_u32_e32 v80, v80, v78
	v_xad_u32 v82, v80, -1, v1
	v_mov_b32_e32 v83, 0x1000
	v_lshlrev_b32_e32 v81, 2, v80
	v_lshl_add_u32 v82, v82, 2, v83
	ds_read_b32 v81, v81
	ds_read_b32 v82, v82
	v_add_u32_e32 v83, 1, v80
	s_waitcnt lgkmcnt(0)
	v_cmp_lt_i32_e64 s[14:15], v82, v81
	s_nop 1
	v_cndmask_b32_e64 v79, v79, v80, s[14:15]
	v_cndmask_b32_e64 v78, v83, v78, s[14:15]
	v_cmp_ge_i32_e64 s[14:15], v78, v79
	s_or_b64 s[18:19], s[14:15], s[18:19]
	s_andn2_b64 exec, exec, s[18:19]
	s_cbranch_execnz .LBB29_228
; %bb.229:                              ;   in Loop: Header=BB29_2 Depth=1
	s_or_b64 exec, exec, s[18:19]
.LBB29_230:                             ;   in Loop: Header=BB29_2 Depth=1
	s_or_b64 exec, exec, s[16:17]
	v_sub_u32_e32 v79, v69, v78
	v_lshlrev_b32_e32 v85, 2, v78
	v_lshlrev_b32_e32 v84, 2, v79
	ds_read_b32 v80, v85
	ds_read_b32 v81, v84
	v_cmp_le_i32_e64 s[16:17], v42, v78
	v_cmp_gt_i32_e64 s[14:15], s33, v79
                                        ; implicit-def: $vgpr82
                                        ; implicit-def: $vgpr83
	s_waitcnt lgkmcnt(0)
	v_cmp_lt_i32_e64 s[18:19], v81, v80
	s_or_b64 s[16:17], s[16:17], s[18:19]
	s_and_b64 s[14:15], s[14:15], s[16:17]
	s_xor_b64 s[16:17], s[14:15], -1
	s_and_saveexec_b64 s[18:19], s[16:17]
	s_xor_b64 s[16:17], exec, s[18:19]
	s_cbranch_execz .LBB29_232
; %bb.231:                              ;   in Loop: Header=BB29_2 Depth=1
	ds_read_b32 v83, v85 offset:4
	v_mov_b32_e32 v82, v81
                                        ; implicit-def: $vgpr84
.LBB29_232:                             ;   in Loop: Header=BB29_2 Depth=1
	s_andn2_saveexec_b64 s[16:17], s[16:17]
	s_cbranch_execz .LBB29_234
; %bb.233:                              ;   in Loop: Header=BB29_2 Depth=1
	ds_read_b32 v82, v84 offset:4
	s_waitcnt lgkmcnt(1)
	v_mov_b32_e32 v83, v80
.LBB29_234:                             ;   in Loop: Header=BB29_2 Depth=1
	s_or_b64 exec, exec, s[16:17]
	v_add_u32_e32 v86, 1, v78
	v_add_u32_e32 v84, 1, v79
	v_cndmask_b32_e64 v86, v86, v78, s[14:15]
	v_cndmask_b32_e64 v85, v79, v84, s[14:15]
	v_cmp_ge_i32_e64 s[18:19], v86, v42
	s_waitcnt lgkmcnt(0)
	v_cmp_lt_i32_e64 s[20:21], v82, v83
	v_cmp_gt_i32_e64 s[16:17], s33, v85
	s_or_b64 s[18:19], s[18:19], s[20:21]
	s_and_b64 s[16:17], s[16:17], s[18:19]
	s_xor_b64 s[18:19], s[16:17], -1
                                        ; implicit-def: $vgpr84
	s_and_saveexec_b64 s[20:21], s[18:19]
	s_xor_b64 s[18:19], exec, s[20:21]
	s_cbranch_execz .LBB29_236
; %bb.235:                              ;   in Loop: Header=BB29_2 Depth=1
	v_lshlrev_b32_e32 v84, 2, v86
	ds_read_b32 v84, v84 offset:4
.LBB29_236:                             ;   in Loop: Header=BB29_2 Depth=1
	s_or_saveexec_b64 s[18:19], s[18:19]
	v_mov_b32_e32 v87, v82
	s_xor_b64 exec, exec, s[18:19]
	s_cbranch_execz .LBB29_238
; %bb.237:                              ;   in Loop: Header=BB29_2 Depth=1
	s_waitcnt lgkmcnt(0)
	v_lshlrev_b32_e32 v84, 2, v85
	ds_read_b32 v87, v84 offset:4
	v_mov_b32_e32 v84, v83
.LBB29_238:                             ;   in Loop: Header=BB29_2 Depth=1
	s_or_b64 exec, exec, s[18:19]
	v_add_u32_e32 v89, 1, v86
	v_add_u32_e32 v88, 1, v85
	v_cndmask_b32_e64 v89, v89, v86, s[16:17]
	v_cndmask_b32_e64 v88, v85, v88, s[16:17]
	v_cmp_ge_i32_e64 s[20:21], v89, v42
	s_waitcnt lgkmcnt(0)
	v_cmp_lt_i32_e64 s[22:23], v87, v84
	v_cmp_gt_i32_e64 s[18:19], s33, v88
	s_or_b64 s[20:21], s[20:21], s[22:23]
	s_and_b64 s[18:19], s[18:19], s[20:21]
	s_xor_b64 s[20:21], s[18:19], -1
                                        ; implicit-def: $vgpr90
	s_and_saveexec_b64 s[22:23], s[20:21]
	s_xor_b64 s[20:21], exec, s[22:23]
	s_cbranch_execz .LBB29_240
; %bb.239:                              ;   in Loop: Header=BB29_2 Depth=1
	v_lshlrev_b32_e32 v90, 2, v89
	ds_read_b32 v90, v90 offset:4
.LBB29_240:                             ;   in Loop: Header=BB29_2 Depth=1
	s_or_saveexec_b64 s[20:21], s[20:21]
	v_mov_b32_e32 v91, v87
	s_xor_b64 exec, exec, s[20:21]
	s_cbranch_execz .LBB29_242
; %bb.241:                              ;   in Loop: Header=BB29_2 Depth=1
	s_waitcnt lgkmcnt(0)
	v_lshlrev_b32_e32 v90, 2, v88
	ds_read_b32 v91, v90 offset:4
	v_mov_b32_e32 v90, v84
.LBB29_242:                             ;   in Loop: Header=BB29_2 Depth=1
	s_or_b64 exec, exec, s[20:21]
	v_add_u32_e32 v93, 1, v89
	v_add_u32_e32 v92, 1, v88
	v_cndmask_b32_e64 v93, v93, v89, s[18:19]
	v_cndmask_b32_e64 v92, v88, v92, s[18:19]
	v_cmp_ge_i32_e64 s[22:23], v93, v42
	s_waitcnt lgkmcnt(0)
	v_cmp_lt_i32_e64 s[24:25], v91, v90
	v_cmp_gt_i32_e64 s[20:21], s33, v92
	s_or_b64 s[22:23], s[22:23], s[24:25]
	s_and_b64 s[20:21], s[20:21], s[22:23]
	s_xor_b64 s[22:23], s[20:21], -1
                                        ; implicit-def: $vgpr95
	s_and_saveexec_b64 s[24:25], s[22:23]
	s_xor_b64 s[22:23], exec, s[24:25]
	s_cbranch_execz .LBB29_244
; %bb.243:                              ;   in Loop: Header=BB29_2 Depth=1
	v_lshlrev_b32_e32 v94, 2, v93
	ds_read_b32 v95, v94 offset:4
.LBB29_244:                             ;   in Loop: Header=BB29_2 Depth=1
	s_or_saveexec_b64 s[22:23], s[22:23]
	v_mov_b32_e32 v97, v91
	s_xor_b64 exec, exec, s[22:23]
	s_cbranch_execz .LBB29_246
; %bb.245:                              ;   in Loop: Header=BB29_2 Depth=1
	v_lshlrev_b32_e32 v94, 2, v92
	ds_read_b32 v97, v94 offset:4
	s_waitcnt lgkmcnt(1)
	v_mov_b32_e32 v95, v90
.LBB29_246:                             ;   in Loop: Header=BB29_2 Depth=1
	s_or_b64 exec, exec, s[22:23]
	v_add_u32_e32 v96, 1, v93
	v_add_u32_e32 v94, 1, v92
	v_cndmask_b32_e64 v99, v96, v93, s[20:21]
	v_cndmask_b32_e64 v98, v92, v94, s[20:21]
	v_cmp_ge_i32_e64 s[24:25], v99, v42
	s_waitcnt lgkmcnt(0)
	v_cmp_lt_i32_e64 s[26:27], v97, v95
	v_cmp_gt_i32_e64 s[22:23], s33, v98
	s_or_b64 s[24:25], s[24:25], s[26:27]
	s_and_b64 s[24:25], s[22:23], s[24:25]
	s_xor_b64 s[22:23], s[24:25], -1
                                        ; implicit-def: $vgpr94
	s_and_saveexec_b64 s[26:27], s[22:23]
	s_xor_b64 s[22:23], exec, s[26:27]
	s_cbranch_execz .LBB29_248
; %bb.247:                              ;   in Loop: Header=BB29_2 Depth=1
	v_lshlrev_b32_e32 v94, 2, v99
	ds_read_b32 v94, v94 offset:4
.LBB29_248:                             ;   in Loop: Header=BB29_2 Depth=1
	s_or_saveexec_b64 s[22:23], s[22:23]
	v_mov_b32_e32 v96, v97
	s_xor_b64 exec, exec, s[22:23]
	s_cbranch_execz .LBB29_250
; %bb.249:                              ;   in Loop: Header=BB29_2 Depth=1
	s_waitcnt lgkmcnt(0)
	v_lshlrev_b32_e32 v94, 2, v98
	ds_read_b32 v96, v94 offset:4
	v_mov_b32_e32 v94, v95
.LBB29_250:                             ;   in Loop: Header=BB29_2 Depth=1
	s_or_b64 exec, exec, s[22:23]
	v_add_u32_e32 v101, 1, v99
	v_add_u32_e32 v100, 1, v98
	v_cndmask_b32_e64 v103, v101, v99, s[24:25]
	v_cndmask_b32_e64 v102, v98, v100, s[24:25]
	v_cmp_ge_i32_e64 s[26:27], v103, v42
	s_waitcnt lgkmcnt(0)
	v_cmp_lt_i32_e64 s[28:29], v96, v94
	v_cmp_gt_i32_e64 s[22:23], s33, v102
	s_or_b64 s[26:27], s[26:27], s[28:29]
	s_and_b64 s[22:23], s[22:23], s[26:27]
	s_xor_b64 s[26:27], s[22:23], -1
                                        ; implicit-def: $vgpr100
	s_and_saveexec_b64 s[28:29], s[26:27]
	s_xor_b64 s[26:27], exec, s[28:29]
	s_cbranch_execz .LBB29_252
; %bb.251:                              ;   in Loop: Header=BB29_2 Depth=1
	v_lshlrev_b32_e32 v100, 2, v103
	ds_read_b32 v100, v100 offset:4
.LBB29_252:                             ;   in Loop: Header=BB29_2 Depth=1
	s_or_saveexec_b64 s[26:27], s[26:27]
	v_mov_b32_e32 v101, v96
	s_xor_b64 exec, exec, s[26:27]
	s_cbranch_execz .LBB29_254
; %bb.253:                              ;   in Loop: Header=BB29_2 Depth=1
	s_waitcnt lgkmcnt(0)
	v_lshlrev_b32_e32 v100, 2, v102
	ds_read_b32 v101, v100 offset:4
	v_mov_b32_e32 v100, v94
.LBB29_254:                             ;   in Loop: Header=BB29_2 Depth=1
	s_or_b64 exec, exec, s[26:27]
	v_add_u32_e32 v105, 1, v103
	v_add_u32_e32 v104, 1, v102
	v_cndmask_b32_e64 v108, v105, v103, s[22:23]
	v_cndmask_b32_e64 v104, v102, v104, s[22:23]
	v_cmp_ge_i32_e64 s[28:29], v108, v42
	s_waitcnt lgkmcnt(0)
	v_cmp_lt_i32_e64 s[30:31], v101, v100
	v_cmp_gt_i32_e64 s[26:27], s33, v104
	s_or_b64 s[28:29], s[28:29], s[30:31]
	s_and_b64 s[26:27], s[26:27], s[28:29]
	s_xor_b64 s[28:29], s[26:27], -1
                                        ; implicit-def: $vgpr107
                                        ; implicit-def: $vgpr106
	s_and_saveexec_b64 s[30:31], s[28:29]
	s_xor_b64 s[28:29], exec, s[30:31]
	s_cbranch_execz .LBB29_256
; %bb.255:                              ;   in Loop: Header=BB29_2 Depth=1
	v_lshlrev_b32_e32 v105, 2, v108
	ds_read_b32 v107, v105 offset:4
	v_add_u32_e32 v106, 1, v108
.LBB29_256:                             ;   in Loop: Header=BB29_2 Depth=1
	s_or_saveexec_b64 s[28:29], s[28:29]
	v_mov_b32_e32 v105, v108
	v_mov_b32_e32 v109, v101
	s_xor_b64 exec, exec, s[28:29]
	s_cbranch_execz .LBB29_1
; %bb.257:                              ;   in Loop: Header=BB29_2 Depth=1
	v_lshlrev_b32_e32 v105, 2, v104
	ds_read_b32 v109, v105 offset:4
	s_waitcnt lgkmcnt(1)
	v_add_u32_e32 v107, 1, v104
	v_mov_b32_e32 v105, v104
	v_mov_b32_e32 v106, v108
	;; [unrolled: 1-line block ×4, first 2 shown]
	s_branch .LBB29_1
.LBB29_258:
	s_add_u32 s0, s90, s92
	s_addc_u32 s1, s91, s93
	v_lshlrev_b32_e32 v0, 2, v0
	v_mov_b32_e32 v1, 0
	s_waitcnt lgkmcnt(7)
	v_add_u32_e32 v4, v81, v70
	v_lshl_add_u64 v[2:3], s[0:1], 0, v[0:1]
	s_waitcnt lgkmcnt(6)
	v_add_u32_e32 v5, v83, v74
	s_waitcnt lgkmcnt(5)
	v_add_u32_e32 v6, v80, v71
	;; [unrolled: 2-line block ×3, first 2 shown]
	global_store_dword v0, v4, s[0:1]
	global_store_dword v0, v5, s[0:1] offset:1024
	global_store_dword v0, v6, s[0:1] offset:2048
	;; [unrolled: 1-line block ×3, first 2 shown]
	v_add_co_u32_e32 v0, vcc, 0x1000, v2
	s_waitcnt lgkmcnt(3)
	v_add_u32_e32 v8, v84, v72
	v_addc_co_u32_e32 v1, vcc, 0, v3, vcc
	s_waitcnt lgkmcnt(2)
	v_add_u32_e32 v9, v79, v76
	s_waitcnt lgkmcnt(1)
	v_add_u32_e32 v10, v85, v73
	;; [unrolled: 2-line block ×3, first 2 shown]
	global_store_dword v[0:1], v8, off
	global_store_dword v[0:1], v9, off offset:1024
	global_store_dword v[0:1], v10, off offset:2048
	;; [unrolled: 1-line block ×3, first 2 shown]
	s_endpgm
	.section	.rodata,"a",@progbits
	.p2align	6, 0x0
	.amdhsa_kernel _Z17sort_pairs_kernelIiLj256ELj8EN10test_utils4lessELj10EEvPKT_PS2_T2_
		.amdhsa_group_segment_fixed_size 8196
		.amdhsa_private_segment_fixed_size 0
		.amdhsa_kernarg_size 20
		.amdhsa_user_sgpr_count 2
		.amdhsa_user_sgpr_dispatch_ptr 0
		.amdhsa_user_sgpr_queue_ptr 0
		.amdhsa_user_sgpr_kernarg_segment_ptr 1
		.amdhsa_user_sgpr_dispatch_id 0
		.amdhsa_user_sgpr_kernarg_preload_length 0
		.amdhsa_user_sgpr_kernarg_preload_offset 0
		.amdhsa_user_sgpr_private_segment_size 0
		.amdhsa_uses_dynamic_stack 0
		.amdhsa_enable_private_segment 0
		.amdhsa_system_sgpr_workgroup_id_x 1
		.amdhsa_system_sgpr_workgroup_id_y 0
		.amdhsa_system_sgpr_workgroup_id_z 0
		.amdhsa_system_sgpr_workgroup_info 0
		.amdhsa_system_vgpr_workitem_id 0
		.amdhsa_next_free_vgpr 110
		.amdhsa_next_free_sgpr 96
		.amdhsa_accum_offset 112
		.amdhsa_reserve_vcc 1
		.amdhsa_float_round_mode_32 0
		.amdhsa_float_round_mode_16_64 0
		.amdhsa_float_denorm_mode_32 3
		.amdhsa_float_denorm_mode_16_64 3
		.amdhsa_dx10_clamp 1
		.amdhsa_ieee_mode 1
		.amdhsa_fp16_overflow 0
		.amdhsa_tg_split 0
		.amdhsa_exception_fp_ieee_invalid_op 0
		.amdhsa_exception_fp_denorm_src 0
		.amdhsa_exception_fp_ieee_div_zero 0
		.amdhsa_exception_fp_ieee_overflow 0
		.amdhsa_exception_fp_ieee_underflow 0
		.amdhsa_exception_fp_ieee_inexact 0
		.amdhsa_exception_int_div_zero 0
	.end_amdhsa_kernel
	.section	.text._Z17sort_pairs_kernelIiLj256ELj8EN10test_utils4lessELj10EEvPKT_PS2_T2_,"axG",@progbits,_Z17sort_pairs_kernelIiLj256ELj8EN10test_utils4lessELj10EEvPKT_PS2_T2_,comdat
.Lfunc_end29:
	.size	_Z17sort_pairs_kernelIiLj256ELj8EN10test_utils4lessELj10EEvPKT_PS2_T2_, .Lfunc_end29-_Z17sort_pairs_kernelIiLj256ELj8EN10test_utils4lessELj10EEvPKT_PS2_T2_
                                        ; -- End function
	.section	.AMDGPU.csdata,"",@progbits
; Kernel info:
; codeLenInByte = 13404
; NumSgprs: 102
; NumVgprs: 110
; NumAgprs: 0
; TotalNumVgprs: 110
; ScratchSize: 0
; MemoryBound: 0
; FloatMode: 240
; IeeeMode: 1
; LDSByteSize: 8196 bytes/workgroup (compile time only)
; SGPRBlocks: 12
; VGPRBlocks: 13
; NumSGPRsForWavesPerEU: 102
; NumVGPRsForWavesPerEU: 110
; AccumOffset: 112
; Occupancy: 4
; WaveLimiterHint : 1
; COMPUTE_PGM_RSRC2:SCRATCH_EN: 0
; COMPUTE_PGM_RSRC2:USER_SGPR: 2
; COMPUTE_PGM_RSRC2:TRAP_HANDLER: 0
; COMPUTE_PGM_RSRC2:TGID_X_EN: 1
; COMPUTE_PGM_RSRC2:TGID_Y_EN: 0
; COMPUTE_PGM_RSRC2:TGID_Z_EN: 0
; COMPUTE_PGM_RSRC2:TIDIG_COMP_CNT: 0
; COMPUTE_PGM_RSRC3_GFX90A:ACCUM_OFFSET: 27
; COMPUTE_PGM_RSRC3_GFX90A:TG_SPLIT: 0
	.section	.text._Z16sort_keys_kernelIiLj512ELj1EN10test_utils4lessELj10EEvPKT_PS2_T2_,"axG",@progbits,_Z16sort_keys_kernelIiLj512ELj1EN10test_utils4lessELj10EEvPKT_PS2_T2_,comdat
	.protected	_Z16sort_keys_kernelIiLj512ELj1EN10test_utils4lessELj10EEvPKT_PS2_T2_ ; -- Begin function _Z16sort_keys_kernelIiLj512ELj1EN10test_utils4lessELj10EEvPKT_PS2_T2_
	.globl	_Z16sort_keys_kernelIiLj512ELj1EN10test_utils4lessELj10EEvPKT_PS2_T2_
	.p2align	8
	.type	_Z16sort_keys_kernelIiLj512ELj1EN10test_utils4lessELj10EEvPKT_PS2_T2_,@function
_Z16sort_keys_kernelIiLj512ELj1EN10test_utils4lessELj10EEvPKT_PS2_T2_: ; @_Z16sort_keys_kernelIiLj512ELj1EN10test_utils4lessELj10EEvPKT_PS2_T2_
; %bb.0:
	s_load_dwordx4 s[20:23], s[0:1], 0x0
	s_lshl_b32 s24, s2, 9
	s_mov_b32 s25, 0
	s_lshl_b64 s[26:27], s[24:25], 2
	v_lshlrev_b32_e32 v23, 2, v0
	s_waitcnt lgkmcnt(0)
	s_add_u32 s4, s20, s26
	s_addc_u32 s5, s21, s27
	global_load_dword v70, v23, s[4:5]
	v_and_b32_e32 v51, 0x180, v0
	v_or_b32_e32 v57, 64, v51
	v_add_u32_e32 v49, 0x80, v51
	v_and_b32_e32 v10, 0x1fc, v0
	v_and_b32_e32 v18, 0x1f8, v0
	;; [unrolled: 1-line block ×6, first 2 shown]
	v_sub_u32_e32 v52, v49, v57
	v_and_b32_e32 v59, 0x100, v0
	v_and_b32_e32 v4, 0x1fe, v0
	v_or_b32_e32 v14, 2, v10
	v_add_u32_e32 v8, 4, v10
	v_or_b32_e32 v22, 4, v18
	v_add_u32_e32 v16, 8, v18
	;; [unrolled: 2-line block ×5, first 2 shown]
	v_sub_u32_e32 v53, v48, v52
	v_cmp_ge_i32_e64 s[10:11], v48, v52
	v_or_b32_e32 v63, 0x80, v59
	v_add_u32_e32 v54, 0x100, v59
	v_and_b32_e32 v1, 1, v0
	v_or_b32_e32 v2, 1, v4
	v_and_b32_e32 v7, 3, v0
	v_sub_u32_e32 v12, v8, v14
	v_and_b32_e32 v15, 7, v0
	v_sub_u32_e32 v20, v16, v22
	;; [unrolled: 2-line block ×5, first 2 shown]
	v_cndmask_b32_e64 v52, 0, v53, s[10:11]
	v_and_b32_e32 v53, 0xff, v0
	v_sub_u32_e32 v60, v54, v63
	v_sub_u32_e32 v3, v2, v4
	v_add_u32_e32 v5, -1, v1
	v_cmp_lt_i32_e32 vcc, 0, v1
	v_sub_u32_e32 v9, v14, v10
	v_sub_u32_e32 v13, v7, v12
	v_cmp_ge_i32_e64 s[0:1], v7, v12
	v_sub_u32_e32 v17, v22, v18
	v_sub_u32_e32 v21, v15, v20
	v_cmp_ge_i32_e64 s[2:3], v15, v20
	v_sub_u32_e32 v26, v31, v27
	v_sub_u32_e32 v30, v24, v29
	v_cmp_ge_i32_e64 s[4:5], v24, v29
	v_sub_u32_e32 v34, v39, v35
	v_sub_u32_e32 v38, v32, v37
	v_cmp_ge_i32_e64 s[6:7], v32, v37
	v_sub_u32_e32 v42, v47, v43
	v_sub_u32_e32 v46, v40, v45
	v_cmp_ge_i32_e64 s[8:9], v40, v45
	v_sub_u32_e32 v50, v57, v51
	v_sub_u32_e32 v61, v53, v60
	;; [unrolled: 1-line block ×3, first 2 shown]
	v_cmp_ge_i32_e64 s[12:13], v53, v60
	v_mov_b32_e32 v64, 0x100
	v_cndmask_b32_e32 v5, 0, v5, vcc
	v_min_i32_e32 v6, v1, v3
	v_cndmask_b32_e64 v12, 0, v13, s[0:1]
	v_min_i32_e32 v13, v7, v9
	v_cndmask_b32_e64 v20, 0, v21, s[2:3]
	;; [unrolled: 2-line block ×5, first 2 shown]
	v_min_i32_e32 v46, v40, v42
	v_min_i32_e32 v55, v48, v50
	v_cndmask_b32_e64 v60, 0, v61, s[12:13]
	v_min_i32_e32 v61, v53, v58
	v_sub_u32_e64 v65, v0, v64 clamp
	v_min_i32_e32 v66, 0x100, v0
	v_lshlrev_b32_e32 v4, 2, v4
	v_cmp_lt_i32_e32 vcc, v5, v6
	v_lshlrev_b32_e32 v10, 2, v10
	v_lshlrev_b32_e32 v11, 2, v14
	v_cmp_lt_i32_e64 s[0:1], v12, v13
	v_add_u32_e32 v14, v14, v7
	v_lshlrev_b32_e32 v18, 2, v18
	v_lshlrev_b32_e32 v19, 2, v22
	v_cmp_lt_i32_e64 s[2:3], v20, v21
	v_add_u32_e32 v22, v22, v15
	v_lshlrev_b32_e32 v27, 2, v27
	v_lshlrev_b32_e32 v28, 2, v31
	v_cmp_lt_i32_e64 s[4:5], v29, v30
	v_add_u32_e32 v31, v31, v24
	v_lshlrev_b32_e32 v35, 2, v35
	v_lshlrev_b32_e32 v36, 2, v39
	v_cmp_lt_i32_e64 s[6:7], v37, v38
	v_add_u32_e32 v39, v39, v32
	v_lshlrev_b32_e32 v43, 2, v43
	v_lshlrev_b32_e32 v44, 2, v47
	v_cmp_lt_i32_e64 s[8:9], v45, v46
	v_add_u32_e32 v47, v47, v40
	v_lshlrev_b32_e32 v51, 2, v51
	v_cmp_lt_i32_e64 s[10:11], v52, v55
	v_lshlrev_b32_e32 v56, 2, v57
	v_add_u32_e32 v57, v57, v48
	v_lshlrev_b32_e32 v59, 2, v59
	v_cmp_lt_i32_e64 s[12:13], v60, v61
	v_lshlrev_b32_e32 v62, 2, v63
	v_add_u32_e32 v63, v63, v53
	v_cmp_lt_i32_e64 s[14:15], v65, v66
	s_movk_i32 s24, 0x200
	v_lshlrev_b32_e32 v67, 2, v2
	v_add_u32_e32 v68, v2, v1
	v_add_u32_e32 v69, 0x100, v0
	s_branch .LBB30_2
.LBB30_1:                               ;   in Loop: Header=BB30_2 Depth=1
	s_or_b64 exec, exec, s[18:19]
	v_sub_u32_e32 v71, v69, v70
	v_lshlrev_b32_e32 v72, 2, v70
	v_lshlrev_b32_e32 v73, 2, v71
	ds_read_b32 v72, v72
	ds_read_b32 v73, v73
	v_cmp_ge_i32_e64 s[16:17], v70, v64
	v_cmp_gt_i32_e64 s[18:19], s24, v71
	s_add_i32 s25, s25, 1
	s_waitcnt lgkmcnt(0)
	v_cmp_lt_i32_e64 s[20:21], v73, v72
	s_or_b64 s[16:17], s[16:17], s[20:21]
	s_and_b64 s[16:17], s[18:19], s[16:17]
	s_cmp_eq_u32 s25, 10
	v_cndmask_b32_e64 v70, v72, v73, s[16:17]
	s_cbranch_scc1 .LBB30_38
.LBB30_2:                               ; =>This Loop Header: Depth=1
                                        ;     Child Loop BB30_4 Depth 2
                                        ;     Child Loop BB30_8 Depth 2
	;; [unrolled: 1-line block ×9, first 2 shown]
	s_barrier
	s_waitcnt vmcnt(0)
	ds_write_b32 v23, v70
	v_mov_b32_e32 v70, v5
	s_waitcnt lgkmcnt(0)
	s_barrier
	s_and_saveexec_b64 s[18:19], vcc
	s_cbranch_execz .LBB30_6
; %bb.3:                                ;   in Loop: Header=BB30_2 Depth=1
	s_mov_b64 s[20:21], 0
	v_mov_b32_e32 v70, v5
	v_mov_b32_e32 v71, v6
.LBB30_4:                               ;   Parent Loop BB30_2 Depth=1
                                        ; =>  This Inner Loop Header: Depth=2
	v_sub_u32_e32 v72, v71, v70
	v_lshrrev_b32_e32 v73, 31, v72
	v_add_u32_e32 v72, v72, v73
	v_ashrrev_i32_e32 v72, 1, v72
	v_add_u32_e32 v72, v72, v70
	v_xad_u32 v74, v72, -1, v1
	v_lshl_add_u32 v73, v72, 2, v4
	v_lshl_add_u32 v74, v74, 2, v67
	ds_read_b32 v73, v73
	ds_read_b32 v74, v74
	v_add_u32_e32 v75, 1, v72
	s_waitcnt lgkmcnt(0)
	v_cmp_lt_i32_e64 s[16:17], v74, v73
	s_nop 1
	v_cndmask_b32_e64 v71, v71, v72, s[16:17]
	v_cndmask_b32_e64 v70, v75, v70, s[16:17]
	v_cmp_ge_i32_e64 s[16:17], v70, v71
	s_or_b64 s[20:21], s[16:17], s[20:21]
	s_andn2_b64 exec, exec, s[20:21]
	s_cbranch_execnz .LBB30_4
; %bb.5:                                ;   in Loop: Header=BB30_2 Depth=1
	s_or_b64 exec, exec, s[20:21]
.LBB30_6:                               ;   in Loop: Header=BB30_2 Depth=1
	s_or_b64 exec, exec, s[18:19]
	v_sub_u32_e32 v71, v68, v70
	v_lshl_add_u32 v72, v70, 2, v4
	v_lshlrev_b32_e32 v73, 2, v71
	ds_read_b32 v72, v72
	ds_read_b32 v73, v73
	v_cmp_ge_i32_e64 s[16:17], v70, v3
	v_cmp_ge_i32_e64 s[18:19], v2, v71
	s_waitcnt lgkmcnt(0)
	s_barrier
	v_cmp_lt_i32_e64 s[20:21], v73, v72
	s_or_b64 s[16:17], s[16:17], s[20:21]
	s_and_b64 s[16:17], s[18:19], s[16:17]
	v_cndmask_b32_e64 v70, v72, v73, s[16:17]
	ds_write_b32 v23, v70
	v_mov_b32_e32 v70, v12
	s_waitcnt lgkmcnt(0)
	s_barrier
	s_and_saveexec_b64 s[18:19], s[0:1]
	s_cbranch_execz .LBB30_10
; %bb.7:                                ;   in Loop: Header=BB30_2 Depth=1
	s_mov_b64 s[20:21], 0
	v_mov_b32_e32 v70, v12
	v_mov_b32_e32 v71, v13
.LBB30_8:                               ;   Parent Loop BB30_2 Depth=1
                                        ; =>  This Inner Loop Header: Depth=2
	v_sub_u32_e32 v72, v71, v70
	v_lshrrev_b32_e32 v73, 31, v72
	v_add_u32_e32 v72, v72, v73
	v_ashrrev_i32_e32 v72, 1, v72
	v_add_u32_e32 v72, v72, v70
	v_xad_u32 v74, v72, -1, v7
	v_lshl_add_u32 v73, v72, 2, v10
	v_lshl_add_u32 v74, v74, 2, v11
	ds_read_b32 v73, v73
	ds_read_b32 v74, v74
	v_add_u32_e32 v75, 1, v72
	s_waitcnt lgkmcnt(0)
	v_cmp_lt_i32_e64 s[16:17], v74, v73
	s_nop 1
	v_cndmask_b32_e64 v71, v71, v72, s[16:17]
	v_cndmask_b32_e64 v70, v75, v70, s[16:17]
	v_cmp_ge_i32_e64 s[16:17], v70, v71
	s_or_b64 s[20:21], s[16:17], s[20:21]
	s_andn2_b64 exec, exec, s[20:21]
	s_cbranch_execnz .LBB30_8
; %bb.9:                                ;   in Loop: Header=BB30_2 Depth=1
	s_or_b64 exec, exec, s[20:21]
.LBB30_10:                              ;   in Loop: Header=BB30_2 Depth=1
	s_or_b64 exec, exec, s[18:19]
	v_sub_u32_e32 v71, v14, v70
	v_lshl_add_u32 v72, v70, 2, v10
	v_lshlrev_b32_e32 v73, 2, v71
	ds_read_b32 v72, v72
	ds_read_b32 v73, v73
	v_cmp_ge_i32_e64 s[16:17], v70, v9
	v_cmp_gt_i32_e64 s[18:19], v8, v71
	s_waitcnt lgkmcnt(0)
	s_barrier
	v_cmp_lt_i32_e64 s[20:21], v73, v72
	s_or_b64 s[16:17], s[16:17], s[20:21]
	s_and_b64 s[16:17], s[18:19], s[16:17]
	v_cndmask_b32_e64 v70, v72, v73, s[16:17]
	ds_write_b32 v23, v70
	v_mov_b32_e32 v70, v20
	s_waitcnt lgkmcnt(0)
	s_barrier
	s_and_saveexec_b64 s[18:19], s[2:3]
	s_cbranch_execz .LBB30_14
; %bb.11:                               ;   in Loop: Header=BB30_2 Depth=1
	s_mov_b64 s[20:21], 0
	v_mov_b32_e32 v70, v20
	v_mov_b32_e32 v71, v21
.LBB30_12:                              ;   Parent Loop BB30_2 Depth=1
                                        ; =>  This Inner Loop Header: Depth=2
	v_sub_u32_e32 v72, v71, v70
	v_lshrrev_b32_e32 v73, 31, v72
	v_add_u32_e32 v72, v72, v73
	v_ashrrev_i32_e32 v72, 1, v72
	v_add_u32_e32 v72, v72, v70
	v_xad_u32 v74, v72, -1, v15
	v_lshl_add_u32 v73, v72, 2, v18
	v_lshl_add_u32 v74, v74, 2, v19
	ds_read_b32 v73, v73
	ds_read_b32 v74, v74
	v_add_u32_e32 v75, 1, v72
	s_waitcnt lgkmcnt(0)
	v_cmp_lt_i32_e64 s[16:17], v74, v73
	s_nop 1
	v_cndmask_b32_e64 v71, v71, v72, s[16:17]
	v_cndmask_b32_e64 v70, v75, v70, s[16:17]
	v_cmp_ge_i32_e64 s[16:17], v70, v71
	s_or_b64 s[20:21], s[16:17], s[20:21]
	s_andn2_b64 exec, exec, s[20:21]
	s_cbranch_execnz .LBB30_12
; %bb.13:                               ;   in Loop: Header=BB30_2 Depth=1
	s_or_b64 exec, exec, s[20:21]
.LBB30_14:                              ;   in Loop: Header=BB30_2 Depth=1
	s_or_b64 exec, exec, s[18:19]
	v_sub_u32_e32 v71, v22, v70
	v_lshl_add_u32 v72, v70, 2, v18
	v_lshlrev_b32_e32 v73, 2, v71
	ds_read_b32 v72, v72
	ds_read_b32 v73, v73
	v_cmp_ge_i32_e64 s[16:17], v70, v17
	v_cmp_gt_i32_e64 s[18:19], v16, v71
	s_waitcnt lgkmcnt(0)
	s_barrier
	v_cmp_lt_i32_e64 s[20:21], v73, v72
	s_or_b64 s[16:17], s[16:17], s[20:21]
	s_and_b64 s[16:17], s[18:19], s[16:17]
	v_cndmask_b32_e64 v70, v72, v73, s[16:17]
	ds_write_b32 v23, v70
	v_mov_b32_e32 v70, v29
	s_waitcnt lgkmcnt(0)
	s_barrier
	s_and_saveexec_b64 s[18:19], s[4:5]
	s_cbranch_execz .LBB30_18
; %bb.15:                               ;   in Loop: Header=BB30_2 Depth=1
	s_mov_b64 s[20:21], 0
	v_mov_b32_e32 v70, v29
	v_mov_b32_e32 v71, v30
.LBB30_16:                              ;   Parent Loop BB30_2 Depth=1
                                        ; =>  This Inner Loop Header: Depth=2
	v_sub_u32_e32 v72, v71, v70
	v_lshrrev_b32_e32 v73, 31, v72
	v_add_u32_e32 v72, v72, v73
	v_ashrrev_i32_e32 v72, 1, v72
	v_add_u32_e32 v72, v72, v70
	v_xad_u32 v74, v72, -1, v24
	v_lshl_add_u32 v73, v72, 2, v27
	v_lshl_add_u32 v74, v74, 2, v28
	ds_read_b32 v73, v73
	ds_read_b32 v74, v74
	v_add_u32_e32 v75, 1, v72
	s_waitcnt lgkmcnt(0)
	v_cmp_lt_i32_e64 s[16:17], v74, v73
	s_nop 1
	v_cndmask_b32_e64 v71, v71, v72, s[16:17]
	v_cndmask_b32_e64 v70, v75, v70, s[16:17]
	v_cmp_ge_i32_e64 s[16:17], v70, v71
	s_or_b64 s[20:21], s[16:17], s[20:21]
	s_andn2_b64 exec, exec, s[20:21]
	s_cbranch_execnz .LBB30_16
; %bb.17:                               ;   in Loop: Header=BB30_2 Depth=1
	s_or_b64 exec, exec, s[20:21]
.LBB30_18:                              ;   in Loop: Header=BB30_2 Depth=1
	;; [unrolled: 49-line block ×6, first 2 shown]
	s_or_b64 exec, exec, s[18:19]
	v_sub_u32_e32 v71, v63, v70
	v_lshl_add_u32 v72, v70, 2, v59
	v_lshlrev_b32_e32 v73, 2, v71
	ds_read_b32 v72, v72
	ds_read_b32 v73, v73
	v_cmp_ge_i32_e64 s[16:17], v70, v58
	v_cmp_gt_i32_e64 s[18:19], v54, v71
	s_waitcnt lgkmcnt(0)
	s_barrier
	v_cmp_lt_i32_e64 s[20:21], v73, v72
	s_or_b64 s[16:17], s[16:17], s[20:21]
	s_and_b64 s[16:17], s[18:19], s[16:17]
	v_cndmask_b32_e64 v70, v72, v73, s[16:17]
	ds_write_b32 v23, v70
	v_mov_b32_e32 v70, v65
	s_waitcnt lgkmcnt(0)
	s_barrier
	s_and_saveexec_b64 s[18:19], s[14:15]
	s_cbranch_execz .LBB30_1
; %bb.35:                               ;   in Loop: Header=BB30_2 Depth=1
	s_mov_b64 s[20:21], 0
	v_mov_b32_e32 v70, v65
	v_mov_b32_e32 v71, v66
.LBB30_36:                              ;   Parent Loop BB30_2 Depth=1
                                        ; =>  This Inner Loop Header: Depth=2
	v_sub_u32_e32 v72, v71, v70
	v_lshrrev_b32_e32 v73, 31, v72
	v_add_u32_e32 v72, v72, v73
	v_ashrrev_i32_e32 v72, 1, v72
	v_add_u32_e32 v72, v72, v70
	v_xad_u32 v74, v72, -1, v0
	v_mov_b32_e32 v75, 0x400
	v_lshlrev_b32_e32 v73, 2, v72
	v_lshl_add_u32 v74, v74, 2, v75
	ds_read_b32 v73, v73
	ds_read_b32 v74, v74
	v_add_u32_e32 v75, 1, v72
	s_waitcnt lgkmcnt(0)
	v_cmp_lt_i32_e64 s[16:17], v74, v73
	s_nop 1
	v_cndmask_b32_e64 v71, v71, v72, s[16:17]
	v_cndmask_b32_e64 v70, v75, v70, s[16:17]
	v_cmp_ge_i32_e64 s[16:17], v70, v71
	s_or_b64 s[20:21], s[16:17], s[20:21]
	s_andn2_b64 exec, exec, s[20:21]
	s_cbranch_execnz .LBB30_36
; %bb.37:                               ;   in Loop: Header=BB30_2 Depth=1
	s_or_b64 exec, exec, s[20:21]
	s_branch .LBB30_1
.LBB30_38:
	s_add_u32 s0, s22, s26
	s_addc_u32 s1, s23, s27
	v_lshlrev_b32_e32 v0, 2, v0
	global_store_dword v0, v70, s[0:1]
	s_endpgm
	.section	.rodata,"a",@progbits
	.p2align	6, 0x0
	.amdhsa_kernel _Z16sort_keys_kernelIiLj512ELj1EN10test_utils4lessELj10EEvPKT_PS2_T2_
		.amdhsa_group_segment_fixed_size 2052
		.amdhsa_private_segment_fixed_size 0
		.amdhsa_kernarg_size 20
		.amdhsa_user_sgpr_count 2
		.amdhsa_user_sgpr_dispatch_ptr 0
		.amdhsa_user_sgpr_queue_ptr 0
		.amdhsa_user_sgpr_kernarg_segment_ptr 1
		.amdhsa_user_sgpr_dispatch_id 0
		.amdhsa_user_sgpr_kernarg_preload_length 0
		.amdhsa_user_sgpr_kernarg_preload_offset 0
		.amdhsa_user_sgpr_private_segment_size 0
		.amdhsa_uses_dynamic_stack 0
		.amdhsa_enable_private_segment 0
		.amdhsa_system_sgpr_workgroup_id_x 1
		.amdhsa_system_sgpr_workgroup_id_y 0
		.amdhsa_system_sgpr_workgroup_id_z 0
		.amdhsa_system_sgpr_workgroup_info 0
		.amdhsa_system_vgpr_workitem_id 0
		.amdhsa_next_free_vgpr 76
		.amdhsa_next_free_sgpr 28
		.amdhsa_accum_offset 76
		.amdhsa_reserve_vcc 1
		.amdhsa_float_round_mode_32 0
		.amdhsa_float_round_mode_16_64 0
		.amdhsa_float_denorm_mode_32 3
		.amdhsa_float_denorm_mode_16_64 3
		.amdhsa_dx10_clamp 1
		.amdhsa_ieee_mode 1
		.amdhsa_fp16_overflow 0
		.amdhsa_tg_split 0
		.amdhsa_exception_fp_ieee_invalid_op 0
		.amdhsa_exception_fp_denorm_src 0
		.amdhsa_exception_fp_ieee_div_zero 0
		.amdhsa_exception_fp_ieee_overflow 0
		.amdhsa_exception_fp_ieee_underflow 0
		.amdhsa_exception_fp_ieee_inexact 0
		.amdhsa_exception_int_div_zero 0
	.end_amdhsa_kernel
	.section	.text._Z16sort_keys_kernelIiLj512ELj1EN10test_utils4lessELj10EEvPKT_PS2_T2_,"axG",@progbits,_Z16sort_keys_kernelIiLj512ELj1EN10test_utils4lessELj10EEvPKT_PS2_T2_,comdat
.Lfunc_end30:
	.size	_Z16sort_keys_kernelIiLj512ELj1EN10test_utils4lessELj10EEvPKT_PS2_T2_, .Lfunc_end30-_Z16sort_keys_kernelIiLj512ELj1EN10test_utils4lessELj10EEvPKT_PS2_T2_
                                        ; -- End function
	.section	.AMDGPU.csdata,"",@progbits
; Kernel info:
; codeLenInByte = 2908
; NumSgprs: 34
; NumVgprs: 76
; NumAgprs: 0
; TotalNumVgprs: 76
; ScratchSize: 0
; MemoryBound: 0
; FloatMode: 240
; IeeeMode: 1
; LDSByteSize: 2052 bytes/workgroup (compile time only)
; SGPRBlocks: 4
; VGPRBlocks: 9
; NumSGPRsForWavesPerEU: 34
; NumVGPRsForWavesPerEU: 76
; AccumOffset: 76
; Occupancy: 6
; WaveLimiterHint : 0
; COMPUTE_PGM_RSRC2:SCRATCH_EN: 0
; COMPUTE_PGM_RSRC2:USER_SGPR: 2
; COMPUTE_PGM_RSRC2:TRAP_HANDLER: 0
; COMPUTE_PGM_RSRC2:TGID_X_EN: 1
; COMPUTE_PGM_RSRC2:TGID_Y_EN: 0
; COMPUTE_PGM_RSRC2:TGID_Z_EN: 0
; COMPUTE_PGM_RSRC2:TIDIG_COMP_CNT: 0
; COMPUTE_PGM_RSRC3_GFX90A:ACCUM_OFFSET: 18
; COMPUTE_PGM_RSRC3_GFX90A:TG_SPLIT: 0
	.section	.text._Z17sort_pairs_kernelIiLj512ELj1EN10test_utils4lessELj10EEvPKT_PS2_T2_,"axG",@progbits,_Z17sort_pairs_kernelIiLj512ELj1EN10test_utils4lessELj10EEvPKT_PS2_T2_,comdat
	.protected	_Z17sort_pairs_kernelIiLj512ELj1EN10test_utils4lessELj10EEvPKT_PS2_T2_ ; -- Begin function _Z17sort_pairs_kernelIiLj512ELj1EN10test_utils4lessELj10EEvPKT_PS2_T2_
	.globl	_Z17sort_pairs_kernelIiLj512ELj1EN10test_utils4lessELj10EEvPKT_PS2_T2_
	.p2align	8
	.type	_Z17sort_pairs_kernelIiLj512ELj1EN10test_utils4lessELj10EEvPKT_PS2_T2_,@function
_Z17sort_pairs_kernelIiLj512ELj1EN10test_utils4lessELj10EEvPKT_PS2_T2_: ; @_Z17sort_pairs_kernelIiLj512ELj1EN10test_utils4lessELj10EEvPKT_PS2_T2_
; %bb.0:
	s_load_dwordx4 s[20:23], s[0:1], 0x0
	s_lshl_b32 s24, s2, 9
	s_mov_b32 s25, 0
	s_lshl_b64 s[26:27], s[24:25], 2
	v_lshlrev_b32_e32 v1, 2, v0
	s_waitcnt lgkmcnt(0)
	s_add_u32 s0, s20, s26
	s_addc_u32 s1, s21, s27
	global_load_dword v77, v1, s[0:1]
	v_and_b32_e32 v4, 0x1fc, v0
	v_and_b32_e32 v6, 0x1f8, v0
	v_or_b32_e32 v18, 2, v4
	v_add_u32_e32 v19, 4, v4
	v_and_b32_e32 v5, 3, v0
	v_and_b32_e32 v8, 0x1f0, v0
	v_or_b32_e32 v21, 4, v6
	v_add_u32_e32 v22, 8, v6
	v_sub_u32_e32 v41, v19, v18
	v_and_b32_e32 v7, 7, v0
	v_and_b32_e32 v10, 0x1e0, v0
	v_or_b32_e32 v23, 8, v8
	v_add_u32_e32 v24, 16, v8
	v_sub_u32_e32 v42, v22, v21
	v_sub_u32_e32 v48, v5, v41
	v_cmp_ge_i32_e64 s[0:1], v5, v41
	v_and_b32_e32 v9, 15, v0
	v_and_b32_e32 v12, 0x1c0, v0
	v_or_b32_e32 v25, 16, v10
	v_add_u32_e32 v26, 32, v10
	v_sub_u32_e32 v43, v24, v23
	v_sub_u32_e32 v49, v7, v42
	v_cndmask_b32_e64 v41, 0, v48, s[0:1]
	v_cmp_ge_i32_e64 s[0:1], v7, v42
	v_and_b32_e32 v11, 31, v0
	v_and_b32_e32 v14, 0x180, v0
	v_or_b32_e32 v27, 32, v12
	v_add_u32_e32 v28, 64, v12
	v_sub_u32_e32 v44, v26, v25
	v_sub_u32_e32 v50, v9, v43
	v_cndmask_b32_e64 v42, 0, v49, s[0:1]
	v_cmp_ge_i32_e64 s[0:1], v9, v43
	v_and_b32_e32 v13, 63, v0
	v_or_b32_e32 v29, 64, v14
	v_add_u32_e32 v30, 0x80, v14
	v_sub_u32_e32 v45, v28, v27
	v_sub_u32_e32 v51, v11, v44
	v_cndmask_b32_e64 v43, 0, v50, s[0:1]
	v_cmp_ge_i32_e64 s[0:1], v11, v44
	v_and_b32_e32 v15, 0x7f, v0
	v_sub_u32_e32 v46, v30, v29
	v_sub_u32_e32 v52, v13, v45
	v_cndmask_b32_e64 v44, 0, v51, s[0:1]
	v_cmp_ge_i32_e64 s[0:1], v13, v45
	v_and_b32_e32 v49, 0x100, v0
	v_and_b32_e32 v2, 0x1fe, v0
	v_sub_u32_e32 v53, v15, v46
	v_cndmask_b32_e64 v45, 0, v52, s[0:1]
	v_cmp_ge_i32_e64 s[10:11], v15, v46
	v_or_b32_e32 v51, 0x80, v49
	v_add_u32_e32 v52, 0x100, v49
	v_and_b32_e32 v3, 1, v0
	v_or_b32_e32 v16, 1, v2
	v_cndmask_b32_e64 v46, 0, v53, s[10:11]
	v_and_b32_e32 v50, 0xff, v0
	v_sub_u32_e32 v53, v52, v51
	v_add_u32_e32 v32, -1, v3
	v_sub_u32_e32 v35, v16, v2
	v_cmp_lt_i32_e32 vcc, 0, v3
	v_sub_u32_e32 v36, v18, v4
	v_sub_u32_e32 v37, v21, v6
	;; [unrolled: 1-line block ×6, first 2 shown]
	v_mov_b32_e32 v48, 0x100
	v_sub_u32_e32 v54, v51, v49
	v_sub_u32_e32 v55, v50, v53
	v_cmp_ge_i32_e64 s[12:13], v50, v53
	v_cndmask_b32_e32 v32, 0, v32, vcc
	v_min_i32_e32 v35, v3, v35
	v_min_i32_e32 v36, v5, v36
	;; [unrolled: 1-line block ×7, first 2 shown]
	v_cndmask_b32_e64 v53, 0, v55, s[12:13]
	v_min_i32_e32 v54, v50, v54
	v_sub_u32_e64 v55, v0, v48 clamp
	v_min_i32_e32 v56, 0x100, v0
	v_lshlrev_b32_e32 v17, 2, v2
	v_lshlrev_b32_e32 v20, 2, v4
	;; [unrolled: 1-line block ×3, first 2 shown]
	v_add_u32_e32 v33, v16, v3
	v_lshlrev_b32_e32 v34, 2, v18
	v_cmp_lt_i32_e32 vcc, v32, v35
	v_cmp_lt_i32_e64 s[0:1], v41, v36
	v_cmp_lt_i32_e64 s[2:3], v42, v37
	;; [unrolled: 1-line block ×5, first 2 shown]
	s_waitcnt vmcnt(0)
	v_add_u32_e32 v78, 1, v77
	v_cmp_lt_i32_e64 s[10:11], v46, v47
	v_cmp_lt_i32_e64 s[12:13], v53, v54
	;; [unrolled: 1-line block ×3, first 2 shown]
	s_movk_i32 s24, 0x200
	v_add_u32_e32 v57, v18, v5
	v_lshlrev_b32_e32 v58, 2, v6
	v_lshlrev_b32_e32 v59, 2, v21
	v_add_u32_e32 v60, v21, v7
	v_lshlrev_b32_e32 v61, 2, v8
	v_lshlrev_b32_e32 v62, 2, v23
	;; [unrolled: 3-line block ×6, first 2 shown]
	v_add_u32_e32 v75, v51, v50
	v_add_u32_e32 v76, 0x100, v0
	s_branch .LBB31_2
.LBB31_1:                               ;   in Loop: Header=BB31_2 Depth=1
	s_or_b64 exec, exec, s[18:19]
	v_sub_u32_e32 v80, v76, v79
	v_lshlrev_b32_e32 v77, 2, v79
	v_lshlrev_b32_e32 v81, 2, v80
	ds_read_b32 v77, v77
	ds_read_b32 v81, v81
	v_cmp_le_i32_e64 s[16:17], v48, v79
	v_cmp_gt_i32_e64 s[18:19], s24, v80
	s_waitcnt lgkmcnt(0)
	s_barrier
	v_cmp_lt_i32_e64 s[20:21], v81, v77
	s_or_b64 s[16:17], s[16:17], s[20:21]
	s_and_b64 s[16:17], s[18:19], s[16:17]
	v_cndmask_b32_e64 v79, v79, v80, s[16:17]
	ds_write_b32 v1, v78
	v_lshlrev_b32_e32 v78, 2, v79
	s_waitcnt lgkmcnt(0)
	s_barrier
	ds_read_b32 v78, v78
	s_add_i32 s25, s25, 1
	v_cndmask_b32_e64 v77, v77, v81, s[16:17]
	s_cmp_lg_u32 s25, 10
	s_cbranch_scc0 .LBB31_38
.LBB31_2:                               ; =>This Loop Header: Depth=1
                                        ;     Child Loop BB31_4 Depth 2
                                        ;     Child Loop BB31_8 Depth 2
	;; [unrolled: 1-line block ×9, first 2 shown]
	s_barrier
	ds_write_b32 v1, v77
	v_mov_b32_e32 v77, v32
	s_waitcnt lgkmcnt(0)
	s_barrier
	s_and_saveexec_b64 s[18:19], vcc
	s_cbranch_execz .LBB31_6
; %bb.3:                                ;   in Loop: Header=BB31_2 Depth=1
	s_mov_b64 s[20:21], 0
	v_mov_b32_e32 v77, v32
	v_mov_b32_e32 v79, v35
.LBB31_4:                               ;   Parent Loop BB31_2 Depth=1
                                        ; =>  This Inner Loop Header: Depth=2
	v_sub_u32_e32 v80, v79, v77
	v_lshrrev_b32_e32 v81, 31, v80
	v_add_u32_e32 v80, v80, v81
	v_ashrrev_i32_e32 v80, 1, v80
	v_add_u32_e32 v80, v80, v77
	v_xad_u32 v82, v80, -1, v3
	v_lshl_add_u32 v81, v80, 2, v17
	v_lshl_add_u32 v82, v82, 2, v31
	ds_read_b32 v81, v81
	ds_read_b32 v82, v82
	v_add_u32_e32 v83, 1, v80
	s_waitcnt lgkmcnt(0)
	v_cmp_lt_i32_e64 s[16:17], v82, v81
	s_nop 1
	v_cndmask_b32_e64 v79, v79, v80, s[16:17]
	v_cndmask_b32_e64 v77, v83, v77, s[16:17]
	v_cmp_ge_i32_e64 s[16:17], v77, v79
	s_or_b64 s[20:21], s[16:17], s[20:21]
	s_andn2_b64 exec, exec, s[20:21]
	s_cbranch_execnz .LBB31_4
; %bb.5:                                ;   in Loop: Header=BB31_2 Depth=1
	s_or_b64 exec, exec, s[20:21]
.LBB31_6:                               ;   in Loop: Header=BB31_2 Depth=1
	s_or_b64 exec, exec, s[18:19]
	v_sub_u32_e32 v79, v33, v77
	v_lshl_add_u32 v80, v77, 2, v17
	v_lshlrev_b32_e32 v81, 2, v79
	ds_read_b32 v80, v80
	ds_read_b32 v81, v81
	v_add_u32_e32 v77, v77, v2
	v_cmp_le_i32_e64 s[18:19], v16, v77
	v_cmp_ge_i32_e64 s[16:17], v16, v79
	s_waitcnt lgkmcnt(0)
	v_cmp_lt_i32_e64 s[20:21], v81, v80
	s_or_b64 s[18:19], s[18:19], s[20:21]
	s_and_b64 s[16:17], s[16:17], s[18:19]
	v_cndmask_b32_e64 v77, v77, v79, s[16:17]
	v_lshlrev_b32_e32 v77, 2, v77
	s_barrier
	ds_write_b32 v1, v78
	s_waitcnt lgkmcnt(0)
	s_barrier
	ds_read_b32 v77, v77
	v_cndmask_b32_e64 v80, v80, v81, s[16:17]
	v_mov_b32_e32 v78, v41
	s_waitcnt lgkmcnt(0)
	s_barrier
	ds_write_b32 v1, v80
	s_waitcnt lgkmcnt(0)
	s_barrier
	s_and_saveexec_b64 s[18:19], s[0:1]
	s_cbranch_execz .LBB31_10
; %bb.7:                                ;   in Loop: Header=BB31_2 Depth=1
	s_mov_b64 s[20:21], 0
	v_mov_b32_e32 v78, v41
	v_mov_b32_e32 v79, v36
.LBB31_8:                               ;   Parent Loop BB31_2 Depth=1
                                        ; =>  This Inner Loop Header: Depth=2
	v_sub_u32_e32 v80, v79, v78
	v_lshrrev_b32_e32 v81, 31, v80
	v_add_u32_e32 v80, v80, v81
	v_ashrrev_i32_e32 v80, 1, v80
	v_add_u32_e32 v80, v80, v78
	v_xad_u32 v82, v80, -1, v5
	v_lshl_add_u32 v81, v80, 2, v20
	v_lshl_add_u32 v82, v82, 2, v34
	ds_read_b32 v81, v81
	ds_read_b32 v82, v82
	v_add_u32_e32 v83, 1, v80
	s_waitcnt lgkmcnt(0)
	v_cmp_lt_i32_e64 s[16:17], v82, v81
	s_nop 1
	v_cndmask_b32_e64 v79, v79, v80, s[16:17]
	v_cndmask_b32_e64 v78, v83, v78, s[16:17]
	v_cmp_ge_i32_e64 s[16:17], v78, v79
	s_or_b64 s[20:21], s[16:17], s[20:21]
	s_andn2_b64 exec, exec, s[20:21]
	s_cbranch_execnz .LBB31_8
; %bb.9:                                ;   in Loop: Header=BB31_2 Depth=1
	s_or_b64 exec, exec, s[20:21]
.LBB31_10:                              ;   in Loop: Header=BB31_2 Depth=1
	s_or_b64 exec, exec, s[18:19]
	v_sub_u32_e32 v79, v57, v78
	v_lshl_add_u32 v80, v78, 2, v20
	v_lshlrev_b32_e32 v81, 2, v79
	ds_read_b32 v80, v80
	ds_read_b32 v81, v81
	v_add_u32_e32 v78, v78, v4
	v_cmp_le_i32_e64 s[18:19], v18, v78
	v_cmp_gt_i32_e64 s[16:17], v19, v79
	s_waitcnt lgkmcnt(0)
	v_cmp_lt_i32_e64 s[20:21], v81, v80
	s_or_b64 s[18:19], s[18:19], s[20:21]
	s_and_b64 s[16:17], s[16:17], s[18:19]
	v_cndmask_b32_e64 v78, v78, v79, s[16:17]
	s_barrier
	ds_write_b32 v1, v77
	v_lshlrev_b32_e32 v77, 2, v78
	s_waitcnt lgkmcnt(0)
	s_barrier
	ds_read_b32 v77, v77
	v_cndmask_b32_e64 v80, v80, v81, s[16:17]
	v_mov_b32_e32 v78, v42
	s_waitcnt lgkmcnt(0)
	s_barrier
	ds_write_b32 v1, v80
	s_waitcnt lgkmcnt(0)
	s_barrier
	s_and_saveexec_b64 s[18:19], s[2:3]
	s_cbranch_execz .LBB31_14
; %bb.11:                               ;   in Loop: Header=BB31_2 Depth=1
	s_mov_b64 s[20:21], 0
	v_mov_b32_e32 v78, v42
	v_mov_b32_e32 v79, v37
.LBB31_12:                              ;   Parent Loop BB31_2 Depth=1
                                        ; =>  This Inner Loop Header: Depth=2
	v_sub_u32_e32 v80, v79, v78
	v_lshrrev_b32_e32 v81, 31, v80
	v_add_u32_e32 v80, v80, v81
	v_ashrrev_i32_e32 v80, 1, v80
	v_add_u32_e32 v80, v80, v78
	v_xad_u32 v82, v80, -1, v7
	v_lshl_add_u32 v81, v80, 2, v58
	v_lshl_add_u32 v82, v82, 2, v59
	ds_read_b32 v81, v81
	ds_read_b32 v82, v82
	v_add_u32_e32 v83, 1, v80
	s_waitcnt lgkmcnt(0)
	v_cmp_lt_i32_e64 s[16:17], v82, v81
	s_nop 1
	v_cndmask_b32_e64 v79, v79, v80, s[16:17]
	v_cndmask_b32_e64 v78, v83, v78, s[16:17]
	v_cmp_ge_i32_e64 s[16:17], v78, v79
	s_or_b64 s[20:21], s[16:17], s[20:21]
	s_andn2_b64 exec, exec, s[20:21]
	s_cbranch_execnz .LBB31_12
; %bb.13:                               ;   in Loop: Header=BB31_2 Depth=1
	s_or_b64 exec, exec, s[20:21]
.LBB31_14:                              ;   in Loop: Header=BB31_2 Depth=1
	s_or_b64 exec, exec, s[18:19]
	v_sub_u32_e32 v79, v60, v78
	v_lshl_add_u32 v80, v78, 2, v58
	v_lshlrev_b32_e32 v81, 2, v79
	ds_read_b32 v80, v80
	ds_read_b32 v81, v81
	v_add_u32_e32 v78, v78, v6
	v_cmp_le_i32_e64 s[18:19], v21, v78
	v_cmp_gt_i32_e64 s[16:17], v22, v79
	s_waitcnt lgkmcnt(0)
	v_cmp_lt_i32_e64 s[20:21], v81, v80
	s_or_b64 s[18:19], s[18:19], s[20:21]
	s_and_b64 s[16:17], s[16:17], s[18:19]
	v_cndmask_b32_e64 v78, v78, v79, s[16:17]
	s_barrier
	ds_write_b32 v1, v77
	v_lshlrev_b32_e32 v77, 2, v78
	s_waitcnt lgkmcnt(0)
	s_barrier
	ds_read_b32 v77, v77
	v_cndmask_b32_e64 v80, v80, v81, s[16:17]
	v_mov_b32_e32 v78, v43
	s_waitcnt lgkmcnt(0)
	s_barrier
	ds_write_b32 v1, v80
	s_waitcnt lgkmcnt(0)
	s_barrier
	s_and_saveexec_b64 s[18:19], s[4:5]
	s_cbranch_execz .LBB31_18
; %bb.15:                               ;   in Loop: Header=BB31_2 Depth=1
	s_mov_b64 s[20:21], 0
	v_mov_b32_e32 v78, v43
	v_mov_b32_e32 v79, v38
.LBB31_16:                              ;   Parent Loop BB31_2 Depth=1
                                        ; =>  This Inner Loop Header: Depth=2
	v_sub_u32_e32 v80, v79, v78
	v_lshrrev_b32_e32 v81, 31, v80
	v_add_u32_e32 v80, v80, v81
	v_ashrrev_i32_e32 v80, 1, v80
	v_add_u32_e32 v80, v80, v78
	v_xad_u32 v82, v80, -1, v9
	v_lshl_add_u32 v81, v80, 2, v61
	v_lshl_add_u32 v82, v82, 2, v62
	ds_read_b32 v81, v81
	ds_read_b32 v82, v82
	v_add_u32_e32 v83, 1, v80
	s_waitcnt lgkmcnt(0)
	v_cmp_lt_i32_e64 s[16:17], v82, v81
	s_nop 1
	v_cndmask_b32_e64 v79, v79, v80, s[16:17]
	v_cndmask_b32_e64 v78, v83, v78, s[16:17]
	v_cmp_ge_i32_e64 s[16:17], v78, v79
	s_or_b64 s[20:21], s[16:17], s[20:21]
	s_andn2_b64 exec, exec, s[20:21]
	s_cbranch_execnz .LBB31_16
; %bb.17:                               ;   in Loop: Header=BB31_2 Depth=1
	s_or_b64 exec, exec, s[20:21]
.LBB31_18:                              ;   in Loop: Header=BB31_2 Depth=1
	;; [unrolled: 58-line block ×6, first 2 shown]
	s_or_b64 exec, exec, s[18:19]
	v_sub_u32_e32 v79, v75, v78
	v_lshl_add_u32 v80, v78, 2, v73
	v_lshlrev_b32_e32 v81, 2, v79
	ds_read_b32 v80, v80
	ds_read_b32 v81, v81
	v_add_u32_e32 v78, v78, v49
	v_cmp_le_i32_e64 s[18:19], v51, v78
	v_cmp_gt_i32_e64 s[16:17], v52, v79
	s_waitcnt lgkmcnt(0)
	v_cmp_lt_i32_e64 s[20:21], v81, v80
	s_or_b64 s[18:19], s[18:19], s[20:21]
	s_and_b64 s[16:17], s[16:17], s[18:19]
	v_cndmask_b32_e64 v78, v78, v79, s[16:17]
	s_barrier
	ds_write_b32 v1, v77
	v_lshlrev_b32_e32 v77, 2, v78
	s_waitcnt lgkmcnt(0)
	s_barrier
	ds_read_b32 v78, v77
	v_cndmask_b32_e64 v80, v80, v81, s[16:17]
	v_mov_b32_e32 v79, v55
	s_waitcnt lgkmcnt(0)
	s_barrier
	ds_write_b32 v1, v80
	s_waitcnt lgkmcnt(0)
	s_barrier
	s_and_saveexec_b64 s[18:19], s[14:15]
	s_cbranch_execz .LBB31_1
; %bb.35:                               ;   in Loop: Header=BB31_2 Depth=1
	s_mov_b64 s[20:21], 0
	v_mov_b32_e32 v79, v55
	v_mov_b32_e32 v77, v56
.LBB31_36:                              ;   Parent Loop BB31_2 Depth=1
                                        ; =>  This Inner Loop Header: Depth=2
	v_sub_u32_e32 v80, v77, v79
	v_lshrrev_b32_e32 v81, 31, v80
	v_add_u32_e32 v80, v80, v81
	v_ashrrev_i32_e32 v80, 1, v80
	v_add_u32_e32 v80, v80, v79
	v_xad_u32 v82, v80, -1, v0
	v_mov_b32_e32 v83, 0x400
	v_lshlrev_b32_e32 v81, 2, v80
	v_lshl_add_u32 v82, v82, 2, v83
	ds_read_b32 v81, v81
	ds_read_b32 v82, v82
	v_add_u32_e32 v83, 1, v80
	s_waitcnt lgkmcnt(0)
	v_cmp_lt_i32_e64 s[16:17], v82, v81
	s_nop 1
	v_cndmask_b32_e64 v77, v77, v80, s[16:17]
	v_cndmask_b32_e64 v79, v83, v79, s[16:17]
	v_cmp_ge_i32_e64 s[16:17], v79, v77
	s_or_b64 s[20:21], s[16:17], s[20:21]
	s_andn2_b64 exec, exec, s[20:21]
	s_cbranch_execnz .LBB31_36
; %bb.37:                               ;   in Loop: Header=BB31_2 Depth=1
	s_or_b64 exec, exec, s[20:21]
	s_branch .LBB31_1
.LBB31_38:
	s_add_u32 s0, s22, s26
	s_waitcnt lgkmcnt(0)
	v_add_u32_e32 v1, v77, v78
	s_addc_u32 s1, s23, s27
	v_lshlrev_b32_e32 v0, 2, v0
	global_store_dword v0, v1, s[0:1]
	s_endpgm
	.section	.rodata,"a",@progbits
	.p2align	6, 0x0
	.amdhsa_kernel _Z17sort_pairs_kernelIiLj512ELj1EN10test_utils4lessELj10EEvPKT_PS2_T2_
		.amdhsa_group_segment_fixed_size 2052
		.amdhsa_private_segment_fixed_size 0
		.amdhsa_kernarg_size 20
		.amdhsa_user_sgpr_count 2
		.amdhsa_user_sgpr_dispatch_ptr 0
		.amdhsa_user_sgpr_queue_ptr 0
		.amdhsa_user_sgpr_kernarg_segment_ptr 1
		.amdhsa_user_sgpr_dispatch_id 0
		.amdhsa_user_sgpr_kernarg_preload_length 0
		.amdhsa_user_sgpr_kernarg_preload_offset 0
		.amdhsa_user_sgpr_private_segment_size 0
		.amdhsa_uses_dynamic_stack 0
		.amdhsa_enable_private_segment 0
		.amdhsa_system_sgpr_workgroup_id_x 1
		.amdhsa_system_sgpr_workgroup_id_y 0
		.amdhsa_system_sgpr_workgroup_id_z 0
		.amdhsa_system_sgpr_workgroup_info 0
		.amdhsa_system_vgpr_workitem_id 0
		.amdhsa_next_free_vgpr 84
		.amdhsa_next_free_sgpr 28
		.amdhsa_accum_offset 84
		.amdhsa_reserve_vcc 1
		.amdhsa_float_round_mode_32 0
		.amdhsa_float_round_mode_16_64 0
		.amdhsa_float_denorm_mode_32 3
		.amdhsa_float_denorm_mode_16_64 3
		.amdhsa_dx10_clamp 1
		.amdhsa_ieee_mode 1
		.amdhsa_fp16_overflow 0
		.amdhsa_tg_split 0
		.amdhsa_exception_fp_ieee_invalid_op 0
		.amdhsa_exception_fp_denorm_src 0
		.amdhsa_exception_fp_ieee_div_zero 0
		.amdhsa_exception_fp_ieee_overflow 0
		.amdhsa_exception_fp_ieee_underflow 0
		.amdhsa_exception_fp_ieee_inexact 0
		.amdhsa_exception_int_div_zero 0
	.end_amdhsa_kernel
	.section	.text._Z17sort_pairs_kernelIiLj512ELj1EN10test_utils4lessELj10EEvPKT_PS2_T2_,"axG",@progbits,_Z17sort_pairs_kernelIiLj512ELj1EN10test_utils4lessELj10EEvPKT_PS2_T2_,comdat
.Lfunc_end31:
	.size	_Z17sort_pairs_kernelIiLj512ELj1EN10test_utils4lessELj10EEvPKT_PS2_T2_, .Lfunc_end31-_Z17sort_pairs_kernelIiLj512ELj1EN10test_utils4lessELj10EEvPKT_PS2_T2_
                                        ; -- End function
	.section	.AMDGPU.csdata,"",@progbits
; Kernel info:
; codeLenInByte = 3344
; NumSgprs: 34
; NumVgprs: 84
; NumAgprs: 0
; TotalNumVgprs: 84
; ScratchSize: 0
; MemoryBound: 0
; FloatMode: 240
; IeeeMode: 1
; LDSByteSize: 2052 bytes/workgroup (compile time only)
; SGPRBlocks: 4
; VGPRBlocks: 10
; NumSGPRsForWavesPerEU: 34
; NumVGPRsForWavesPerEU: 84
; AccumOffset: 84
; Occupancy: 5
; WaveLimiterHint : 0
; COMPUTE_PGM_RSRC2:SCRATCH_EN: 0
; COMPUTE_PGM_RSRC2:USER_SGPR: 2
; COMPUTE_PGM_RSRC2:TRAP_HANDLER: 0
; COMPUTE_PGM_RSRC2:TGID_X_EN: 1
; COMPUTE_PGM_RSRC2:TGID_Y_EN: 0
; COMPUTE_PGM_RSRC2:TGID_Z_EN: 0
; COMPUTE_PGM_RSRC2:TIDIG_COMP_CNT: 0
; COMPUTE_PGM_RSRC3_GFX90A:ACCUM_OFFSET: 20
; COMPUTE_PGM_RSRC3_GFX90A:TG_SPLIT: 0
	.section	.text._Z16sort_keys_kernelIiLj512ELj2EN10test_utils4lessELj10EEvPKT_PS2_T2_,"axG",@progbits,_Z16sort_keys_kernelIiLj512ELj2EN10test_utils4lessELj10EEvPKT_PS2_T2_,comdat
	.protected	_Z16sort_keys_kernelIiLj512ELj2EN10test_utils4lessELj10EEvPKT_PS2_T2_ ; -- Begin function _Z16sort_keys_kernelIiLj512ELj2EN10test_utils4lessELj10EEvPKT_PS2_T2_
	.globl	_Z16sort_keys_kernelIiLj512ELj2EN10test_utils4lessELj10EEvPKT_PS2_T2_
	.p2align	8
	.type	_Z16sort_keys_kernelIiLj512ELj2EN10test_utils4lessELj10EEvPKT_PS2_T2_,@function
_Z16sort_keys_kernelIiLj512ELj2EN10test_utils4lessELj10EEvPKT_PS2_T2_: ; @_Z16sort_keys_kernelIiLj512ELj2EN10test_utils4lessELj10EEvPKT_PS2_T2_
; %bb.0:
	s_load_dwordx4 s[20:23], s[0:1], 0x0
	s_lshl_b32 s24, s2, 10
	s_mov_b32 s25, 0
	s_lshl_b64 s[26:27], s[24:25], 2
	v_lshlrev_b32_e32 v1, 2, v0
	s_waitcnt lgkmcnt(0)
	s_add_u32 s0, s20, s26
	s_addc_u32 s1, s21, s27
	global_load_dword v80, v1, s[0:1]
	global_load_dword v81, v1, s[0:1] offset:2048
	v_lshlrev_b32_e32 v1, 1, v0
	v_and_b32_e32 v12, 0x3f8, v1
	v_or_b32_e32 v14, 4, v12
	v_add_u32_e32 v15, 8, v12
	v_and_b32_e32 v13, 6, v1
	v_sub_u32_e32 v16, v15, v14
	v_sub_u32_e32 v18, v13, v16
	v_cmp_ge_i32_e64 s[0:1], v13, v16
	v_and_b32_e32 v19, 14, v1
	v_and_b32_e32 v25, 30, v1
	v_cndmask_b32_e64 v16, 0, v18, s[0:1]
	v_and_b32_e32 v18, 0x3f0, v1
	v_or_b32_e32 v20, 8, v18
	v_add_u32_e32 v21, 16, v18
	v_sub_u32_e32 v22, v21, v20
	v_sub_u32_e32 v24, v19, v22
	v_cmp_ge_i32_e64 s[2:3], v19, v22
	v_and_b32_e32 v31, 62, v1
	v_and_b32_e32 v37, 0x7e, v1
	v_cndmask_b32_e64 v22, 0, v24, s[2:3]
	v_and_b32_e32 v24, 0x3e0, v1
	v_or_b32_e32 v26, 16, v24
	v_add_u32_e32 v27, 32, v24
	v_sub_u32_e32 v28, v27, v26
	v_sub_u32_e32 v30, v25, v28
	v_cmp_ge_i32_e64 s[4:5], v25, v28
	v_and_b32_e32 v3, 0x3fc, v1
	v_and_b32_e32 v49, 0x200, v1
	v_cndmask_b32_e64 v28, 0, v30, s[4:5]
	v_and_b32_e32 v30, 0x3c0, v1
	v_or_b32_e32 v32, 32, v30
	v_add_u32_e32 v33, 64, v30
	v_sub_u32_e32 v34, v33, v32
	v_sub_u32_e32 v36, v31, v34
	v_cmp_ge_i32_e64 s[6:7], v31, v34
	v_or_b32_e32 v5, 2, v3
	v_add_u32_e32 v6, 4, v3
	v_cndmask_b32_e64 v34, 0, v36, s[6:7]
	v_and_b32_e32 v36, 0x380, v1
	v_or_b32_e32 v38, 64, v36
	v_add_u32_e32 v39, 0x80, v36
	v_sub_u32_e32 v40, v39, v38
	v_sub_u32_e32 v42, v37, v40
	v_cmp_ge_i32_e64 s[8:9], v37, v40
	v_and_b32_e32 v43, 0xfe, v1
	v_or_b32_e32 v51, 0x100, v49
	v_cndmask_b32_e64 v40, 0, v42, s[8:9]
	v_and_b32_e32 v42, 0x300, v1
	v_or_b32_e32 v44, 0x80, v42
	v_add_u32_e32 v45, 0x100, v42
	v_sub_u32_e32 v46, v45, v44
	v_add_u32_e32 v52, 0x200, v49
	v_and_b32_e32 v4, 2, v1
	v_sub_u32_e32 v9, v6, v5
	v_sub_u32_e32 v48, v43, v46
	v_cmp_ge_i32_e64 s[10:11], v43, v46
	v_and_b32_e32 v50, 0x1fe, v1
	v_sub_u32_e32 v53, v52, v51
	v_sub_u32_e32 v10, v5, v3
	;; [unrolled: 1-line block ×3, first 2 shown]
	v_cmp_ge_i32_e32 vcc, v4, v9
	v_sub_u32_e32 v17, v14, v12
	v_sub_u32_e32 v23, v20, v18
	;; [unrolled: 1-line block ×6, first 2 shown]
	v_cndmask_b32_e64 v46, 0, v48, s[10:11]
	v_mov_b32_e32 v48, 0x200
	v_sub_u32_e32 v54, v51, v49
	v_sub_u32_e32 v55, v50, v53
	v_cmp_ge_i32_e64 s[12:13], v50, v53
	v_cndmask_b32_e32 v9, 0, v11, vcc
	v_min_i32_e32 v10, v4, v10
	v_min_i32_e32 v17, v13, v17
	v_min_i32_e32 v23, v19, v23
	v_min_i32_e32 v29, v25, v29
	v_min_i32_e32 v35, v31, v35
	v_min_i32_e32 v41, v37, v41
	v_min_i32_e32 v47, v43, v47
	v_cndmask_b32_e64 v53, 0, v55, s[12:13]
	v_min_i32_e32 v54, v50, v54
	v_sub_u32_e64 v55, v1, v48 clamp
	v_min_i32_e32 v56, 0x200, v1
	v_lshlrev_b32_e32 v2, 3, v0
	v_lshlrev_b32_e32 v7, 2, v3
	;; [unrolled: 1-line block ×3, first 2 shown]
	v_cmp_lt_i32_e32 vcc, v9, v10
	v_add_u32_e32 v11, v5, v4
	v_cmp_lt_i32_e64 s[0:1], v16, v17
	v_cmp_lt_i32_e64 s[2:3], v22, v23
	;; [unrolled: 1-line block ×8, first 2 shown]
	s_movk_i32 s24, 0x400
	v_lshlrev_b32_e32 v57, 2, v12
	v_lshlrev_b32_e32 v58, 2, v14
	v_add_u32_e32 v59, v14, v13
	v_lshlrev_b32_e32 v60, 2, v18
	v_lshlrev_b32_e32 v61, 2, v20
	v_add_u32_e32 v62, v20, v19
	;; [unrolled: 3-line block ×7, first 2 shown]
	v_mov_b32_e32 v78, 0x800
	v_add_u32_e32 v79, 0x200, v1
	s_branch .LBB32_2
.LBB32_1:                               ;   in Loop: Header=BB32_2 Depth=1
	s_or_b64 exec, exec, s[18:19]
	v_cmp_ge_i32_e64 s[18:19], v81, v48
	s_waitcnt lgkmcnt(0)
	v_cmp_lt_i32_e64 s[20:21], v84, v85
	v_cndmask_b32_e64 v80, v80, v83, s[16:17]
	v_cmp_gt_i32_e64 s[16:17], s24, v82
	s_or_b64 s[18:19], s[18:19], s[20:21]
	s_add_i32 s25, s25, 1
	s_and_b64 s[16:17], s[16:17], s[18:19]
	s_cmp_eq_u32 s25, 10
	v_cndmask_b32_e64 v81, v85, v84, s[16:17]
	s_cbranch_scc1 .LBB32_74
.LBB32_2:                               ; =>This Loop Header: Depth=1
                                        ;     Child Loop BB32_4 Depth 2
                                        ;     Child Loop BB32_12 Depth 2
	;; [unrolled: 1-line block ×9, first 2 shown]
	s_waitcnt vmcnt(0)
	v_cmp_lt_i32_e64 s[16:17], v81, v80
	s_barrier
	s_nop 0
	v_cndmask_b32_e64 v82, v81, v80, s[16:17]
	v_cndmask_b32_e64 v80, v80, v81, s[16:17]
	v_mov_b32_e32 v81, v9
	ds_write2_b32 v2, v80, v82 offset1:1
	s_waitcnt lgkmcnt(0)
	s_barrier
	s_and_saveexec_b64 s[18:19], vcc
	s_cbranch_execz .LBB32_6
; %bb.3:                                ;   in Loop: Header=BB32_2 Depth=1
	s_mov_b64 s[20:21], 0
	v_mov_b32_e32 v81, v9
	v_mov_b32_e32 v80, v10
.LBB32_4:                               ;   Parent Loop BB32_2 Depth=1
                                        ; =>  This Inner Loop Header: Depth=2
	v_sub_u32_e32 v82, v80, v81
	v_lshrrev_b32_e32 v83, 31, v82
	v_add_u32_e32 v82, v82, v83
	v_ashrrev_i32_e32 v82, 1, v82
	v_add_u32_e32 v82, v82, v81
	v_xad_u32 v84, v82, -1, v4
	v_lshl_add_u32 v83, v82, 2, v7
	v_lshl_add_u32 v84, v84, 2, v8
	ds_read_b32 v83, v83
	ds_read_b32 v84, v84
	v_add_u32_e32 v85, 1, v82
	s_waitcnt lgkmcnt(0)
	v_cmp_lt_i32_e64 s[16:17], v84, v83
	s_nop 1
	v_cndmask_b32_e64 v80, v80, v82, s[16:17]
	v_cndmask_b32_e64 v81, v85, v81, s[16:17]
	v_cmp_ge_i32_e64 s[16:17], v81, v80
	s_or_b64 s[20:21], s[16:17], s[20:21]
	s_andn2_b64 exec, exec, s[20:21]
	s_cbranch_execnz .LBB32_4
; %bb.5:                                ;   in Loop: Header=BB32_2 Depth=1
	s_or_b64 exec, exec, s[20:21]
.LBB32_6:                               ;   in Loop: Header=BB32_2 Depth=1
	s_or_b64 exec, exec, s[18:19]
	v_sub_u32_e32 v80, v11, v81
	v_lshl_add_u32 v87, v81, 2, v7
	v_lshlrev_b32_e32 v86, 2, v80
	ds_read_b32 v82, v87
	ds_read_b32 v83, v86
	v_add_u32_e32 v81, v81, v3
	v_cmp_le_i32_e64 s[18:19], v5, v81
	v_cmp_gt_i32_e64 s[16:17], v6, v80
                                        ; implicit-def: $vgpr84
                                        ; implicit-def: $vgpr85
	s_waitcnt lgkmcnt(0)
	v_cmp_lt_i32_e64 s[20:21], v83, v82
	s_or_b64 s[18:19], s[18:19], s[20:21]
	s_and_b64 s[16:17], s[16:17], s[18:19]
	s_xor_b64 s[18:19], s[16:17], -1
	s_and_saveexec_b64 s[20:21], s[18:19]
	s_xor_b64 s[18:19], exec, s[20:21]
	s_cbranch_execz .LBB32_8
; %bb.7:                                ;   in Loop: Header=BB32_2 Depth=1
	ds_read_b32 v85, v87 offset:4
	v_mov_b32_e32 v84, v83
                                        ; implicit-def: $vgpr86
.LBB32_8:                               ;   in Loop: Header=BB32_2 Depth=1
	s_andn2_saveexec_b64 s[18:19], s[18:19]
	s_cbranch_execz .LBB32_10
; %bb.9:                                ;   in Loop: Header=BB32_2 Depth=1
	ds_read_b32 v84, v86 offset:4
	s_waitcnt lgkmcnt(1)
	v_mov_b32_e32 v85, v82
.LBB32_10:                              ;   in Loop: Header=BB32_2 Depth=1
	s_or_b64 exec, exec, s[18:19]
	v_add_u32_e32 v86, 1, v81
	v_cndmask_b32_e64 v82, v82, v83, s[16:17]
	v_add_u32_e32 v83, 1, v80
	v_cndmask_b32_e64 v81, v86, v81, s[16:17]
	v_cndmask_b32_e64 v80, v80, v83, s[16:17]
	v_cmp_ge_i32_e64 s[18:19], v81, v5
	s_waitcnt lgkmcnt(0)
	v_cmp_lt_i32_e64 s[20:21], v84, v85
	v_cmp_lt_i32_e64 s[16:17], v80, v6
	s_or_b64 s[18:19], s[18:19], s[20:21]
	s_and_b64 s[16:17], s[16:17], s[18:19]
	v_cndmask_b32_e64 v80, v85, v84, s[16:17]
	s_barrier
	ds_write2_b32 v2, v82, v80 offset1:1
	v_mov_b32_e32 v80, v16
	s_waitcnt lgkmcnt(0)
	s_barrier
	s_and_saveexec_b64 s[18:19], s[0:1]
	s_cbranch_execz .LBB32_14
; %bb.11:                               ;   in Loop: Header=BB32_2 Depth=1
	s_mov_b64 s[20:21], 0
	v_mov_b32_e32 v80, v16
	v_mov_b32_e32 v81, v17
.LBB32_12:                              ;   Parent Loop BB32_2 Depth=1
                                        ; =>  This Inner Loop Header: Depth=2
	v_sub_u32_e32 v82, v81, v80
	v_lshrrev_b32_e32 v83, 31, v82
	v_add_u32_e32 v82, v82, v83
	v_ashrrev_i32_e32 v82, 1, v82
	v_add_u32_e32 v82, v82, v80
	v_xad_u32 v84, v82, -1, v13
	v_lshl_add_u32 v83, v82, 2, v57
	v_lshl_add_u32 v84, v84, 2, v58
	ds_read_b32 v83, v83
	ds_read_b32 v84, v84
	v_add_u32_e32 v85, 1, v82
	s_waitcnt lgkmcnt(0)
	v_cmp_lt_i32_e64 s[16:17], v84, v83
	s_nop 1
	v_cndmask_b32_e64 v81, v81, v82, s[16:17]
	v_cndmask_b32_e64 v80, v85, v80, s[16:17]
	v_cmp_ge_i32_e64 s[16:17], v80, v81
	s_or_b64 s[20:21], s[16:17], s[20:21]
	s_andn2_b64 exec, exec, s[20:21]
	s_cbranch_execnz .LBB32_12
; %bb.13:                               ;   in Loop: Header=BB32_2 Depth=1
	s_or_b64 exec, exec, s[20:21]
.LBB32_14:                              ;   in Loop: Header=BB32_2 Depth=1
	s_or_b64 exec, exec, s[18:19]
	v_sub_u32_e32 v81, v59, v80
	v_lshl_add_u32 v87, v80, 2, v57
	v_lshlrev_b32_e32 v86, 2, v81
	ds_read_b32 v82, v87
	ds_read_b32 v83, v86
	v_add_u32_e32 v80, v80, v12
	v_cmp_le_i32_e64 s[18:19], v14, v80
	v_cmp_gt_i32_e64 s[16:17], v15, v81
                                        ; implicit-def: $vgpr84
                                        ; implicit-def: $vgpr85
	s_waitcnt lgkmcnt(0)
	v_cmp_lt_i32_e64 s[20:21], v83, v82
	s_or_b64 s[18:19], s[18:19], s[20:21]
	s_and_b64 s[16:17], s[16:17], s[18:19]
	s_xor_b64 s[18:19], s[16:17], -1
	s_and_saveexec_b64 s[20:21], s[18:19]
	s_xor_b64 s[18:19], exec, s[20:21]
	s_cbranch_execz .LBB32_16
; %bb.15:                               ;   in Loop: Header=BB32_2 Depth=1
	ds_read_b32 v85, v87 offset:4
	v_mov_b32_e32 v84, v83
                                        ; implicit-def: $vgpr86
.LBB32_16:                              ;   in Loop: Header=BB32_2 Depth=1
	s_andn2_saveexec_b64 s[18:19], s[18:19]
	s_cbranch_execz .LBB32_18
; %bb.17:                               ;   in Loop: Header=BB32_2 Depth=1
	ds_read_b32 v84, v86 offset:4
	s_waitcnt lgkmcnt(1)
	v_mov_b32_e32 v85, v82
.LBB32_18:                              ;   in Loop: Header=BB32_2 Depth=1
	s_or_b64 exec, exec, s[18:19]
	v_add_u32_e32 v86, 1, v80
	v_cndmask_b32_e64 v82, v82, v83, s[16:17]
	v_add_u32_e32 v83, 1, v81
	v_cndmask_b32_e64 v80, v86, v80, s[16:17]
	v_cndmask_b32_e64 v81, v81, v83, s[16:17]
	v_cmp_ge_i32_e64 s[18:19], v80, v14
	s_waitcnt lgkmcnt(0)
	v_cmp_lt_i32_e64 s[20:21], v84, v85
	v_cmp_lt_i32_e64 s[16:17], v81, v15
	s_or_b64 s[18:19], s[18:19], s[20:21]
	s_and_b64 s[16:17], s[16:17], s[18:19]
	v_cndmask_b32_e64 v80, v85, v84, s[16:17]
	s_barrier
	ds_write2_b32 v2, v82, v80 offset1:1
	v_mov_b32_e32 v80, v22
	s_waitcnt lgkmcnt(0)
	s_barrier
	s_and_saveexec_b64 s[18:19], s[2:3]
	s_cbranch_execz .LBB32_22
; %bb.19:                               ;   in Loop: Header=BB32_2 Depth=1
	s_mov_b64 s[20:21], 0
	v_mov_b32_e32 v80, v22
	v_mov_b32_e32 v81, v23
.LBB32_20:                              ;   Parent Loop BB32_2 Depth=1
                                        ; =>  This Inner Loop Header: Depth=2
	v_sub_u32_e32 v82, v81, v80
	v_lshrrev_b32_e32 v83, 31, v82
	v_add_u32_e32 v82, v82, v83
	v_ashrrev_i32_e32 v82, 1, v82
	v_add_u32_e32 v82, v82, v80
	v_xad_u32 v84, v82, -1, v19
	v_lshl_add_u32 v83, v82, 2, v60
	v_lshl_add_u32 v84, v84, 2, v61
	ds_read_b32 v83, v83
	ds_read_b32 v84, v84
	v_add_u32_e32 v85, 1, v82
	s_waitcnt lgkmcnt(0)
	v_cmp_lt_i32_e64 s[16:17], v84, v83
	s_nop 1
	v_cndmask_b32_e64 v81, v81, v82, s[16:17]
	v_cndmask_b32_e64 v80, v85, v80, s[16:17]
	v_cmp_ge_i32_e64 s[16:17], v80, v81
	s_or_b64 s[20:21], s[16:17], s[20:21]
	s_andn2_b64 exec, exec, s[20:21]
	s_cbranch_execnz .LBB32_20
; %bb.21:                               ;   in Loop: Header=BB32_2 Depth=1
	s_or_b64 exec, exec, s[20:21]
.LBB32_22:                              ;   in Loop: Header=BB32_2 Depth=1
	s_or_b64 exec, exec, s[18:19]
	v_sub_u32_e32 v81, v62, v80
	v_lshl_add_u32 v87, v80, 2, v60
	v_lshlrev_b32_e32 v86, 2, v81
	ds_read_b32 v82, v87
	ds_read_b32 v83, v86
	v_add_u32_e32 v80, v80, v18
	v_cmp_le_i32_e64 s[18:19], v20, v80
	v_cmp_gt_i32_e64 s[16:17], v21, v81
                                        ; implicit-def: $vgpr84
                                        ; implicit-def: $vgpr85
	s_waitcnt lgkmcnt(0)
	v_cmp_lt_i32_e64 s[20:21], v83, v82
	s_or_b64 s[18:19], s[18:19], s[20:21]
	s_and_b64 s[16:17], s[16:17], s[18:19]
	s_xor_b64 s[18:19], s[16:17], -1
	s_and_saveexec_b64 s[20:21], s[18:19]
	s_xor_b64 s[18:19], exec, s[20:21]
	s_cbranch_execz .LBB32_24
; %bb.23:                               ;   in Loop: Header=BB32_2 Depth=1
	ds_read_b32 v85, v87 offset:4
	v_mov_b32_e32 v84, v83
                                        ; implicit-def: $vgpr86
.LBB32_24:                              ;   in Loop: Header=BB32_2 Depth=1
	s_andn2_saveexec_b64 s[18:19], s[18:19]
	s_cbranch_execz .LBB32_26
; %bb.25:                               ;   in Loop: Header=BB32_2 Depth=1
	ds_read_b32 v84, v86 offset:4
	s_waitcnt lgkmcnt(1)
	v_mov_b32_e32 v85, v82
.LBB32_26:                              ;   in Loop: Header=BB32_2 Depth=1
	s_or_b64 exec, exec, s[18:19]
	v_add_u32_e32 v86, 1, v80
	v_cndmask_b32_e64 v82, v82, v83, s[16:17]
	v_add_u32_e32 v83, 1, v81
	v_cndmask_b32_e64 v80, v86, v80, s[16:17]
	v_cndmask_b32_e64 v81, v81, v83, s[16:17]
	v_cmp_ge_i32_e64 s[18:19], v80, v20
	s_waitcnt lgkmcnt(0)
	v_cmp_lt_i32_e64 s[20:21], v84, v85
	v_cmp_lt_i32_e64 s[16:17], v81, v21
	s_or_b64 s[18:19], s[18:19], s[20:21]
	s_and_b64 s[16:17], s[16:17], s[18:19]
	v_cndmask_b32_e64 v80, v85, v84, s[16:17]
	s_barrier
	ds_write2_b32 v2, v82, v80 offset1:1
	v_mov_b32_e32 v80, v28
	s_waitcnt lgkmcnt(0)
	s_barrier
	s_and_saveexec_b64 s[18:19], s[4:5]
	s_cbranch_execz .LBB32_30
; %bb.27:                               ;   in Loop: Header=BB32_2 Depth=1
	s_mov_b64 s[20:21], 0
	v_mov_b32_e32 v80, v28
	v_mov_b32_e32 v81, v29
.LBB32_28:                              ;   Parent Loop BB32_2 Depth=1
                                        ; =>  This Inner Loop Header: Depth=2
	v_sub_u32_e32 v82, v81, v80
	v_lshrrev_b32_e32 v83, 31, v82
	v_add_u32_e32 v82, v82, v83
	v_ashrrev_i32_e32 v82, 1, v82
	v_add_u32_e32 v82, v82, v80
	v_xad_u32 v84, v82, -1, v25
	v_lshl_add_u32 v83, v82, 2, v63
	v_lshl_add_u32 v84, v84, 2, v64
	ds_read_b32 v83, v83
	ds_read_b32 v84, v84
	v_add_u32_e32 v85, 1, v82
	s_waitcnt lgkmcnt(0)
	v_cmp_lt_i32_e64 s[16:17], v84, v83
	s_nop 1
	v_cndmask_b32_e64 v81, v81, v82, s[16:17]
	v_cndmask_b32_e64 v80, v85, v80, s[16:17]
	v_cmp_ge_i32_e64 s[16:17], v80, v81
	s_or_b64 s[20:21], s[16:17], s[20:21]
	s_andn2_b64 exec, exec, s[20:21]
	s_cbranch_execnz .LBB32_28
; %bb.29:                               ;   in Loop: Header=BB32_2 Depth=1
	s_or_b64 exec, exec, s[20:21]
.LBB32_30:                              ;   in Loop: Header=BB32_2 Depth=1
	s_or_b64 exec, exec, s[18:19]
	v_sub_u32_e32 v81, v65, v80
	v_lshl_add_u32 v87, v80, 2, v63
	v_lshlrev_b32_e32 v86, 2, v81
	ds_read_b32 v82, v87
	ds_read_b32 v83, v86
	v_add_u32_e32 v80, v80, v24
	v_cmp_le_i32_e64 s[18:19], v26, v80
	v_cmp_gt_i32_e64 s[16:17], v27, v81
                                        ; implicit-def: $vgpr84
                                        ; implicit-def: $vgpr85
	s_waitcnt lgkmcnt(0)
	v_cmp_lt_i32_e64 s[20:21], v83, v82
	s_or_b64 s[18:19], s[18:19], s[20:21]
	s_and_b64 s[16:17], s[16:17], s[18:19]
	s_xor_b64 s[18:19], s[16:17], -1
	s_and_saveexec_b64 s[20:21], s[18:19]
	s_xor_b64 s[18:19], exec, s[20:21]
	s_cbranch_execz .LBB32_32
; %bb.31:                               ;   in Loop: Header=BB32_2 Depth=1
	ds_read_b32 v85, v87 offset:4
	v_mov_b32_e32 v84, v83
                                        ; implicit-def: $vgpr86
.LBB32_32:                              ;   in Loop: Header=BB32_2 Depth=1
	s_andn2_saveexec_b64 s[18:19], s[18:19]
	s_cbranch_execz .LBB32_34
; %bb.33:                               ;   in Loop: Header=BB32_2 Depth=1
	ds_read_b32 v84, v86 offset:4
	s_waitcnt lgkmcnt(1)
	v_mov_b32_e32 v85, v82
.LBB32_34:                              ;   in Loop: Header=BB32_2 Depth=1
	s_or_b64 exec, exec, s[18:19]
	v_add_u32_e32 v86, 1, v80
	v_cndmask_b32_e64 v82, v82, v83, s[16:17]
	v_add_u32_e32 v83, 1, v81
	v_cndmask_b32_e64 v80, v86, v80, s[16:17]
	v_cndmask_b32_e64 v81, v81, v83, s[16:17]
	v_cmp_ge_i32_e64 s[18:19], v80, v26
	s_waitcnt lgkmcnt(0)
	v_cmp_lt_i32_e64 s[20:21], v84, v85
	v_cmp_lt_i32_e64 s[16:17], v81, v27
	s_or_b64 s[18:19], s[18:19], s[20:21]
	s_and_b64 s[16:17], s[16:17], s[18:19]
	v_cndmask_b32_e64 v80, v85, v84, s[16:17]
	s_barrier
	ds_write2_b32 v2, v82, v80 offset1:1
	v_mov_b32_e32 v80, v34
	s_waitcnt lgkmcnt(0)
	s_barrier
	s_and_saveexec_b64 s[18:19], s[6:7]
	s_cbranch_execz .LBB32_38
; %bb.35:                               ;   in Loop: Header=BB32_2 Depth=1
	s_mov_b64 s[20:21], 0
	v_mov_b32_e32 v80, v34
	v_mov_b32_e32 v81, v35
.LBB32_36:                              ;   Parent Loop BB32_2 Depth=1
                                        ; =>  This Inner Loop Header: Depth=2
	v_sub_u32_e32 v82, v81, v80
	v_lshrrev_b32_e32 v83, 31, v82
	v_add_u32_e32 v82, v82, v83
	v_ashrrev_i32_e32 v82, 1, v82
	v_add_u32_e32 v82, v82, v80
	v_xad_u32 v84, v82, -1, v31
	v_lshl_add_u32 v83, v82, 2, v66
	v_lshl_add_u32 v84, v84, 2, v67
	ds_read_b32 v83, v83
	ds_read_b32 v84, v84
	v_add_u32_e32 v85, 1, v82
	s_waitcnt lgkmcnt(0)
	v_cmp_lt_i32_e64 s[16:17], v84, v83
	s_nop 1
	v_cndmask_b32_e64 v81, v81, v82, s[16:17]
	v_cndmask_b32_e64 v80, v85, v80, s[16:17]
	v_cmp_ge_i32_e64 s[16:17], v80, v81
	s_or_b64 s[20:21], s[16:17], s[20:21]
	s_andn2_b64 exec, exec, s[20:21]
	s_cbranch_execnz .LBB32_36
; %bb.37:                               ;   in Loop: Header=BB32_2 Depth=1
	s_or_b64 exec, exec, s[20:21]
.LBB32_38:                              ;   in Loop: Header=BB32_2 Depth=1
	s_or_b64 exec, exec, s[18:19]
	v_sub_u32_e32 v81, v68, v80
	v_lshl_add_u32 v87, v80, 2, v66
	v_lshlrev_b32_e32 v86, 2, v81
	ds_read_b32 v82, v87
	ds_read_b32 v83, v86
	v_add_u32_e32 v80, v80, v30
	v_cmp_le_i32_e64 s[18:19], v32, v80
	v_cmp_gt_i32_e64 s[16:17], v33, v81
                                        ; implicit-def: $vgpr84
                                        ; implicit-def: $vgpr85
	s_waitcnt lgkmcnt(0)
	v_cmp_lt_i32_e64 s[20:21], v83, v82
	s_or_b64 s[18:19], s[18:19], s[20:21]
	s_and_b64 s[16:17], s[16:17], s[18:19]
	s_xor_b64 s[18:19], s[16:17], -1
	s_and_saveexec_b64 s[20:21], s[18:19]
	s_xor_b64 s[18:19], exec, s[20:21]
	s_cbranch_execz .LBB32_40
; %bb.39:                               ;   in Loop: Header=BB32_2 Depth=1
	ds_read_b32 v85, v87 offset:4
	v_mov_b32_e32 v84, v83
                                        ; implicit-def: $vgpr86
.LBB32_40:                              ;   in Loop: Header=BB32_2 Depth=1
	s_andn2_saveexec_b64 s[18:19], s[18:19]
	s_cbranch_execz .LBB32_42
; %bb.41:                               ;   in Loop: Header=BB32_2 Depth=1
	ds_read_b32 v84, v86 offset:4
	s_waitcnt lgkmcnt(1)
	v_mov_b32_e32 v85, v82
.LBB32_42:                              ;   in Loop: Header=BB32_2 Depth=1
	s_or_b64 exec, exec, s[18:19]
	v_add_u32_e32 v86, 1, v80
	v_cndmask_b32_e64 v82, v82, v83, s[16:17]
	v_add_u32_e32 v83, 1, v81
	v_cndmask_b32_e64 v80, v86, v80, s[16:17]
	v_cndmask_b32_e64 v81, v81, v83, s[16:17]
	v_cmp_ge_i32_e64 s[18:19], v80, v32
	s_waitcnt lgkmcnt(0)
	v_cmp_lt_i32_e64 s[20:21], v84, v85
	v_cmp_lt_i32_e64 s[16:17], v81, v33
	s_or_b64 s[18:19], s[18:19], s[20:21]
	s_and_b64 s[16:17], s[16:17], s[18:19]
	v_cndmask_b32_e64 v80, v85, v84, s[16:17]
	s_barrier
	ds_write2_b32 v2, v82, v80 offset1:1
	v_mov_b32_e32 v80, v40
	s_waitcnt lgkmcnt(0)
	s_barrier
	s_and_saveexec_b64 s[18:19], s[8:9]
	s_cbranch_execz .LBB32_46
; %bb.43:                               ;   in Loop: Header=BB32_2 Depth=1
	s_mov_b64 s[20:21], 0
	v_mov_b32_e32 v80, v40
	v_mov_b32_e32 v81, v41
.LBB32_44:                              ;   Parent Loop BB32_2 Depth=1
                                        ; =>  This Inner Loop Header: Depth=2
	v_sub_u32_e32 v82, v81, v80
	v_lshrrev_b32_e32 v83, 31, v82
	v_add_u32_e32 v82, v82, v83
	v_ashrrev_i32_e32 v82, 1, v82
	v_add_u32_e32 v82, v82, v80
	v_xad_u32 v84, v82, -1, v37
	v_lshl_add_u32 v83, v82, 2, v69
	v_lshl_add_u32 v84, v84, 2, v70
	ds_read_b32 v83, v83
	ds_read_b32 v84, v84
	v_add_u32_e32 v85, 1, v82
	s_waitcnt lgkmcnt(0)
	v_cmp_lt_i32_e64 s[16:17], v84, v83
	s_nop 1
	v_cndmask_b32_e64 v81, v81, v82, s[16:17]
	v_cndmask_b32_e64 v80, v85, v80, s[16:17]
	v_cmp_ge_i32_e64 s[16:17], v80, v81
	s_or_b64 s[20:21], s[16:17], s[20:21]
	s_andn2_b64 exec, exec, s[20:21]
	s_cbranch_execnz .LBB32_44
; %bb.45:                               ;   in Loop: Header=BB32_2 Depth=1
	s_or_b64 exec, exec, s[20:21]
.LBB32_46:                              ;   in Loop: Header=BB32_2 Depth=1
	s_or_b64 exec, exec, s[18:19]
	v_sub_u32_e32 v81, v71, v80
	v_lshl_add_u32 v87, v80, 2, v69
	v_lshlrev_b32_e32 v86, 2, v81
	ds_read_b32 v82, v87
	ds_read_b32 v83, v86
	v_add_u32_e32 v80, v80, v36
	v_cmp_le_i32_e64 s[18:19], v38, v80
	v_cmp_gt_i32_e64 s[16:17], v39, v81
                                        ; implicit-def: $vgpr84
                                        ; implicit-def: $vgpr85
	s_waitcnt lgkmcnt(0)
	v_cmp_lt_i32_e64 s[20:21], v83, v82
	s_or_b64 s[18:19], s[18:19], s[20:21]
	s_and_b64 s[16:17], s[16:17], s[18:19]
	s_xor_b64 s[18:19], s[16:17], -1
	s_and_saveexec_b64 s[20:21], s[18:19]
	s_xor_b64 s[18:19], exec, s[20:21]
	s_cbranch_execz .LBB32_48
; %bb.47:                               ;   in Loop: Header=BB32_2 Depth=1
	ds_read_b32 v85, v87 offset:4
	v_mov_b32_e32 v84, v83
                                        ; implicit-def: $vgpr86
.LBB32_48:                              ;   in Loop: Header=BB32_2 Depth=1
	s_andn2_saveexec_b64 s[18:19], s[18:19]
	s_cbranch_execz .LBB32_50
; %bb.49:                               ;   in Loop: Header=BB32_2 Depth=1
	ds_read_b32 v84, v86 offset:4
	s_waitcnt lgkmcnt(1)
	v_mov_b32_e32 v85, v82
.LBB32_50:                              ;   in Loop: Header=BB32_2 Depth=1
	s_or_b64 exec, exec, s[18:19]
	v_add_u32_e32 v86, 1, v80
	v_cndmask_b32_e64 v82, v82, v83, s[16:17]
	v_add_u32_e32 v83, 1, v81
	v_cndmask_b32_e64 v80, v86, v80, s[16:17]
	v_cndmask_b32_e64 v81, v81, v83, s[16:17]
	v_cmp_ge_i32_e64 s[18:19], v80, v38
	s_waitcnt lgkmcnt(0)
	v_cmp_lt_i32_e64 s[20:21], v84, v85
	v_cmp_lt_i32_e64 s[16:17], v81, v39
	s_or_b64 s[18:19], s[18:19], s[20:21]
	s_and_b64 s[16:17], s[16:17], s[18:19]
	v_cndmask_b32_e64 v80, v85, v84, s[16:17]
	s_barrier
	ds_write2_b32 v2, v82, v80 offset1:1
	v_mov_b32_e32 v80, v46
	s_waitcnt lgkmcnt(0)
	s_barrier
	s_and_saveexec_b64 s[18:19], s[10:11]
	s_cbranch_execz .LBB32_54
; %bb.51:                               ;   in Loop: Header=BB32_2 Depth=1
	s_mov_b64 s[20:21], 0
	v_mov_b32_e32 v80, v46
	v_mov_b32_e32 v81, v47
.LBB32_52:                              ;   Parent Loop BB32_2 Depth=1
                                        ; =>  This Inner Loop Header: Depth=2
	v_sub_u32_e32 v82, v81, v80
	v_lshrrev_b32_e32 v83, 31, v82
	v_add_u32_e32 v82, v82, v83
	v_ashrrev_i32_e32 v82, 1, v82
	v_add_u32_e32 v82, v82, v80
	v_xad_u32 v84, v82, -1, v43
	v_lshl_add_u32 v83, v82, 2, v72
	v_lshl_add_u32 v84, v84, 2, v73
	ds_read_b32 v83, v83
	ds_read_b32 v84, v84
	v_add_u32_e32 v85, 1, v82
	s_waitcnt lgkmcnt(0)
	v_cmp_lt_i32_e64 s[16:17], v84, v83
	s_nop 1
	v_cndmask_b32_e64 v81, v81, v82, s[16:17]
	v_cndmask_b32_e64 v80, v85, v80, s[16:17]
	v_cmp_ge_i32_e64 s[16:17], v80, v81
	s_or_b64 s[20:21], s[16:17], s[20:21]
	s_andn2_b64 exec, exec, s[20:21]
	s_cbranch_execnz .LBB32_52
; %bb.53:                               ;   in Loop: Header=BB32_2 Depth=1
	s_or_b64 exec, exec, s[20:21]
.LBB32_54:                              ;   in Loop: Header=BB32_2 Depth=1
	s_or_b64 exec, exec, s[18:19]
	v_sub_u32_e32 v81, v74, v80
	v_lshl_add_u32 v87, v80, 2, v72
	v_lshlrev_b32_e32 v86, 2, v81
	ds_read_b32 v82, v87
	ds_read_b32 v83, v86
	v_add_u32_e32 v80, v80, v42
	v_cmp_le_i32_e64 s[18:19], v44, v80
	v_cmp_gt_i32_e64 s[16:17], v45, v81
                                        ; implicit-def: $vgpr84
                                        ; implicit-def: $vgpr85
	s_waitcnt lgkmcnt(0)
	v_cmp_lt_i32_e64 s[20:21], v83, v82
	s_or_b64 s[18:19], s[18:19], s[20:21]
	s_and_b64 s[16:17], s[16:17], s[18:19]
	s_xor_b64 s[18:19], s[16:17], -1
	s_and_saveexec_b64 s[20:21], s[18:19]
	s_xor_b64 s[18:19], exec, s[20:21]
	s_cbranch_execz .LBB32_56
; %bb.55:                               ;   in Loop: Header=BB32_2 Depth=1
	ds_read_b32 v85, v87 offset:4
	v_mov_b32_e32 v84, v83
                                        ; implicit-def: $vgpr86
.LBB32_56:                              ;   in Loop: Header=BB32_2 Depth=1
	s_andn2_saveexec_b64 s[18:19], s[18:19]
	s_cbranch_execz .LBB32_58
; %bb.57:                               ;   in Loop: Header=BB32_2 Depth=1
	ds_read_b32 v84, v86 offset:4
	s_waitcnt lgkmcnt(1)
	v_mov_b32_e32 v85, v82
.LBB32_58:                              ;   in Loop: Header=BB32_2 Depth=1
	s_or_b64 exec, exec, s[18:19]
	v_add_u32_e32 v86, 1, v80
	v_cndmask_b32_e64 v82, v82, v83, s[16:17]
	v_add_u32_e32 v83, 1, v81
	v_cndmask_b32_e64 v80, v86, v80, s[16:17]
	v_cndmask_b32_e64 v81, v81, v83, s[16:17]
	v_cmp_ge_i32_e64 s[18:19], v80, v44
	s_waitcnt lgkmcnt(0)
	v_cmp_lt_i32_e64 s[20:21], v84, v85
	v_cmp_lt_i32_e64 s[16:17], v81, v45
	s_or_b64 s[18:19], s[18:19], s[20:21]
	s_and_b64 s[16:17], s[16:17], s[18:19]
	v_cndmask_b32_e64 v80, v85, v84, s[16:17]
	s_barrier
	ds_write2_b32 v2, v82, v80 offset1:1
	v_mov_b32_e32 v80, v53
	s_waitcnt lgkmcnt(0)
	s_barrier
	s_and_saveexec_b64 s[18:19], s[12:13]
	s_cbranch_execz .LBB32_62
; %bb.59:                               ;   in Loop: Header=BB32_2 Depth=1
	s_mov_b64 s[20:21], 0
	v_mov_b32_e32 v80, v53
	v_mov_b32_e32 v81, v54
.LBB32_60:                              ;   Parent Loop BB32_2 Depth=1
                                        ; =>  This Inner Loop Header: Depth=2
	v_sub_u32_e32 v82, v81, v80
	v_lshrrev_b32_e32 v83, 31, v82
	v_add_u32_e32 v82, v82, v83
	v_ashrrev_i32_e32 v82, 1, v82
	v_add_u32_e32 v82, v82, v80
	v_xad_u32 v84, v82, -1, v50
	v_lshl_add_u32 v83, v82, 2, v75
	v_lshl_add_u32 v84, v84, 2, v76
	ds_read_b32 v83, v83
	ds_read_b32 v84, v84
	v_add_u32_e32 v85, 1, v82
	s_waitcnt lgkmcnt(0)
	v_cmp_lt_i32_e64 s[16:17], v84, v83
	s_nop 1
	v_cndmask_b32_e64 v81, v81, v82, s[16:17]
	v_cndmask_b32_e64 v80, v85, v80, s[16:17]
	v_cmp_ge_i32_e64 s[16:17], v80, v81
	s_or_b64 s[20:21], s[16:17], s[20:21]
	s_andn2_b64 exec, exec, s[20:21]
	s_cbranch_execnz .LBB32_60
; %bb.61:                               ;   in Loop: Header=BB32_2 Depth=1
	s_or_b64 exec, exec, s[20:21]
.LBB32_62:                              ;   in Loop: Header=BB32_2 Depth=1
	s_or_b64 exec, exec, s[18:19]
	v_sub_u32_e32 v81, v77, v80
	v_lshl_add_u32 v87, v80, 2, v75
	v_lshlrev_b32_e32 v86, 2, v81
	ds_read_b32 v82, v87
	ds_read_b32 v83, v86
	v_add_u32_e32 v80, v80, v49
	v_cmp_le_i32_e64 s[18:19], v51, v80
	v_cmp_gt_i32_e64 s[16:17], v52, v81
                                        ; implicit-def: $vgpr84
                                        ; implicit-def: $vgpr85
	s_waitcnt lgkmcnt(0)
	v_cmp_lt_i32_e64 s[20:21], v83, v82
	s_or_b64 s[18:19], s[18:19], s[20:21]
	s_and_b64 s[16:17], s[16:17], s[18:19]
	s_xor_b64 s[18:19], s[16:17], -1
	s_and_saveexec_b64 s[20:21], s[18:19]
	s_xor_b64 s[18:19], exec, s[20:21]
	s_cbranch_execz .LBB32_64
; %bb.63:                               ;   in Loop: Header=BB32_2 Depth=1
	ds_read_b32 v85, v87 offset:4
	v_mov_b32_e32 v84, v83
                                        ; implicit-def: $vgpr86
.LBB32_64:                              ;   in Loop: Header=BB32_2 Depth=1
	s_andn2_saveexec_b64 s[18:19], s[18:19]
	s_cbranch_execz .LBB32_66
; %bb.65:                               ;   in Loop: Header=BB32_2 Depth=1
	ds_read_b32 v84, v86 offset:4
	s_waitcnt lgkmcnt(1)
	v_mov_b32_e32 v85, v82
.LBB32_66:                              ;   in Loop: Header=BB32_2 Depth=1
	s_or_b64 exec, exec, s[18:19]
	v_add_u32_e32 v86, 1, v80
	v_cndmask_b32_e64 v82, v82, v83, s[16:17]
	v_add_u32_e32 v83, 1, v81
	v_cndmask_b32_e64 v80, v86, v80, s[16:17]
	v_cndmask_b32_e64 v81, v81, v83, s[16:17]
	v_cmp_ge_i32_e64 s[18:19], v80, v51
	s_waitcnt lgkmcnt(0)
	v_cmp_lt_i32_e64 s[20:21], v84, v85
	v_cmp_lt_i32_e64 s[16:17], v81, v52
	s_or_b64 s[18:19], s[18:19], s[20:21]
	s_and_b64 s[16:17], s[16:17], s[18:19]
	v_cndmask_b32_e64 v80, v85, v84, s[16:17]
	v_mov_b32_e32 v81, v55
	s_barrier
	ds_write2_b32 v2, v82, v80 offset1:1
	s_waitcnt lgkmcnt(0)
	s_barrier
	s_and_saveexec_b64 s[18:19], s[14:15]
	s_cbranch_execz .LBB32_70
; %bb.67:                               ;   in Loop: Header=BB32_2 Depth=1
	s_mov_b64 s[20:21], 0
	v_mov_b32_e32 v81, v55
	v_mov_b32_e32 v80, v56
.LBB32_68:                              ;   Parent Loop BB32_2 Depth=1
                                        ; =>  This Inner Loop Header: Depth=2
	v_sub_u32_e32 v82, v80, v81
	v_lshrrev_b32_e32 v83, 31, v82
	v_add_u32_e32 v82, v82, v83
	v_ashrrev_i32_e32 v82, 1, v82
	v_add_u32_e32 v82, v82, v81
	v_xad_u32 v84, v82, -1, v1
	v_lshlrev_b32_e32 v83, 2, v82
	v_lshl_add_u32 v84, v84, 2, v78
	ds_read_b32 v83, v83
	ds_read_b32 v84, v84
	v_add_u32_e32 v85, 1, v82
	s_waitcnt lgkmcnt(0)
	v_cmp_lt_i32_e64 s[16:17], v84, v83
	s_nop 1
	v_cndmask_b32_e64 v80, v80, v82, s[16:17]
	v_cndmask_b32_e64 v81, v85, v81, s[16:17]
	v_cmp_ge_i32_e64 s[16:17], v81, v80
	s_or_b64 s[20:21], s[16:17], s[20:21]
	s_andn2_b64 exec, exec, s[20:21]
	s_cbranch_execnz .LBB32_68
; %bb.69:                               ;   in Loop: Header=BB32_2 Depth=1
	s_or_b64 exec, exec, s[20:21]
.LBB32_70:                              ;   in Loop: Header=BB32_2 Depth=1
	s_or_b64 exec, exec, s[18:19]
	v_sub_u32_e32 v82, v79, v81
	v_lshlrev_b32_e32 v87, 2, v81
	v_lshlrev_b32_e32 v86, 2, v82
	ds_read_b32 v80, v87
	ds_read_b32 v83, v86
	v_cmp_le_i32_e64 s[18:19], v48, v81
	v_cmp_gt_i32_e64 s[16:17], s24, v82
                                        ; implicit-def: $vgpr84
                                        ; implicit-def: $vgpr85
	s_waitcnt lgkmcnt(0)
	v_cmp_lt_i32_e64 s[20:21], v83, v80
	s_or_b64 s[18:19], s[18:19], s[20:21]
	s_and_b64 s[16:17], s[16:17], s[18:19]
	s_xor_b64 s[18:19], s[16:17], -1
	s_and_saveexec_b64 s[20:21], s[18:19]
	s_xor_b64 s[18:19], exec, s[20:21]
	s_cbranch_execz .LBB32_72
; %bb.71:                               ;   in Loop: Header=BB32_2 Depth=1
	ds_read_b32 v85, v87 offset:4
	v_add_u32_e32 v81, 1, v81
	v_mov_b32_e32 v84, v83
                                        ; implicit-def: $vgpr86
.LBB32_72:                              ;   in Loop: Header=BB32_2 Depth=1
	s_andn2_saveexec_b64 s[18:19], s[18:19]
	s_cbranch_execz .LBB32_1
; %bb.73:                               ;   in Loop: Header=BB32_2 Depth=1
	ds_read_b32 v84, v86 offset:4
	v_add_u32_e32 v82, 1, v82
	s_waitcnt lgkmcnt(1)
	v_mov_b32_e32 v85, v80
	s_branch .LBB32_1
.LBB32_74:
	s_add_u32 s0, s22, s26
	s_addc_u32 s1, s23, s27
	v_lshlrev_b32_e32 v0, 2, v0
	global_store_dword v0, v80, s[0:1]
	global_store_dword v0, v81, s[0:1] offset:2048
	s_endpgm
	.section	.rodata,"a",@progbits
	.p2align	6, 0x0
	.amdhsa_kernel _Z16sort_keys_kernelIiLj512ELj2EN10test_utils4lessELj10EEvPKT_PS2_T2_
		.amdhsa_group_segment_fixed_size 4100
		.amdhsa_private_segment_fixed_size 0
		.amdhsa_kernarg_size 20
		.amdhsa_user_sgpr_count 2
		.amdhsa_user_sgpr_dispatch_ptr 0
		.amdhsa_user_sgpr_queue_ptr 0
		.amdhsa_user_sgpr_kernarg_segment_ptr 1
		.amdhsa_user_sgpr_dispatch_id 0
		.amdhsa_user_sgpr_kernarg_preload_length 0
		.amdhsa_user_sgpr_kernarg_preload_offset 0
		.amdhsa_user_sgpr_private_segment_size 0
		.amdhsa_uses_dynamic_stack 0
		.amdhsa_enable_private_segment 0
		.amdhsa_system_sgpr_workgroup_id_x 1
		.amdhsa_system_sgpr_workgroup_id_y 0
		.amdhsa_system_sgpr_workgroup_id_z 0
		.amdhsa_system_sgpr_workgroup_info 0
		.amdhsa_system_vgpr_workitem_id 0
		.amdhsa_next_free_vgpr 88
		.amdhsa_next_free_sgpr 28
		.amdhsa_accum_offset 88
		.amdhsa_reserve_vcc 1
		.amdhsa_float_round_mode_32 0
		.amdhsa_float_round_mode_16_64 0
		.amdhsa_float_denorm_mode_32 3
		.amdhsa_float_denorm_mode_16_64 3
		.amdhsa_dx10_clamp 1
		.amdhsa_ieee_mode 1
		.amdhsa_fp16_overflow 0
		.amdhsa_tg_split 0
		.amdhsa_exception_fp_ieee_invalid_op 0
		.amdhsa_exception_fp_denorm_src 0
		.amdhsa_exception_fp_ieee_div_zero 0
		.amdhsa_exception_fp_ieee_overflow 0
		.amdhsa_exception_fp_ieee_underflow 0
		.amdhsa_exception_fp_ieee_inexact 0
		.amdhsa_exception_int_div_zero 0
	.end_amdhsa_kernel
	.section	.text._Z16sort_keys_kernelIiLj512ELj2EN10test_utils4lessELj10EEvPKT_PS2_T2_,"axG",@progbits,_Z16sort_keys_kernelIiLj512ELj2EN10test_utils4lessELj10EEvPKT_PS2_T2_,comdat
.Lfunc_end32:
	.size	_Z16sort_keys_kernelIiLj512ELj2EN10test_utils4lessELj10EEvPKT_PS2_T2_, .Lfunc_end32-_Z16sort_keys_kernelIiLj512ELj2EN10test_utils4lessELj10EEvPKT_PS2_T2_
                                        ; -- End function
	.section	.AMDGPU.csdata,"",@progbits
; Kernel info:
; codeLenInByte = 4112
; NumSgprs: 34
; NumVgprs: 88
; NumAgprs: 0
; TotalNumVgprs: 88
; ScratchSize: 0
; MemoryBound: 0
; FloatMode: 240
; IeeeMode: 1
; LDSByteSize: 4100 bytes/workgroup (compile time only)
; SGPRBlocks: 4
; VGPRBlocks: 10
; NumSGPRsForWavesPerEU: 34
; NumVGPRsForWavesPerEU: 88
; AccumOffset: 88
; Occupancy: 5
; WaveLimiterHint : 1
; COMPUTE_PGM_RSRC2:SCRATCH_EN: 0
; COMPUTE_PGM_RSRC2:USER_SGPR: 2
; COMPUTE_PGM_RSRC2:TRAP_HANDLER: 0
; COMPUTE_PGM_RSRC2:TGID_X_EN: 1
; COMPUTE_PGM_RSRC2:TGID_Y_EN: 0
; COMPUTE_PGM_RSRC2:TGID_Z_EN: 0
; COMPUTE_PGM_RSRC2:TIDIG_COMP_CNT: 0
; COMPUTE_PGM_RSRC3_GFX90A:ACCUM_OFFSET: 21
; COMPUTE_PGM_RSRC3_GFX90A:TG_SPLIT: 0
	.section	.text._Z17sort_pairs_kernelIiLj512ELj2EN10test_utils4lessELj10EEvPKT_PS2_T2_,"axG",@progbits,_Z17sort_pairs_kernelIiLj512ELj2EN10test_utils4lessELj10EEvPKT_PS2_T2_,comdat
	.protected	_Z17sort_pairs_kernelIiLj512ELj2EN10test_utils4lessELj10EEvPKT_PS2_T2_ ; -- Begin function _Z17sort_pairs_kernelIiLj512ELj2EN10test_utils4lessELj10EEvPKT_PS2_T2_
	.globl	_Z17sort_pairs_kernelIiLj512ELj2EN10test_utils4lessELj10EEvPKT_PS2_T2_
	.p2align	8
	.type	_Z17sort_pairs_kernelIiLj512ELj2EN10test_utils4lessELj10EEvPKT_PS2_T2_,@function
_Z17sort_pairs_kernelIiLj512ELj2EN10test_utils4lessELj10EEvPKT_PS2_T2_: ; @_Z17sort_pairs_kernelIiLj512ELj2EN10test_utils4lessELj10EEvPKT_PS2_T2_
; %bb.0:
	s_load_dwordx4 s[24:27], s[0:1], 0x0
	s_lshl_b32 s30, s2, 10
	s_mov_b32 s31, 0
	s_lshl_b64 s[28:29], s[30:31], 2
	v_lshlrev_b32_e32 v1, 2, v0
	s_waitcnt lgkmcnt(0)
	s_add_u32 s0, s24, s28
	s_addc_u32 s1, s25, s29
	global_load_dword v2, v1, s[0:1]
	global_load_dword v3, v1, s[0:1] offset:2048
	v_lshlrev_b32_e32 v1, 1, v0
	v_and_b32_e32 v6, 0x3fc, v1
	v_and_b32_e32 v8, 0x3f8, v1
	v_or_b32_e32 v20, 2, v6
	v_add_u32_e32 v21, 4, v6
	v_and_b32_e32 v7, 2, v1
	v_and_b32_e32 v10, 0x3f0, v1
	v_or_b32_e32 v23, 4, v8
	v_add_u32_e32 v24, 8, v8
	v_sub_u32_e32 v41, v21, v20
	v_and_b32_e32 v9, 6, v1
	v_and_b32_e32 v12, 0x3e0, v1
	v_or_b32_e32 v25, 8, v10
	v_add_u32_e32 v26, 16, v10
	v_sub_u32_e32 v4, v20, v6
	v_sub_u32_e32 v42, v24, v23
	;; [unrolled: 1-line block ×3, first 2 shown]
	v_cmp_ge_i32_e32 vcc, v7, v41
	v_and_b32_e32 v11, 14, v1
	v_and_b32_e32 v14, 0x3c0, v1
	v_or_b32_e32 v27, 16, v12
	v_add_u32_e32 v28, 32, v12
	v_sub_u32_e32 v43, v26, v25
	v_min_i32_e32 v35, v7, v4
	v_sub_u32_e32 v4, v9, v42
	v_cndmask_b32_e32 v41, 0, v49, vcc
	v_cmp_ge_i32_e32 vcc, v9, v42
	v_and_b32_e32 v13, 30, v1
	v_and_b32_e32 v16, 0x380, v1
	v_or_b32_e32 v29, 32, v14
	v_add_u32_e32 v30, 64, v14
	v_sub_u32_e32 v44, v28, v27
	v_sub_u32_e32 v50, v11, v43
	v_cndmask_b32_e32 v42, 0, v4, vcc
	v_cmp_ge_i32_e32 vcc, v11, v43
	v_and_b32_e32 v15, 62, v1
	v_or_b32_e32 v31, 64, v16
	v_add_u32_e32 v32, 0x80, v16
	v_sub_u32_e32 v45, v30, v29
	v_sub_u32_e32 v51, v13, v44
	v_cndmask_b32_e32 v43, 0, v50, vcc
	v_cmp_ge_i32_e32 vcc, v13, v44
	v_and_b32_e32 v17, 0x7e, v1
	v_and_b32_e32 v18, 0x300, v1
	v_sub_u32_e32 v46, v32, v31
	v_sub_u32_e32 v52, v15, v45
	v_cndmask_b32_e32 v44, 0, v51, vcc
	v_cmp_ge_i32_e32 vcc, v15, v45
	v_or_b32_e32 v33, 0x80, v18
	v_add_u32_e32 v34, 0x100, v18
	v_sub_u32_e32 v53, v17, v46
	v_cndmask_b32_e32 v45, 0, v52, vcc
	v_cmp_ge_i32_e32 vcc, v17, v46
	v_and_b32_e32 v50, 0x200, v1
	v_and_b32_e32 v19, 0xfe, v1
	v_sub_u32_e32 v47, v34, v33
	v_cndmask_b32_e32 v46, 0, v53, vcc
	v_or_b32_e32 v52, 0x100, v50
	v_add_u32_e32 v53, 0x200, v50
	v_sub_u32_e32 v49, v19, v47
	v_cmp_ge_i32_e64 s[10:11], v19, v47
	v_and_b32_e32 v51, 0x1fe, v1
	v_sub_u32_e32 v54, v53, v52
	v_sub_u32_e32 v36, v23, v8
	;; [unrolled: 1-line block ×7, first 2 shown]
	v_cndmask_b32_e64 v47, 0, v49, s[10:11]
	v_mov_b32_e32 v49, 0x200
	v_sub_u32_e32 v55, v52, v50
	v_sub_u32_e32 v56, v51, v54
	v_cmp_ge_i32_e64 s[12:13], v51, v54
	v_min_i32_e32 v36, v9, v36
	v_min_i32_e32 v37, v11, v37
	;; [unrolled: 1-line block ×6, first 2 shown]
	v_cndmask_b32_e64 v54, 0, v56, s[12:13]
	v_min_i32_e32 v55, v51, v55
	v_sub_u32_e64 v56, v1, v49 clamp
	v_min_i32_e32 v57, 0x200, v1
	v_lshlrev_b32_e32 v5, 3, v0
	v_lshlrev_b32_e32 v22, 2, v6
	v_cmp_lt_i32_e32 vcc, v41, v35
	v_cmp_lt_i32_e64 s[0:1], v42, v36
	v_cmp_lt_i32_e64 s[2:3], v43, v37
	;; [unrolled: 1-line block ×5, first 2 shown]
	s_waitcnt vmcnt(1)
	v_add_u32_e32 v4, 1, v2
	s_waitcnt vmcnt(0)
	v_add_u32_e32 v83, 1, v3
	v_cmp_lt_i32_e64 s[10:11], v47, v48
	v_cmp_lt_i32_e64 s[12:13], v54, v55
	;; [unrolled: 1-line block ×3, first 2 shown]
	s_movk_i32 s24, 0x400
	v_lshlrev_b32_e32 v58, 2, v20
	v_add_u32_e32 v59, v20, v7
	v_lshlrev_b32_e32 v60, 2, v8
	v_lshlrev_b32_e32 v61, 2, v23
	v_add_u32_e32 v62, v23, v9
	v_lshlrev_b32_e32 v63, 2, v10
	;; [unrolled: 3-line block ×7, first 2 shown]
	v_lshlrev_b32_e32 v79, 2, v52
	v_add_u32_e32 v80, v52, v51
	v_mov_b32_e32 v81, 0x800
	v_add_u32_e32 v82, 0x200, v1
	s_branch .LBB33_2
.LBB33_1:                               ;   in Loop: Header=BB33_2 Depth=1
	s_or_b64 exec, exec, s[18:19]
	v_cmp_ge_i32_e64 s[20:21], v87, v49
	s_waitcnt lgkmcnt(0)
	v_cmp_lt_i32_e64 s[22:23], v88, v3
	v_cmp_gt_i32_e64 s[18:19], s24, v4
	s_or_b64 s[20:21], s[20:21], s[22:23]
	s_and_b64 s[18:19], s[18:19], s[20:21]
	v_cndmask_b32_e64 v4, v87, v4, s[18:19]
	s_barrier
	ds_write2_b32 v5, v83, v84 offset1:1
	v_lshlrev_b32_e32 v2, 2, v2
	v_lshlrev_b32_e32 v83, 2, v4
	s_waitcnt lgkmcnt(0)
	s_barrier
	ds_read_b32 v4, v2
	ds_read_b32 v83, v83
	s_add_i32 s31, s31, 1
	v_cndmask_b32_e64 v3, v3, v88, s[18:19]
	s_cmp_eq_u32 s31, 10
	v_cndmask_b32_e64 v2, v85, v86, s[16:17]
	s_cbranch_scc1 .LBB33_74
.LBB33_2:                               ; =>This Loop Header: Depth=1
                                        ;     Child Loop BB33_4 Depth 2
                                        ;     Child Loop BB33_12 Depth 2
                                        ;     Child Loop BB33_20 Depth 2
                                        ;     Child Loop BB33_28 Depth 2
                                        ;     Child Loop BB33_36 Depth 2
                                        ;     Child Loop BB33_44 Depth 2
                                        ;     Child Loop BB33_52 Depth 2
                                        ;     Child Loop BB33_60 Depth 2
                                        ;     Child Loop BB33_68 Depth 2
	v_cmp_lt_i32_e64 s[16:17], v3, v2
	s_barrier
	s_nop 0
	v_cndmask_b32_e64 v84, v3, v2, s[16:17]
	v_cndmask_b32_e64 v2, v2, v3, s[16:17]
	v_mov_b32_e32 v3, v41
	ds_write2_b32 v5, v2, v84 offset1:1
	s_waitcnt lgkmcnt(0)
	s_barrier
	s_and_saveexec_b64 s[20:21], vcc
	s_cbranch_execz .LBB33_6
; %bb.3:                                ;   in Loop: Header=BB33_2 Depth=1
	s_mov_b64 s[22:23], 0
	v_mov_b32_e32 v3, v41
	v_mov_b32_e32 v2, v35
.LBB33_4:                               ;   Parent Loop BB33_2 Depth=1
                                        ; =>  This Inner Loop Header: Depth=2
	v_sub_u32_e32 v84, v2, v3
	v_lshrrev_b32_e32 v85, 31, v84
	v_add_u32_e32 v84, v84, v85
	v_ashrrev_i32_e32 v84, 1, v84
	v_add_u32_e32 v84, v84, v3
	v_xad_u32 v86, v84, -1, v7
	v_lshl_add_u32 v85, v84, 2, v22
	v_lshl_add_u32 v86, v86, 2, v58
	ds_read_b32 v85, v85
	ds_read_b32 v86, v86
	v_add_u32_e32 v87, 1, v84
	s_waitcnt lgkmcnt(0)
	v_cmp_lt_i32_e64 s[18:19], v86, v85
	s_nop 1
	v_cndmask_b32_e64 v2, v2, v84, s[18:19]
	v_cndmask_b32_e64 v3, v87, v3, s[18:19]
	v_cmp_ge_i32_e64 s[18:19], v3, v2
	s_or_b64 s[22:23], s[18:19], s[22:23]
	s_andn2_b64 exec, exec, s[22:23]
	s_cbranch_execnz .LBB33_4
; %bb.5:                                ;   in Loop: Header=BB33_2 Depth=1
	s_or_b64 exec, exec, s[22:23]
.LBB33_6:                               ;   in Loop: Header=BB33_2 Depth=1
	s_or_b64 exec, exec, s[20:21]
	v_sub_u32_e32 v2, v59, v3
	v_lshl_add_u32 v89, v3, 2, v22
	v_lshlrev_b32_e32 v88, 2, v2
	ds_read_b32 v84, v89
	ds_read_b32 v85, v88
	v_add_u32_e32 v3, v3, v6
	v_cmp_le_i32_e64 s[20:21], v20, v3
	v_cmp_gt_i32_e64 s[18:19], v21, v2
                                        ; implicit-def: $vgpr86
                                        ; implicit-def: $vgpr87
	s_waitcnt lgkmcnt(0)
	v_cmp_lt_i32_e64 s[22:23], v85, v84
	s_or_b64 s[20:21], s[20:21], s[22:23]
	s_and_b64 s[18:19], s[18:19], s[20:21]
	s_xor_b64 s[20:21], s[18:19], -1
	s_and_saveexec_b64 s[22:23], s[20:21]
	s_xor_b64 s[20:21], exec, s[22:23]
	s_cbranch_execz .LBB33_8
; %bb.7:                                ;   in Loop: Header=BB33_2 Depth=1
	ds_read_b32 v87, v89 offset:4
	v_mov_b32_e32 v86, v85
                                        ; implicit-def: $vgpr88
.LBB33_8:                               ;   in Loop: Header=BB33_2 Depth=1
	s_andn2_saveexec_b64 s[20:21], s[20:21]
	s_cbranch_execz .LBB33_10
; %bb.9:                                ;   in Loop: Header=BB33_2 Depth=1
	ds_read_b32 v86, v88 offset:4
	s_waitcnt lgkmcnt(1)
	v_mov_b32_e32 v87, v84
.LBB33_10:                              ;   in Loop: Header=BB33_2 Depth=1
	s_or_b64 exec, exec, s[20:21]
	v_add_u32_e32 v88, 1, v3
	v_cndmask_b32_e64 v84, v84, v85, s[18:19]
	v_add_u32_e32 v85, 1, v2
	v_cndmask_b32_e64 v88, v88, v3, s[18:19]
	v_cndmask_b32_e64 v85, v2, v85, s[18:19]
	;; [unrolled: 1-line block ×3, first 2 shown]
	v_cmp_ge_i32_e64 s[18:19], v88, v20
	s_waitcnt lgkmcnt(0)
	v_cmp_lt_i32_e64 s[20:21], v86, v87
	v_cndmask_b32_e64 v3, v83, v4, s[16:17]
	v_cndmask_b32_e64 v4, v4, v83, s[16:17]
	v_cmp_lt_i32_e64 s[16:17], v85, v21
	s_or_b64 s[18:19], s[18:19], s[20:21]
	s_and_b64 s[16:17], s[16:17], s[18:19]
	v_cndmask_b32_e64 v85, v88, v85, s[16:17]
	s_barrier
	ds_write2_b32 v5, v4, v3 offset1:1
	v_lshlrev_b32_e32 v2, 2, v2
	v_lshlrev_b32_e32 v3, 2, v85
	s_waitcnt lgkmcnt(0)
	s_barrier
	ds_read_b32 v2, v2
	ds_read_b32 v3, v3
	v_cndmask_b32_e64 v83, v87, v86, s[16:17]
	s_waitcnt lgkmcnt(0)
	s_barrier
	ds_write2_b32 v5, v84, v83 offset1:1
	v_mov_b32_e32 v83, v42
	s_waitcnt lgkmcnt(0)
	s_barrier
	s_and_saveexec_b64 s[18:19], s[0:1]
	s_cbranch_execz .LBB33_14
; %bb.11:                               ;   in Loop: Header=BB33_2 Depth=1
	s_mov_b64 s[20:21], 0
	v_mov_b32_e32 v83, v42
	v_mov_b32_e32 v4, v36
.LBB33_12:                              ;   Parent Loop BB33_2 Depth=1
                                        ; =>  This Inner Loop Header: Depth=2
	v_sub_u32_e32 v84, v4, v83
	v_lshrrev_b32_e32 v85, 31, v84
	v_add_u32_e32 v84, v84, v85
	v_ashrrev_i32_e32 v84, 1, v84
	v_add_u32_e32 v84, v84, v83
	v_xad_u32 v86, v84, -1, v9
	v_lshl_add_u32 v85, v84, 2, v60
	v_lshl_add_u32 v86, v86, 2, v61
	ds_read_b32 v85, v85
	ds_read_b32 v86, v86
	v_add_u32_e32 v87, 1, v84
	s_waitcnt lgkmcnt(0)
	v_cmp_lt_i32_e64 s[16:17], v86, v85
	s_nop 1
	v_cndmask_b32_e64 v4, v4, v84, s[16:17]
	v_cndmask_b32_e64 v83, v87, v83, s[16:17]
	v_cmp_ge_i32_e64 s[16:17], v83, v4
	s_or_b64 s[20:21], s[16:17], s[20:21]
	s_andn2_b64 exec, exec, s[20:21]
	s_cbranch_execnz .LBB33_12
; %bb.13:                               ;   in Loop: Header=BB33_2 Depth=1
	s_or_b64 exec, exec, s[20:21]
.LBB33_14:                              ;   in Loop: Header=BB33_2 Depth=1
	s_or_b64 exec, exec, s[18:19]
	v_sub_u32_e32 v4, v62, v83
	v_lshl_add_u32 v89, v83, 2, v60
	v_lshlrev_b32_e32 v88, 2, v4
	ds_read_b32 v84, v89
	ds_read_b32 v85, v88
	v_add_u32_e32 v83, v83, v8
	v_cmp_le_i32_e64 s[18:19], v23, v83
	v_cmp_gt_i32_e64 s[16:17], v24, v4
                                        ; implicit-def: $vgpr86
                                        ; implicit-def: $vgpr87
	s_waitcnt lgkmcnt(0)
	v_cmp_lt_i32_e64 s[20:21], v85, v84
	s_or_b64 s[18:19], s[18:19], s[20:21]
	s_and_b64 s[16:17], s[16:17], s[18:19]
	s_xor_b64 s[18:19], s[16:17], -1
	s_and_saveexec_b64 s[20:21], s[18:19]
	s_xor_b64 s[18:19], exec, s[20:21]
	s_cbranch_execz .LBB33_16
; %bb.15:                               ;   in Loop: Header=BB33_2 Depth=1
	ds_read_b32 v87, v89 offset:4
	v_mov_b32_e32 v86, v85
                                        ; implicit-def: $vgpr88
.LBB33_16:                              ;   in Loop: Header=BB33_2 Depth=1
	s_andn2_saveexec_b64 s[18:19], s[18:19]
	s_cbranch_execz .LBB33_18
; %bb.17:                               ;   in Loop: Header=BB33_2 Depth=1
	ds_read_b32 v86, v88 offset:4
	s_waitcnt lgkmcnt(1)
	v_mov_b32_e32 v87, v84
.LBB33_18:                              ;   in Loop: Header=BB33_2 Depth=1
	s_or_b64 exec, exec, s[18:19]
	v_add_u32_e32 v88, 1, v83
	v_cndmask_b32_e64 v84, v84, v85, s[16:17]
	v_add_u32_e32 v85, 1, v4
	v_cndmask_b32_e64 v88, v88, v83, s[16:17]
	v_cndmask_b32_e64 v85, v4, v85, s[16:17]
	v_cmp_ge_i32_e64 s[18:19], v88, v23
	s_waitcnt lgkmcnt(0)
	v_cmp_lt_i32_e64 s[20:21], v86, v87
	v_cndmask_b32_e64 v4, v83, v4, s[16:17]
	v_cmp_lt_i32_e64 s[16:17], v85, v24
	s_or_b64 s[18:19], s[18:19], s[20:21]
	s_and_b64 s[16:17], s[16:17], s[18:19]
	v_cndmask_b32_e64 v85, v88, v85, s[16:17]
	s_barrier
	ds_write2_b32 v5, v2, v3 offset1:1
	v_lshlrev_b32_e32 v2, 2, v4
	v_lshlrev_b32_e32 v3, 2, v85
	s_waitcnt lgkmcnt(0)
	s_barrier
	ds_read_b32 v2, v2
	ds_read_b32 v3, v3
	v_cndmask_b32_e64 v83, v87, v86, s[16:17]
	s_waitcnt lgkmcnt(0)
	s_barrier
	ds_write2_b32 v5, v84, v83 offset1:1
	v_mov_b32_e32 v83, v43
	s_waitcnt lgkmcnt(0)
	s_barrier
	s_and_saveexec_b64 s[18:19], s[2:3]
	s_cbranch_execz .LBB33_22
; %bb.19:                               ;   in Loop: Header=BB33_2 Depth=1
	s_mov_b64 s[20:21], 0
	v_mov_b32_e32 v83, v43
	v_mov_b32_e32 v4, v37
.LBB33_20:                              ;   Parent Loop BB33_2 Depth=1
                                        ; =>  This Inner Loop Header: Depth=2
	v_sub_u32_e32 v84, v4, v83
	v_lshrrev_b32_e32 v85, 31, v84
	v_add_u32_e32 v84, v84, v85
	v_ashrrev_i32_e32 v84, 1, v84
	v_add_u32_e32 v84, v84, v83
	v_xad_u32 v86, v84, -1, v11
	v_lshl_add_u32 v85, v84, 2, v63
	v_lshl_add_u32 v86, v86, 2, v64
	ds_read_b32 v85, v85
	ds_read_b32 v86, v86
	v_add_u32_e32 v87, 1, v84
	s_waitcnt lgkmcnt(0)
	v_cmp_lt_i32_e64 s[16:17], v86, v85
	s_nop 1
	v_cndmask_b32_e64 v4, v4, v84, s[16:17]
	v_cndmask_b32_e64 v83, v87, v83, s[16:17]
	v_cmp_ge_i32_e64 s[16:17], v83, v4
	s_or_b64 s[20:21], s[16:17], s[20:21]
	s_andn2_b64 exec, exec, s[20:21]
	s_cbranch_execnz .LBB33_20
; %bb.21:                               ;   in Loop: Header=BB33_2 Depth=1
	s_or_b64 exec, exec, s[20:21]
.LBB33_22:                              ;   in Loop: Header=BB33_2 Depth=1
	s_or_b64 exec, exec, s[18:19]
	v_sub_u32_e32 v4, v65, v83
	v_lshl_add_u32 v89, v83, 2, v63
	v_lshlrev_b32_e32 v88, 2, v4
	ds_read_b32 v84, v89
	ds_read_b32 v85, v88
	v_add_u32_e32 v83, v83, v10
	v_cmp_le_i32_e64 s[18:19], v25, v83
	v_cmp_gt_i32_e64 s[16:17], v26, v4
                                        ; implicit-def: $vgpr86
                                        ; implicit-def: $vgpr87
	s_waitcnt lgkmcnt(0)
	v_cmp_lt_i32_e64 s[20:21], v85, v84
	s_or_b64 s[18:19], s[18:19], s[20:21]
	s_and_b64 s[16:17], s[16:17], s[18:19]
	s_xor_b64 s[18:19], s[16:17], -1
	s_and_saveexec_b64 s[20:21], s[18:19]
	s_xor_b64 s[18:19], exec, s[20:21]
	s_cbranch_execz .LBB33_24
; %bb.23:                               ;   in Loop: Header=BB33_2 Depth=1
	ds_read_b32 v87, v89 offset:4
	v_mov_b32_e32 v86, v85
                                        ; implicit-def: $vgpr88
.LBB33_24:                              ;   in Loop: Header=BB33_2 Depth=1
	s_andn2_saveexec_b64 s[18:19], s[18:19]
	s_cbranch_execz .LBB33_26
; %bb.25:                               ;   in Loop: Header=BB33_2 Depth=1
	ds_read_b32 v86, v88 offset:4
	s_waitcnt lgkmcnt(1)
	v_mov_b32_e32 v87, v84
.LBB33_26:                              ;   in Loop: Header=BB33_2 Depth=1
	s_or_b64 exec, exec, s[18:19]
	v_add_u32_e32 v88, 1, v83
	v_cndmask_b32_e64 v84, v84, v85, s[16:17]
	v_add_u32_e32 v85, 1, v4
	v_cndmask_b32_e64 v88, v88, v83, s[16:17]
	v_cndmask_b32_e64 v85, v4, v85, s[16:17]
	v_cmp_ge_i32_e64 s[18:19], v88, v25
	s_waitcnt lgkmcnt(0)
	v_cmp_lt_i32_e64 s[20:21], v86, v87
	v_cndmask_b32_e64 v4, v83, v4, s[16:17]
	v_cmp_lt_i32_e64 s[16:17], v85, v26
	s_or_b64 s[18:19], s[18:19], s[20:21]
	s_and_b64 s[16:17], s[16:17], s[18:19]
	v_cndmask_b32_e64 v85, v88, v85, s[16:17]
	s_barrier
	ds_write2_b32 v5, v2, v3 offset1:1
	v_lshlrev_b32_e32 v2, 2, v4
	v_lshlrev_b32_e32 v3, 2, v85
	s_waitcnt lgkmcnt(0)
	s_barrier
	ds_read_b32 v2, v2
	ds_read_b32 v3, v3
	v_cndmask_b32_e64 v83, v87, v86, s[16:17]
	s_waitcnt lgkmcnt(0)
	s_barrier
	ds_write2_b32 v5, v84, v83 offset1:1
	v_mov_b32_e32 v83, v44
	s_waitcnt lgkmcnt(0)
	s_barrier
	s_and_saveexec_b64 s[18:19], s[4:5]
	s_cbranch_execz .LBB33_30
; %bb.27:                               ;   in Loop: Header=BB33_2 Depth=1
	s_mov_b64 s[20:21], 0
	v_mov_b32_e32 v83, v44
	v_mov_b32_e32 v4, v38
.LBB33_28:                              ;   Parent Loop BB33_2 Depth=1
                                        ; =>  This Inner Loop Header: Depth=2
	v_sub_u32_e32 v84, v4, v83
	v_lshrrev_b32_e32 v85, 31, v84
	v_add_u32_e32 v84, v84, v85
	v_ashrrev_i32_e32 v84, 1, v84
	v_add_u32_e32 v84, v84, v83
	v_xad_u32 v86, v84, -1, v13
	v_lshl_add_u32 v85, v84, 2, v66
	v_lshl_add_u32 v86, v86, 2, v67
	ds_read_b32 v85, v85
	ds_read_b32 v86, v86
	v_add_u32_e32 v87, 1, v84
	s_waitcnt lgkmcnt(0)
	v_cmp_lt_i32_e64 s[16:17], v86, v85
	s_nop 1
	v_cndmask_b32_e64 v4, v4, v84, s[16:17]
	v_cndmask_b32_e64 v83, v87, v83, s[16:17]
	v_cmp_ge_i32_e64 s[16:17], v83, v4
	s_or_b64 s[20:21], s[16:17], s[20:21]
	s_andn2_b64 exec, exec, s[20:21]
	s_cbranch_execnz .LBB33_28
; %bb.29:                               ;   in Loop: Header=BB33_2 Depth=1
	s_or_b64 exec, exec, s[20:21]
.LBB33_30:                              ;   in Loop: Header=BB33_2 Depth=1
	s_or_b64 exec, exec, s[18:19]
	v_sub_u32_e32 v4, v68, v83
	v_lshl_add_u32 v89, v83, 2, v66
	v_lshlrev_b32_e32 v88, 2, v4
	ds_read_b32 v84, v89
	ds_read_b32 v85, v88
	v_add_u32_e32 v83, v83, v12
	v_cmp_le_i32_e64 s[18:19], v27, v83
	v_cmp_gt_i32_e64 s[16:17], v28, v4
                                        ; implicit-def: $vgpr86
                                        ; implicit-def: $vgpr87
	s_waitcnt lgkmcnt(0)
	v_cmp_lt_i32_e64 s[20:21], v85, v84
	s_or_b64 s[18:19], s[18:19], s[20:21]
	s_and_b64 s[16:17], s[16:17], s[18:19]
	s_xor_b64 s[18:19], s[16:17], -1
	s_and_saveexec_b64 s[20:21], s[18:19]
	s_xor_b64 s[18:19], exec, s[20:21]
	s_cbranch_execz .LBB33_32
; %bb.31:                               ;   in Loop: Header=BB33_2 Depth=1
	ds_read_b32 v87, v89 offset:4
	v_mov_b32_e32 v86, v85
                                        ; implicit-def: $vgpr88
.LBB33_32:                              ;   in Loop: Header=BB33_2 Depth=1
	s_andn2_saveexec_b64 s[18:19], s[18:19]
	s_cbranch_execz .LBB33_34
; %bb.33:                               ;   in Loop: Header=BB33_2 Depth=1
	ds_read_b32 v86, v88 offset:4
	s_waitcnt lgkmcnt(1)
	v_mov_b32_e32 v87, v84
.LBB33_34:                              ;   in Loop: Header=BB33_2 Depth=1
	s_or_b64 exec, exec, s[18:19]
	v_add_u32_e32 v88, 1, v83
	v_cndmask_b32_e64 v84, v84, v85, s[16:17]
	v_add_u32_e32 v85, 1, v4
	v_cndmask_b32_e64 v88, v88, v83, s[16:17]
	v_cndmask_b32_e64 v85, v4, v85, s[16:17]
	v_cmp_ge_i32_e64 s[18:19], v88, v27
	s_waitcnt lgkmcnt(0)
	v_cmp_lt_i32_e64 s[20:21], v86, v87
	v_cndmask_b32_e64 v4, v83, v4, s[16:17]
	v_cmp_lt_i32_e64 s[16:17], v85, v28
	s_or_b64 s[18:19], s[18:19], s[20:21]
	s_and_b64 s[16:17], s[16:17], s[18:19]
	v_cndmask_b32_e64 v85, v88, v85, s[16:17]
	s_barrier
	ds_write2_b32 v5, v2, v3 offset1:1
	v_lshlrev_b32_e32 v2, 2, v4
	v_lshlrev_b32_e32 v3, 2, v85
	s_waitcnt lgkmcnt(0)
	s_barrier
	ds_read_b32 v2, v2
	ds_read_b32 v3, v3
	v_cndmask_b32_e64 v83, v87, v86, s[16:17]
	s_waitcnt lgkmcnt(0)
	s_barrier
	ds_write2_b32 v5, v84, v83 offset1:1
	v_mov_b32_e32 v83, v45
	s_waitcnt lgkmcnt(0)
	s_barrier
	s_and_saveexec_b64 s[18:19], s[6:7]
	s_cbranch_execz .LBB33_38
; %bb.35:                               ;   in Loop: Header=BB33_2 Depth=1
	s_mov_b64 s[20:21], 0
	v_mov_b32_e32 v83, v45
	v_mov_b32_e32 v4, v39
.LBB33_36:                              ;   Parent Loop BB33_2 Depth=1
                                        ; =>  This Inner Loop Header: Depth=2
	v_sub_u32_e32 v84, v4, v83
	v_lshrrev_b32_e32 v85, 31, v84
	v_add_u32_e32 v84, v84, v85
	v_ashrrev_i32_e32 v84, 1, v84
	v_add_u32_e32 v84, v84, v83
	v_xad_u32 v86, v84, -1, v15
	v_lshl_add_u32 v85, v84, 2, v69
	v_lshl_add_u32 v86, v86, 2, v70
	ds_read_b32 v85, v85
	ds_read_b32 v86, v86
	v_add_u32_e32 v87, 1, v84
	s_waitcnt lgkmcnt(0)
	v_cmp_lt_i32_e64 s[16:17], v86, v85
	s_nop 1
	v_cndmask_b32_e64 v4, v4, v84, s[16:17]
	v_cndmask_b32_e64 v83, v87, v83, s[16:17]
	v_cmp_ge_i32_e64 s[16:17], v83, v4
	s_or_b64 s[20:21], s[16:17], s[20:21]
	s_andn2_b64 exec, exec, s[20:21]
	s_cbranch_execnz .LBB33_36
; %bb.37:                               ;   in Loop: Header=BB33_2 Depth=1
	s_or_b64 exec, exec, s[20:21]
.LBB33_38:                              ;   in Loop: Header=BB33_2 Depth=1
	s_or_b64 exec, exec, s[18:19]
	v_sub_u32_e32 v4, v71, v83
	v_lshl_add_u32 v89, v83, 2, v69
	v_lshlrev_b32_e32 v88, 2, v4
	ds_read_b32 v84, v89
	ds_read_b32 v85, v88
	v_add_u32_e32 v83, v83, v14
	v_cmp_le_i32_e64 s[18:19], v29, v83
	v_cmp_gt_i32_e64 s[16:17], v30, v4
                                        ; implicit-def: $vgpr86
                                        ; implicit-def: $vgpr87
	s_waitcnt lgkmcnt(0)
	v_cmp_lt_i32_e64 s[20:21], v85, v84
	s_or_b64 s[18:19], s[18:19], s[20:21]
	s_and_b64 s[16:17], s[16:17], s[18:19]
	s_xor_b64 s[18:19], s[16:17], -1
	s_and_saveexec_b64 s[20:21], s[18:19]
	s_xor_b64 s[18:19], exec, s[20:21]
	s_cbranch_execz .LBB33_40
; %bb.39:                               ;   in Loop: Header=BB33_2 Depth=1
	ds_read_b32 v87, v89 offset:4
	v_mov_b32_e32 v86, v85
                                        ; implicit-def: $vgpr88
.LBB33_40:                              ;   in Loop: Header=BB33_2 Depth=1
	s_andn2_saveexec_b64 s[18:19], s[18:19]
	s_cbranch_execz .LBB33_42
; %bb.41:                               ;   in Loop: Header=BB33_2 Depth=1
	ds_read_b32 v86, v88 offset:4
	s_waitcnt lgkmcnt(1)
	v_mov_b32_e32 v87, v84
.LBB33_42:                              ;   in Loop: Header=BB33_2 Depth=1
	s_or_b64 exec, exec, s[18:19]
	v_add_u32_e32 v88, 1, v83
	v_cndmask_b32_e64 v84, v84, v85, s[16:17]
	v_add_u32_e32 v85, 1, v4
	v_cndmask_b32_e64 v88, v88, v83, s[16:17]
	v_cndmask_b32_e64 v85, v4, v85, s[16:17]
	v_cmp_ge_i32_e64 s[18:19], v88, v29
	s_waitcnt lgkmcnt(0)
	v_cmp_lt_i32_e64 s[20:21], v86, v87
	v_cndmask_b32_e64 v4, v83, v4, s[16:17]
	v_cmp_lt_i32_e64 s[16:17], v85, v30
	s_or_b64 s[18:19], s[18:19], s[20:21]
	s_and_b64 s[16:17], s[16:17], s[18:19]
	v_cndmask_b32_e64 v85, v88, v85, s[16:17]
	s_barrier
	ds_write2_b32 v5, v2, v3 offset1:1
	v_lshlrev_b32_e32 v2, 2, v4
	v_lshlrev_b32_e32 v3, 2, v85
	s_waitcnt lgkmcnt(0)
	s_barrier
	ds_read_b32 v2, v2
	ds_read_b32 v3, v3
	v_cndmask_b32_e64 v83, v87, v86, s[16:17]
	s_waitcnt lgkmcnt(0)
	s_barrier
	ds_write2_b32 v5, v84, v83 offset1:1
	v_mov_b32_e32 v83, v46
	s_waitcnt lgkmcnt(0)
	s_barrier
	s_and_saveexec_b64 s[18:19], s[8:9]
	s_cbranch_execz .LBB33_46
; %bb.43:                               ;   in Loop: Header=BB33_2 Depth=1
	s_mov_b64 s[20:21], 0
	v_mov_b32_e32 v83, v46
	v_mov_b32_e32 v4, v40
.LBB33_44:                              ;   Parent Loop BB33_2 Depth=1
                                        ; =>  This Inner Loop Header: Depth=2
	v_sub_u32_e32 v84, v4, v83
	v_lshrrev_b32_e32 v85, 31, v84
	v_add_u32_e32 v84, v84, v85
	v_ashrrev_i32_e32 v84, 1, v84
	v_add_u32_e32 v84, v84, v83
	v_xad_u32 v86, v84, -1, v17
	v_lshl_add_u32 v85, v84, 2, v72
	v_lshl_add_u32 v86, v86, 2, v73
	ds_read_b32 v85, v85
	ds_read_b32 v86, v86
	v_add_u32_e32 v87, 1, v84
	s_waitcnt lgkmcnt(0)
	v_cmp_lt_i32_e64 s[16:17], v86, v85
	s_nop 1
	v_cndmask_b32_e64 v4, v4, v84, s[16:17]
	v_cndmask_b32_e64 v83, v87, v83, s[16:17]
	v_cmp_ge_i32_e64 s[16:17], v83, v4
	s_or_b64 s[20:21], s[16:17], s[20:21]
	s_andn2_b64 exec, exec, s[20:21]
	s_cbranch_execnz .LBB33_44
; %bb.45:                               ;   in Loop: Header=BB33_2 Depth=1
	s_or_b64 exec, exec, s[20:21]
.LBB33_46:                              ;   in Loop: Header=BB33_2 Depth=1
	s_or_b64 exec, exec, s[18:19]
	v_sub_u32_e32 v4, v74, v83
	v_lshl_add_u32 v89, v83, 2, v72
	v_lshlrev_b32_e32 v88, 2, v4
	ds_read_b32 v84, v89
	ds_read_b32 v85, v88
	v_add_u32_e32 v83, v83, v16
	v_cmp_le_i32_e64 s[18:19], v31, v83
	v_cmp_gt_i32_e64 s[16:17], v32, v4
                                        ; implicit-def: $vgpr86
                                        ; implicit-def: $vgpr87
	s_waitcnt lgkmcnt(0)
	v_cmp_lt_i32_e64 s[20:21], v85, v84
	s_or_b64 s[18:19], s[18:19], s[20:21]
	s_and_b64 s[16:17], s[16:17], s[18:19]
	s_xor_b64 s[18:19], s[16:17], -1
	s_and_saveexec_b64 s[20:21], s[18:19]
	s_xor_b64 s[18:19], exec, s[20:21]
	s_cbranch_execz .LBB33_48
; %bb.47:                               ;   in Loop: Header=BB33_2 Depth=1
	ds_read_b32 v87, v89 offset:4
	v_mov_b32_e32 v86, v85
                                        ; implicit-def: $vgpr88
.LBB33_48:                              ;   in Loop: Header=BB33_2 Depth=1
	s_andn2_saveexec_b64 s[18:19], s[18:19]
	s_cbranch_execz .LBB33_50
; %bb.49:                               ;   in Loop: Header=BB33_2 Depth=1
	ds_read_b32 v86, v88 offset:4
	s_waitcnt lgkmcnt(1)
	v_mov_b32_e32 v87, v84
.LBB33_50:                              ;   in Loop: Header=BB33_2 Depth=1
	s_or_b64 exec, exec, s[18:19]
	v_add_u32_e32 v88, 1, v83
	v_cndmask_b32_e64 v84, v84, v85, s[16:17]
	v_add_u32_e32 v85, 1, v4
	v_cndmask_b32_e64 v88, v88, v83, s[16:17]
	v_cndmask_b32_e64 v85, v4, v85, s[16:17]
	v_cmp_ge_i32_e64 s[18:19], v88, v31
	s_waitcnt lgkmcnt(0)
	v_cmp_lt_i32_e64 s[20:21], v86, v87
	v_cndmask_b32_e64 v4, v83, v4, s[16:17]
	v_cmp_lt_i32_e64 s[16:17], v85, v32
	s_or_b64 s[18:19], s[18:19], s[20:21]
	s_and_b64 s[16:17], s[16:17], s[18:19]
	v_cndmask_b32_e64 v85, v88, v85, s[16:17]
	s_barrier
	ds_write2_b32 v5, v2, v3 offset1:1
	v_lshlrev_b32_e32 v2, 2, v4
	v_lshlrev_b32_e32 v3, 2, v85
	s_waitcnt lgkmcnt(0)
	s_barrier
	ds_read_b32 v2, v2
	ds_read_b32 v3, v3
	v_cndmask_b32_e64 v83, v87, v86, s[16:17]
	s_waitcnt lgkmcnt(0)
	s_barrier
	ds_write2_b32 v5, v84, v83 offset1:1
	v_mov_b32_e32 v83, v47
	s_waitcnt lgkmcnt(0)
	s_barrier
	s_and_saveexec_b64 s[18:19], s[10:11]
	s_cbranch_execz .LBB33_54
; %bb.51:                               ;   in Loop: Header=BB33_2 Depth=1
	s_mov_b64 s[20:21], 0
	v_mov_b32_e32 v83, v47
	v_mov_b32_e32 v4, v48
.LBB33_52:                              ;   Parent Loop BB33_2 Depth=1
                                        ; =>  This Inner Loop Header: Depth=2
	v_sub_u32_e32 v84, v4, v83
	v_lshrrev_b32_e32 v85, 31, v84
	v_add_u32_e32 v84, v84, v85
	v_ashrrev_i32_e32 v84, 1, v84
	v_add_u32_e32 v84, v84, v83
	v_xad_u32 v86, v84, -1, v19
	v_lshl_add_u32 v85, v84, 2, v75
	v_lshl_add_u32 v86, v86, 2, v76
	ds_read_b32 v85, v85
	ds_read_b32 v86, v86
	v_add_u32_e32 v87, 1, v84
	s_waitcnt lgkmcnt(0)
	v_cmp_lt_i32_e64 s[16:17], v86, v85
	s_nop 1
	v_cndmask_b32_e64 v4, v4, v84, s[16:17]
	v_cndmask_b32_e64 v83, v87, v83, s[16:17]
	v_cmp_ge_i32_e64 s[16:17], v83, v4
	s_or_b64 s[20:21], s[16:17], s[20:21]
	s_andn2_b64 exec, exec, s[20:21]
	s_cbranch_execnz .LBB33_52
; %bb.53:                               ;   in Loop: Header=BB33_2 Depth=1
	s_or_b64 exec, exec, s[20:21]
.LBB33_54:                              ;   in Loop: Header=BB33_2 Depth=1
	s_or_b64 exec, exec, s[18:19]
	v_sub_u32_e32 v4, v77, v83
	v_lshl_add_u32 v89, v83, 2, v75
	v_lshlrev_b32_e32 v88, 2, v4
	ds_read_b32 v84, v89
	ds_read_b32 v85, v88
	v_add_u32_e32 v83, v83, v18
	v_cmp_le_i32_e64 s[18:19], v33, v83
	v_cmp_gt_i32_e64 s[16:17], v34, v4
                                        ; implicit-def: $vgpr86
                                        ; implicit-def: $vgpr87
	s_waitcnt lgkmcnt(0)
	v_cmp_lt_i32_e64 s[20:21], v85, v84
	s_or_b64 s[18:19], s[18:19], s[20:21]
	s_and_b64 s[16:17], s[16:17], s[18:19]
	s_xor_b64 s[18:19], s[16:17], -1
	s_and_saveexec_b64 s[20:21], s[18:19]
	s_xor_b64 s[18:19], exec, s[20:21]
	s_cbranch_execz .LBB33_56
; %bb.55:                               ;   in Loop: Header=BB33_2 Depth=1
	ds_read_b32 v87, v89 offset:4
	v_mov_b32_e32 v86, v85
                                        ; implicit-def: $vgpr88
.LBB33_56:                              ;   in Loop: Header=BB33_2 Depth=1
	s_andn2_saveexec_b64 s[18:19], s[18:19]
	s_cbranch_execz .LBB33_58
; %bb.57:                               ;   in Loop: Header=BB33_2 Depth=1
	ds_read_b32 v86, v88 offset:4
	s_waitcnt lgkmcnt(1)
	v_mov_b32_e32 v87, v84
.LBB33_58:                              ;   in Loop: Header=BB33_2 Depth=1
	s_or_b64 exec, exec, s[18:19]
	v_add_u32_e32 v88, 1, v83
	v_cndmask_b32_e64 v84, v84, v85, s[16:17]
	v_add_u32_e32 v85, 1, v4
	v_cndmask_b32_e64 v88, v88, v83, s[16:17]
	v_cndmask_b32_e64 v85, v4, v85, s[16:17]
	v_cmp_ge_i32_e64 s[18:19], v88, v33
	s_waitcnt lgkmcnt(0)
	v_cmp_lt_i32_e64 s[20:21], v86, v87
	v_cndmask_b32_e64 v4, v83, v4, s[16:17]
	v_cmp_lt_i32_e64 s[16:17], v85, v34
	s_or_b64 s[18:19], s[18:19], s[20:21]
	s_and_b64 s[16:17], s[16:17], s[18:19]
	v_cndmask_b32_e64 v85, v88, v85, s[16:17]
	s_barrier
	ds_write2_b32 v5, v2, v3 offset1:1
	v_lshlrev_b32_e32 v2, 2, v4
	v_lshlrev_b32_e32 v3, 2, v85
	s_waitcnt lgkmcnt(0)
	s_barrier
	ds_read_b32 v2, v2
	ds_read_b32 v3, v3
	v_cndmask_b32_e64 v83, v87, v86, s[16:17]
	s_waitcnt lgkmcnt(0)
	s_barrier
	ds_write2_b32 v5, v84, v83 offset1:1
	v_mov_b32_e32 v83, v54
	s_waitcnt lgkmcnt(0)
	s_barrier
	s_and_saveexec_b64 s[18:19], s[12:13]
	s_cbranch_execz .LBB33_62
; %bb.59:                               ;   in Loop: Header=BB33_2 Depth=1
	s_mov_b64 s[20:21], 0
	v_mov_b32_e32 v83, v54
	v_mov_b32_e32 v4, v55
.LBB33_60:                              ;   Parent Loop BB33_2 Depth=1
                                        ; =>  This Inner Loop Header: Depth=2
	v_sub_u32_e32 v84, v4, v83
	v_lshrrev_b32_e32 v85, 31, v84
	v_add_u32_e32 v84, v84, v85
	v_ashrrev_i32_e32 v84, 1, v84
	v_add_u32_e32 v84, v84, v83
	v_xad_u32 v86, v84, -1, v51
	v_lshl_add_u32 v85, v84, 2, v78
	v_lshl_add_u32 v86, v86, 2, v79
	ds_read_b32 v85, v85
	ds_read_b32 v86, v86
	v_add_u32_e32 v87, 1, v84
	s_waitcnt lgkmcnt(0)
	v_cmp_lt_i32_e64 s[16:17], v86, v85
	s_nop 1
	v_cndmask_b32_e64 v4, v4, v84, s[16:17]
	v_cndmask_b32_e64 v83, v87, v83, s[16:17]
	v_cmp_ge_i32_e64 s[16:17], v83, v4
	s_or_b64 s[20:21], s[16:17], s[20:21]
	s_andn2_b64 exec, exec, s[20:21]
	s_cbranch_execnz .LBB33_60
; %bb.61:                               ;   in Loop: Header=BB33_2 Depth=1
	s_or_b64 exec, exec, s[20:21]
.LBB33_62:                              ;   in Loop: Header=BB33_2 Depth=1
	s_or_b64 exec, exec, s[18:19]
	v_sub_u32_e32 v4, v80, v83
	v_lshl_add_u32 v89, v83, 2, v78
	v_lshlrev_b32_e32 v88, 2, v4
	ds_read_b32 v84, v89
	ds_read_b32 v85, v88
	v_add_u32_e32 v83, v83, v50
	v_cmp_le_i32_e64 s[18:19], v52, v83
	v_cmp_gt_i32_e64 s[16:17], v53, v4
                                        ; implicit-def: $vgpr86
                                        ; implicit-def: $vgpr87
	s_waitcnt lgkmcnt(0)
	v_cmp_lt_i32_e64 s[20:21], v85, v84
	s_or_b64 s[18:19], s[18:19], s[20:21]
	s_and_b64 s[16:17], s[16:17], s[18:19]
	s_xor_b64 s[18:19], s[16:17], -1
	s_and_saveexec_b64 s[20:21], s[18:19]
	s_xor_b64 s[18:19], exec, s[20:21]
	s_cbranch_execz .LBB33_64
; %bb.63:                               ;   in Loop: Header=BB33_2 Depth=1
	ds_read_b32 v87, v89 offset:4
	v_mov_b32_e32 v86, v85
                                        ; implicit-def: $vgpr88
.LBB33_64:                              ;   in Loop: Header=BB33_2 Depth=1
	s_andn2_saveexec_b64 s[18:19], s[18:19]
	s_cbranch_execz .LBB33_66
; %bb.65:                               ;   in Loop: Header=BB33_2 Depth=1
	ds_read_b32 v86, v88 offset:4
	s_waitcnt lgkmcnt(1)
	v_mov_b32_e32 v87, v84
.LBB33_66:                              ;   in Loop: Header=BB33_2 Depth=1
	s_or_b64 exec, exec, s[18:19]
	v_add_u32_e32 v88, 1, v83
	v_cndmask_b32_e64 v85, v84, v85, s[16:17]
	v_add_u32_e32 v84, 1, v4
	v_cndmask_b32_e64 v88, v88, v83, s[16:17]
	v_cndmask_b32_e64 v84, v4, v84, s[16:17]
	v_cmp_ge_i32_e64 s[18:19], v88, v52
	s_waitcnt lgkmcnt(0)
	v_cmp_lt_i32_e64 s[20:21], v86, v87
	v_cndmask_b32_e64 v4, v83, v4, s[16:17]
	v_cmp_lt_i32_e64 s[16:17], v84, v53
	s_or_b64 s[18:19], s[18:19], s[20:21]
	s_and_b64 s[16:17], s[16:17], s[18:19]
	v_cndmask_b32_e64 v83, v88, v84, s[16:17]
	s_barrier
	ds_write2_b32 v5, v2, v3 offset1:1
	v_lshlrev_b32_e32 v2, 2, v4
	s_waitcnt lgkmcnt(0)
	s_barrier
	v_lshlrev_b32_e32 v3, 2, v83
	ds_read_b32 v83, v2
	ds_read_b32 v84, v3
	v_cndmask_b32_e64 v86, v87, v86, s[16:17]
	v_mov_b32_e32 v2, v56
	s_waitcnt lgkmcnt(0)
	s_barrier
	ds_write2_b32 v5, v85, v86 offset1:1
	s_waitcnt lgkmcnt(0)
	s_barrier
	s_and_saveexec_b64 s[18:19], s[14:15]
	s_cbranch_execz .LBB33_70
; %bb.67:                               ;   in Loop: Header=BB33_2 Depth=1
	s_mov_b64 s[20:21], 0
	v_mov_b32_e32 v2, v56
	v_mov_b32_e32 v3, v57
.LBB33_68:                              ;   Parent Loop BB33_2 Depth=1
                                        ; =>  This Inner Loop Header: Depth=2
	v_sub_u32_e32 v4, v3, v2
	v_lshrrev_b32_e32 v85, 31, v4
	v_add_u32_e32 v4, v4, v85
	v_ashrrev_i32_e32 v4, 1, v4
	v_add_u32_e32 v4, v4, v2
	v_xad_u32 v86, v4, -1, v1
	v_lshlrev_b32_e32 v85, 2, v4
	v_lshl_add_u32 v86, v86, 2, v81
	ds_read_b32 v85, v85
	ds_read_b32 v86, v86
	v_add_u32_e32 v87, 1, v4
	s_waitcnt lgkmcnt(0)
	v_cmp_lt_i32_e64 s[16:17], v86, v85
	s_nop 1
	v_cndmask_b32_e64 v3, v3, v4, s[16:17]
	v_cndmask_b32_e64 v2, v87, v2, s[16:17]
	v_cmp_ge_i32_e64 s[16:17], v2, v3
	s_or_b64 s[20:21], s[16:17], s[20:21]
	s_andn2_b64 exec, exec, s[20:21]
	s_cbranch_execnz .LBB33_68
; %bb.69:                               ;   in Loop: Header=BB33_2 Depth=1
	s_or_b64 exec, exec, s[20:21]
.LBB33_70:                              ;   in Loop: Header=BB33_2 Depth=1
	s_or_b64 exec, exec, s[18:19]
	v_sub_u32_e32 v4, v82, v2
	v_lshlrev_b32_e32 v90, 2, v2
	v_lshlrev_b32_e32 v89, 2, v4
	ds_read_b32 v85, v90
	ds_read_b32 v86, v89
	v_cmp_le_i32_e64 s[18:19], v49, v2
	v_cmp_gt_i32_e64 s[16:17], s24, v4
                                        ; implicit-def: $vgpr88
                                        ; implicit-def: $vgpr3
                                        ; implicit-def: $vgpr87
	s_waitcnt lgkmcnt(0)
	v_cmp_lt_i32_e64 s[20:21], v86, v85
	s_or_b64 s[18:19], s[18:19], s[20:21]
	s_and_b64 s[16:17], s[16:17], s[18:19]
	s_xor_b64 s[18:19], s[16:17], -1
	s_and_saveexec_b64 s[20:21], s[18:19]
	s_xor_b64 s[18:19], exec, s[20:21]
	s_cbranch_execz .LBB33_72
; %bb.71:                               ;   in Loop: Header=BB33_2 Depth=1
	ds_read_b32 v3, v90 offset:4
	v_add_u32_e32 v87, 1, v2
	v_mov_b32_e32 v88, v86
                                        ; implicit-def: $vgpr89
.LBB33_72:                              ;   in Loop: Header=BB33_2 Depth=1
	s_andn2_saveexec_b64 s[18:19], s[18:19]
	s_cbranch_execz .LBB33_1
; %bb.73:                               ;   in Loop: Header=BB33_2 Depth=1
	ds_read_b32 v88, v89 offset:4
	v_mov_b32_e32 v87, v2
	v_add_u32_e32 v89, 1, v4
	s_waitcnt lgkmcnt(1)
	v_mov_b64_e32 v[2:3], v[4:5]
	v_mov_b32_e32 v4, v89
	v_mov_b32_e32 v3, v85
	s_branch .LBB33_1
.LBB33_74:
	s_add_u32 s0, s26, s28
	s_waitcnt lgkmcnt(1)
	v_add_u32_e32 v1, v2, v4
	s_addc_u32 s1, s27, s29
	v_lshlrev_b32_e32 v0, 2, v0
	s_waitcnt lgkmcnt(0)
	v_add_u32_e32 v2, v3, v83
	global_store_dword v0, v1, s[0:1]
	global_store_dword v0, v2, s[0:1] offset:2048
	s_endpgm
	.section	.rodata,"a",@progbits
	.p2align	6, 0x0
	.amdhsa_kernel _Z17sort_pairs_kernelIiLj512ELj2EN10test_utils4lessELj10EEvPKT_PS2_T2_
		.amdhsa_group_segment_fixed_size 4100
		.amdhsa_private_segment_fixed_size 0
		.amdhsa_kernarg_size 20
		.amdhsa_user_sgpr_count 2
		.amdhsa_user_sgpr_dispatch_ptr 0
		.amdhsa_user_sgpr_queue_ptr 0
		.amdhsa_user_sgpr_kernarg_segment_ptr 1
		.amdhsa_user_sgpr_dispatch_id 0
		.amdhsa_user_sgpr_kernarg_preload_length 0
		.amdhsa_user_sgpr_kernarg_preload_offset 0
		.amdhsa_user_sgpr_private_segment_size 0
		.amdhsa_uses_dynamic_stack 0
		.amdhsa_enable_private_segment 0
		.amdhsa_system_sgpr_workgroup_id_x 1
		.amdhsa_system_sgpr_workgroup_id_y 0
		.amdhsa_system_sgpr_workgroup_id_z 0
		.amdhsa_system_sgpr_workgroup_info 0
		.amdhsa_system_vgpr_workitem_id 0
		.amdhsa_next_free_vgpr 91
		.amdhsa_next_free_sgpr 32
		.amdhsa_accum_offset 92
		.amdhsa_reserve_vcc 1
		.amdhsa_float_round_mode_32 0
		.amdhsa_float_round_mode_16_64 0
		.amdhsa_float_denorm_mode_32 3
		.amdhsa_float_denorm_mode_16_64 3
		.amdhsa_dx10_clamp 1
		.amdhsa_ieee_mode 1
		.amdhsa_fp16_overflow 0
		.amdhsa_tg_split 0
		.amdhsa_exception_fp_ieee_invalid_op 0
		.amdhsa_exception_fp_denorm_src 0
		.amdhsa_exception_fp_ieee_div_zero 0
		.amdhsa_exception_fp_ieee_overflow 0
		.amdhsa_exception_fp_ieee_underflow 0
		.amdhsa_exception_fp_ieee_inexact 0
		.amdhsa_exception_int_div_zero 0
	.end_amdhsa_kernel
	.section	.text._Z17sort_pairs_kernelIiLj512ELj2EN10test_utils4lessELj10EEvPKT_PS2_T2_,"axG",@progbits,_Z17sort_pairs_kernelIiLj512ELj2EN10test_utils4lessELj10EEvPKT_PS2_T2_,comdat
.Lfunc_end33:
	.size	_Z17sort_pairs_kernelIiLj512ELj2EN10test_utils4lessELj10EEvPKT_PS2_T2_, .Lfunc_end33-_Z17sort_pairs_kernelIiLj512ELj2EN10test_utils4lessELj10EEvPKT_PS2_T2_
                                        ; -- End function
	.section	.AMDGPU.csdata,"",@progbits
; Kernel info:
; codeLenInByte = 4692
; NumSgprs: 38
; NumVgprs: 91
; NumAgprs: 0
; TotalNumVgprs: 91
; ScratchSize: 0
; MemoryBound: 0
; FloatMode: 240
; IeeeMode: 1
; LDSByteSize: 4100 bytes/workgroup (compile time only)
; SGPRBlocks: 4
; VGPRBlocks: 11
; NumSGPRsForWavesPerEU: 38
; NumVGPRsForWavesPerEU: 91
; AccumOffset: 92
; Occupancy: 5
; WaveLimiterHint : 1
; COMPUTE_PGM_RSRC2:SCRATCH_EN: 0
; COMPUTE_PGM_RSRC2:USER_SGPR: 2
; COMPUTE_PGM_RSRC2:TRAP_HANDLER: 0
; COMPUTE_PGM_RSRC2:TGID_X_EN: 1
; COMPUTE_PGM_RSRC2:TGID_Y_EN: 0
; COMPUTE_PGM_RSRC2:TGID_Z_EN: 0
; COMPUTE_PGM_RSRC2:TIDIG_COMP_CNT: 0
; COMPUTE_PGM_RSRC3_GFX90A:ACCUM_OFFSET: 22
; COMPUTE_PGM_RSRC3_GFX90A:TG_SPLIT: 0
	.section	.text._Z16sort_keys_kernelIiLj512ELj3EN10test_utils4lessELj10EEvPKT_PS2_T2_,"axG",@progbits,_Z16sort_keys_kernelIiLj512ELj3EN10test_utils4lessELj10EEvPKT_PS2_T2_,comdat
	.protected	_Z16sort_keys_kernelIiLj512ELj3EN10test_utils4lessELj10EEvPKT_PS2_T2_ ; -- Begin function _Z16sort_keys_kernelIiLj512ELj3EN10test_utils4lessELj10EEvPKT_PS2_T2_
	.globl	_Z16sort_keys_kernelIiLj512ELj3EN10test_utils4lessELj10EEvPKT_PS2_T2_
	.p2align	8
	.type	_Z16sort_keys_kernelIiLj512ELj3EN10test_utils4lessELj10EEvPKT_PS2_T2_,@function
_Z16sort_keys_kernelIiLj512ELj3EN10test_utils4lessELj10EEvPKT_PS2_T2_: ; @_Z16sort_keys_kernelIiLj512ELj3EN10test_utils4lessELj10EEvPKT_PS2_T2_
; %bb.0:
	s_load_dwordx4 s[24:27], s[0:1], 0x0
	s_mul_i32 s28, s2, 0x600
	s_mov_b32 s29, 0
	s_lshl_b64 s[30:31], s[28:29], 2
	v_mov_b32_e32 v3, 0
	s_waitcnt lgkmcnt(0)
	s_add_u32 s0, s24, s30
	s_addc_u32 s1, s25, s31
	v_lshlrev_b32_e32 v2, 2, v0
	v_lshl_add_u64 v[4:5], s[0:1], 0, v[2:3]
	s_movk_i32 s2, 0x1000
	v_add_co_u32_e32 v4, vcc, s2, v4
	v_and_b32_e32 v10, 0x1f0, v0
	s_nop 0
	v_addc_co_u32_e32 v5, vcc, 0, v5, vcc
	global_load_dword v80, v2, s[0:1] offset:2048
	global_load_dword v81, v2, s[0:1]
	global_load_dword v82, v[4:5], off
	v_mul_u32_u24_e32 v40, 3, v10
	v_and_b32_e32 v13, 0x1e0, v0
	v_and_b32_e32 v1, 0x1fe, v0
	;; [unrolled: 1-line block ×4, first 2 shown]
	v_min_u32_e32 v25, 0x5e8, v40
	v_mul_u32_u24_e32 v44, 3, v13
	v_and_b32_e32 v16, 0x1c0, v0
	v_and_b32_e32 v19, 0x180, v0
	;; [unrolled: 1-line block ×3, first 2 shown]
	v_mov_b32_e32 v30, 0x60
	v_mul_u32_u24_e32 v29, 3, v1
	v_mul_u32_u24_e32 v32, 3, v4
	;; [unrolled: 1-line block ×3, first 2 shown]
	v_add_u32_e32 v11, 24, v25
	v_min_u32_e32 v26, 0x5d0, v44
	v_mul_u32_u24_e32 v48, 3, v16
	v_mul_u32_u24_e32 v52, 3, v19
	;; [unrolled: 1-line block ×3, first 2 shown]
	v_lshl_add_u32 v25, v25, 2, v30
	v_mov_b32_e32 v30, 0xc0
	v_and_b32_e32 v1, 1, v0
	v_min_u32_e32 v64, 0x5fd, v29
	v_min_u32_e32 v3, 0x5fa, v29
	;; [unrolled: 1-line block ×7, first 2 shown]
	v_add_u32_e32 v14, 48, v26
	v_min_u32_e32 v15, 0x5a0, v44
	v_min_u32_e32 v27, 0x5a0, v48
	;; [unrolled: 1-line block ×7, first 2 shown]
	v_lshl_add_u32 v26, v26, 2, v30
	v_mov_b32_e32 v30, 0x180
	v_cmp_eq_u32_e32 vcc, 1, v1
	v_add_u32_e32 v2, 3, v64
	v_add_u32_e32 v3, 6, v3
	v_and_b32_e32 v35, 3, v0
	v_add_u32_e32 v5, 6, v65
	v_add_u32_e32 v6, 12, v6
	v_and_b32_e32 v39, 7, v0
	v_add_u32_e32 v8, 12, v66
	v_add_u32_e32 v9, 24, v9
	v_and_b32_e32 v43, 15, v0
	v_add_u32_e32 v12, 48, v12
	v_and_b32_e32 v47, 31, v0
	v_add_u32_e32 v15, 0x60, v15
	v_and_b32_e32 v51, 63, v0
	v_add_u32_e32 v17, 0x60, v27
	v_add_u32_e32 v18, 0xc0, v18
	v_and_b32_e32 v55, 0x7f, v0
	v_add_u32_e32 v20, 0xc0, v67
	;; [unrolled: 3-line block ×3, first 2 shown]
	v_add_u32_e32 v24, 0x300, v24
	v_lshl_add_u32 v27, v27, 2, v30
	v_mov_b32_e32 v30, 0x600
	v_cndmask_b32_e64 v1, 0, 3, vcc
	v_mul_u32_u24_e32 v4, 3, v35
	v_sub_u32_e32 v33, v6, v5
	v_mul_u32_u24_e32 v7, 3, v39
	v_sub_u32_e32 v37, v9, v8
	;; [unrolled: 2-line block ×7, first 2 shown]
	v_lshl_add_u32 v28, v28, 2, v30
	v_sub_u32_e32 v30, v3, v2
	v_sub_u32_e32 v34, v4, v33
	;; [unrolled: 1-line block ×9, first 2 shown]
	v_min_u32_e32 v29, 0x600, v29
	v_cmp_ge_i32_e32 vcc, v1, v30
	v_min_u32_e32 v32, 0x600, v32
	v_cmp_ge_i32_e64 s[0:1], v4, v33
	v_min_u32_e32 v36, 0x600, v36
	v_cmp_ge_i32_e64 s[2:3], v7, v37
	;; [unrolled: 2-line block ×7, first 2 shown]
	v_cndmask_b32_e32 v30, 0, v31, vcc
	v_sub_u32_e32 v31, v2, v29
	v_cndmask_b32_e64 v33, 0, v34, s[0:1]
	v_sub_u32_e32 v34, v5, v32
	v_cndmask_b32_e64 v37, 0, v38, s[2:3]
	;; [unrolled: 2-line block ×7, first 2 shown]
	v_sub_u32_e32 v58, v23, v56
	v_mul_u32_u24_e32 v60, 3, v0
	v_mov_b32_e32 v61, 0x300
	v_min_i32_e32 v31, v1, v31
	v_min_i32_e32 v34, v4, v34
	;; [unrolled: 1-line block ×8, first 2 shown]
	v_sub_u32_e64 v62, v60, v61 clamp
	v_min_i32_e32 v63, 0x300, v60
	s_movk_i32 s24, 0x600
	v_cmp_lt_i32_e32 vcc, v30, v31
	v_cmp_lt_i32_e64 s[0:1], v33, v34
	v_mad_u32_u24 v35, v35, 3, v5
	v_cmp_lt_i32_e64 s[2:3], v37, v38
	v_mad_u32_u24 v39, v39, 3, v8
	;; [unrolled: 2-line block ×7, first 2 shown]
	v_cmp_lt_i32_e64 s[14:15], v62, v63
	v_lshl_add_u32 v64, v64, 2, 12
	v_lshl_add_u32 v65, v65, 2, 24
	v_lshl_add_u32 v66, v66, 2, 48
	v_lshl_add_u32 v67, v67, 2, v61
	v_lshlrev_b32_e32 v68, 2, v60
	v_lshlrev_b32_e32 v69, 2, v29
	v_add_u32_e32 v70, v2, v1
	v_lshlrev_b32_e32 v71, 2, v32
	v_lshlrev_b32_e32 v72, 2, v36
	;; [unrolled: 1-line block ×7, first 2 shown]
	v_mad_u32_u24 v78, v0, 3, v61
	v_mov_b32_e32 v79, 0xc00
	s_branch .LBB34_2
.LBB34_1:                               ;   in Loop: Header=BB34_2 Depth=1
	s_or_b64 exec, exec, s[20:21]
	v_cndmask_b32_e64 v81, v80, v81, s[16:17]
	v_cndmask_b32_e64 v80, v84, v83, s[18:19]
	v_cmp_ge_i32_e64 s[18:19], v87, v61
	s_waitcnt lgkmcnt(0)
	v_cmp_lt_i32_e64 s[20:21], v88, v82
	v_cmp_gt_i32_e64 s[16:17], s24, v85
	s_or_b64 s[18:19], s[18:19], s[20:21]
	s_add_i32 s29, s29, 1
	s_and_b64 s[16:17], s[16:17], s[18:19]
	s_cmp_eq_u32 s29, 10
	v_cndmask_b32_e64 v82, v82, v88, s[16:17]
	s_cbranch_scc1 .LBB34_110
.LBB34_2:                               ; =>This Loop Header: Depth=1
                                        ;     Child Loop BB34_4 Depth 2
                                        ;     Child Loop BB34_16 Depth 2
	;; [unrolled: 1-line block ×9, first 2 shown]
	s_waitcnt vmcnt(1)
	v_cmp_lt_i32_e64 s[16:17], v80, v81
	v_min_i32_e32 v85, v80, v81
	s_nop 0
	v_cndmask_b32_e64 v83, v81, v80, s[16:17]
	v_cndmask_b32_e64 v84, v80, v81, s[16:17]
	v_max_i32_e32 v80, v80, v81
	s_waitcnt vmcnt(0)
	v_cmp_lt_i32_e64 s[16:17], v82, v80
	s_barrier
	s_nop 0
	v_cndmask_b32_e64 v81, v82, v80, s[16:17]
	v_cndmask_b32_e64 v84, v84, v82, s[16:17]
	v_min_i32_e32 v80, v82, v80
	v_cmp_lt_i32_e64 s[16:17], v82, v85
	s_nop 1
	v_cndmask_b32_e64 v80, v83, v80, s[16:17]
	v_cndmask_b32_e64 v82, v84, v85, s[16:17]
	ds_write2_b32 v68, v80, v82 offset1:1
	ds_write_b32 v68, v81 offset:8
	v_mov_b32_e32 v82, v30
	s_waitcnt lgkmcnt(0)
	s_barrier
	s_and_saveexec_b64 s[18:19], vcc
	s_cbranch_execz .LBB34_6
; %bb.3:                                ;   in Loop: Header=BB34_2 Depth=1
	s_mov_b64 s[20:21], 0
	v_mov_b32_e32 v82, v30
	v_mov_b32_e32 v80, v31
.LBB34_4:                               ;   Parent Loop BB34_2 Depth=1
                                        ; =>  This Inner Loop Header: Depth=2
	v_sub_u32_e32 v81, v80, v82
	v_lshrrev_b32_e32 v83, 31, v81
	v_add_u32_e32 v81, v81, v83
	v_ashrrev_i32_e32 v81, 1, v81
	v_add_u32_e32 v81, v81, v82
	v_xad_u32 v84, v81, -1, v1
	v_lshl_add_u32 v83, v81, 2, v69
	v_lshl_add_u32 v84, v84, 2, v64
	ds_read_b32 v83, v83
	ds_read_b32 v84, v84
	v_add_u32_e32 v85, 1, v81
	s_waitcnt lgkmcnt(0)
	v_cmp_lt_i32_e64 s[16:17], v84, v83
	s_nop 1
	v_cndmask_b32_e64 v80, v80, v81, s[16:17]
	v_cndmask_b32_e64 v82, v85, v82, s[16:17]
	v_cmp_ge_i32_e64 s[16:17], v82, v80
	s_or_b64 s[20:21], s[16:17], s[20:21]
	s_andn2_b64 exec, exec, s[20:21]
	s_cbranch_execnz .LBB34_4
; %bb.5:                                ;   in Loop: Header=BB34_2 Depth=1
	s_or_b64 exec, exec, s[20:21]
.LBB34_6:                               ;   in Loop: Header=BB34_2 Depth=1
	s_or_b64 exec, exec, s[18:19]
	v_sub_u32_e32 v84, v70, v82
	v_lshl_add_u32 v87, v82, 2, v69
	v_lshlrev_b32_e32 v86, 2, v84
	ds_read_b32 v80, v87
	ds_read_b32 v81, v86
	v_add_u32_e32 v85, v82, v29
	v_cmp_le_i32_e64 s[18:19], v2, v85
	v_cmp_gt_i32_e64 s[16:17], v3, v84
                                        ; implicit-def: $vgpr82
                                        ; implicit-def: $vgpr83
	s_waitcnt lgkmcnt(0)
	v_cmp_lt_i32_e64 s[20:21], v81, v80
	s_or_b64 s[18:19], s[18:19], s[20:21]
	s_and_b64 s[16:17], s[16:17], s[18:19]
	s_xor_b64 s[18:19], s[16:17], -1
	s_and_saveexec_b64 s[20:21], s[18:19]
	s_xor_b64 s[18:19], exec, s[20:21]
	s_cbranch_execz .LBB34_8
; %bb.7:                                ;   in Loop: Header=BB34_2 Depth=1
	ds_read_b32 v83, v87 offset:4
	v_mov_b32_e32 v82, v81
                                        ; implicit-def: $vgpr86
.LBB34_8:                               ;   in Loop: Header=BB34_2 Depth=1
	s_andn2_saveexec_b64 s[18:19], s[18:19]
	s_cbranch_execz .LBB34_10
; %bb.9:                                ;   in Loop: Header=BB34_2 Depth=1
	ds_read_b32 v82, v86 offset:4
	s_waitcnt lgkmcnt(1)
	v_mov_b32_e32 v83, v80
.LBB34_10:                              ;   in Loop: Header=BB34_2 Depth=1
	s_or_b64 exec, exec, s[18:19]
	v_add_u32_e32 v87, 1, v85
	v_add_u32_e32 v86, 1, v84
	v_cndmask_b32_e64 v85, v87, v85, s[16:17]
	v_cndmask_b32_e64 v84, v84, v86, s[16:17]
	v_cmp_ge_i32_e64 s[20:21], v85, v2
	s_waitcnt lgkmcnt(0)
	v_cmp_lt_i32_e64 s[22:23], v82, v83
	v_cmp_lt_i32_e64 s[18:19], v84, v3
	s_or_b64 s[20:21], s[20:21], s[22:23]
	s_and_b64 s[18:19], s[18:19], s[20:21]
	s_xor_b64 s[20:21], s[18:19], -1
                                        ; implicit-def: $vgpr86
	s_and_saveexec_b64 s[22:23], s[20:21]
	s_xor_b64 s[20:21], exec, s[22:23]
	s_cbranch_execz .LBB34_12
; %bb.11:                               ;   in Loop: Header=BB34_2 Depth=1
	v_lshlrev_b32_e32 v86, 2, v85
	ds_read_b32 v86, v86 offset:4
.LBB34_12:                              ;   in Loop: Header=BB34_2 Depth=1
	s_or_saveexec_b64 s[20:21], s[20:21]
	v_mov_b32_e32 v87, v82
	s_xor_b64 exec, exec, s[20:21]
	s_cbranch_execz .LBB34_14
; %bb.13:                               ;   in Loop: Header=BB34_2 Depth=1
	s_waitcnt lgkmcnt(0)
	v_lshlrev_b32_e32 v86, 2, v84
	ds_read_b32 v87, v86 offset:4
	v_mov_b32_e32 v86, v83
.LBB34_14:                              ;   in Loop: Header=BB34_2 Depth=1
	s_or_b64 exec, exec, s[20:21]
	v_cndmask_b32_e64 v82, v83, v82, s[18:19]
	v_add_u32_e32 v83, 1, v84
	v_add_u32_e32 v88, 1, v85
	v_cndmask_b32_e64 v83, v84, v83, s[18:19]
	v_cndmask_b32_e64 v84, v88, v85, s[18:19]
	v_cmp_ge_i32_e64 s[18:19], v84, v2
	s_waitcnt lgkmcnt(0)
	v_cmp_lt_i32_e64 s[20:21], v87, v86
	v_cndmask_b32_e64 v80, v80, v81, s[16:17]
	v_cmp_lt_i32_e64 s[16:17], v83, v3
	s_or_b64 s[18:19], s[18:19], s[20:21]
	s_and_b64 s[16:17], s[16:17], s[18:19]
	v_cndmask_b32_e64 v81, v86, v87, s[16:17]
	s_barrier
	ds_write2_b32 v68, v80, v82 offset1:1
	ds_write_b32 v68, v81 offset:8
	v_mov_b32_e32 v82, v33
	s_waitcnt lgkmcnt(0)
	s_barrier
	s_and_saveexec_b64 s[18:19], s[0:1]
	s_cbranch_execz .LBB34_18
; %bb.15:                               ;   in Loop: Header=BB34_2 Depth=1
	s_mov_b64 s[20:21], 0
	v_mov_b32_e32 v82, v33
	v_mov_b32_e32 v80, v34
.LBB34_16:                              ;   Parent Loop BB34_2 Depth=1
                                        ; =>  This Inner Loop Header: Depth=2
	v_sub_u32_e32 v81, v80, v82
	v_lshrrev_b32_e32 v83, 31, v81
	v_add_u32_e32 v81, v81, v83
	v_ashrrev_i32_e32 v81, 1, v81
	v_add_u32_e32 v81, v81, v82
	v_xad_u32 v84, v81, -1, v4
	v_lshl_add_u32 v83, v81, 2, v71
	v_lshl_add_u32 v84, v84, 2, v65
	ds_read_b32 v83, v83
	ds_read_b32 v84, v84
	v_add_u32_e32 v85, 1, v81
	s_waitcnt lgkmcnt(0)
	v_cmp_lt_i32_e64 s[16:17], v84, v83
	s_nop 1
	v_cndmask_b32_e64 v80, v80, v81, s[16:17]
	v_cndmask_b32_e64 v82, v85, v82, s[16:17]
	v_cmp_ge_i32_e64 s[16:17], v82, v80
	s_or_b64 s[20:21], s[16:17], s[20:21]
	s_andn2_b64 exec, exec, s[20:21]
	s_cbranch_execnz .LBB34_16
; %bb.17:                               ;   in Loop: Header=BB34_2 Depth=1
	s_or_b64 exec, exec, s[20:21]
.LBB34_18:                              ;   in Loop: Header=BB34_2 Depth=1
	s_or_b64 exec, exec, s[18:19]
	v_sub_u32_e32 v84, v35, v82
	v_lshl_add_u32 v87, v82, 2, v71
	v_lshlrev_b32_e32 v86, 2, v84
	ds_read_b32 v80, v87
	ds_read_b32 v81, v86
	v_add_u32_e32 v85, v82, v32
	v_cmp_le_i32_e64 s[18:19], v5, v85
	v_cmp_gt_i32_e64 s[16:17], v6, v84
                                        ; implicit-def: $vgpr82
                                        ; implicit-def: $vgpr83
	s_waitcnt lgkmcnt(0)
	v_cmp_lt_i32_e64 s[20:21], v81, v80
	s_or_b64 s[18:19], s[18:19], s[20:21]
	s_and_b64 s[16:17], s[16:17], s[18:19]
	s_xor_b64 s[18:19], s[16:17], -1
	s_and_saveexec_b64 s[20:21], s[18:19]
	s_xor_b64 s[18:19], exec, s[20:21]
	s_cbranch_execz .LBB34_20
; %bb.19:                               ;   in Loop: Header=BB34_2 Depth=1
	ds_read_b32 v83, v87 offset:4
	v_mov_b32_e32 v82, v81
                                        ; implicit-def: $vgpr86
.LBB34_20:                              ;   in Loop: Header=BB34_2 Depth=1
	s_andn2_saveexec_b64 s[18:19], s[18:19]
	s_cbranch_execz .LBB34_22
; %bb.21:                               ;   in Loop: Header=BB34_2 Depth=1
	ds_read_b32 v82, v86 offset:4
	s_waitcnt lgkmcnt(1)
	v_mov_b32_e32 v83, v80
.LBB34_22:                              ;   in Loop: Header=BB34_2 Depth=1
	s_or_b64 exec, exec, s[18:19]
	v_add_u32_e32 v87, 1, v85
	v_add_u32_e32 v86, 1, v84
	v_cndmask_b32_e64 v85, v87, v85, s[16:17]
	v_cndmask_b32_e64 v84, v84, v86, s[16:17]
	v_cmp_ge_i32_e64 s[20:21], v85, v5
	s_waitcnt lgkmcnt(0)
	v_cmp_lt_i32_e64 s[22:23], v82, v83
	v_cmp_lt_i32_e64 s[18:19], v84, v6
	s_or_b64 s[20:21], s[20:21], s[22:23]
	s_and_b64 s[18:19], s[18:19], s[20:21]
	s_xor_b64 s[20:21], s[18:19], -1
                                        ; implicit-def: $vgpr86
	s_and_saveexec_b64 s[22:23], s[20:21]
	s_xor_b64 s[20:21], exec, s[22:23]
	s_cbranch_execz .LBB34_24
; %bb.23:                               ;   in Loop: Header=BB34_2 Depth=1
	v_lshlrev_b32_e32 v86, 2, v85
	ds_read_b32 v86, v86 offset:4
.LBB34_24:                              ;   in Loop: Header=BB34_2 Depth=1
	s_or_saveexec_b64 s[20:21], s[20:21]
	v_mov_b32_e32 v87, v82
	s_xor_b64 exec, exec, s[20:21]
	s_cbranch_execz .LBB34_26
; %bb.25:                               ;   in Loop: Header=BB34_2 Depth=1
	s_waitcnt lgkmcnt(0)
	v_lshlrev_b32_e32 v86, 2, v84
	ds_read_b32 v87, v86 offset:4
	v_mov_b32_e32 v86, v83
.LBB34_26:                              ;   in Loop: Header=BB34_2 Depth=1
	s_or_b64 exec, exec, s[20:21]
	v_cndmask_b32_e64 v82, v83, v82, s[18:19]
	v_add_u32_e32 v83, 1, v84
	v_add_u32_e32 v88, 1, v85
	v_cndmask_b32_e64 v83, v84, v83, s[18:19]
	v_cndmask_b32_e64 v84, v88, v85, s[18:19]
	v_cmp_ge_i32_e64 s[18:19], v84, v5
	s_waitcnt lgkmcnt(0)
	v_cmp_lt_i32_e64 s[20:21], v87, v86
	v_cndmask_b32_e64 v80, v80, v81, s[16:17]
	v_cmp_lt_i32_e64 s[16:17], v83, v6
	s_or_b64 s[18:19], s[18:19], s[20:21]
	s_and_b64 s[16:17], s[16:17], s[18:19]
	v_cndmask_b32_e64 v81, v86, v87, s[16:17]
	s_barrier
	ds_write2_b32 v68, v80, v82 offset1:1
	ds_write_b32 v68, v81 offset:8
	v_mov_b32_e32 v82, v37
	s_waitcnt lgkmcnt(0)
	s_barrier
	s_and_saveexec_b64 s[18:19], s[2:3]
	s_cbranch_execz .LBB34_30
; %bb.27:                               ;   in Loop: Header=BB34_2 Depth=1
	s_mov_b64 s[20:21], 0
	v_mov_b32_e32 v82, v37
	v_mov_b32_e32 v80, v38
.LBB34_28:                              ;   Parent Loop BB34_2 Depth=1
                                        ; =>  This Inner Loop Header: Depth=2
	v_sub_u32_e32 v81, v80, v82
	v_lshrrev_b32_e32 v83, 31, v81
	v_add_u32_e32 v81, v81, v83
	v_ashrrev_i32_e32 v81, 1, v81
	v_add_u32_e32 v81, v81, v82
	v_xad_u32 v84, v81, -1, v7
	v_lshl_add_u32 v83, v81, 2, v72
	v_lshl_add_u32 v84, v84, 2, v66
	ds_read_b32 v83, v83
	ds_read_b32 v84, v84
	v_add_u32_e32 v85, 1, v81
	s_waitcnt lgkmcnt(0)
	v_cmp_lt_i32_e64 s[16:17], v84, v83
	s_nop 1
	v_cndmask_b32_e64 v80, v80, v81, s[16:17]
	v_cndmask_b32_e64 v82, v85, v82, s[16:17]
	v_cmp_ge_i32_e64 s[16:17], v82, v80
	s_or_b64 s[20:21], s[16:17], s[20:21]
	s_andn2_b64 exec, exec, s[20:21]
	s_cbranch_execnz .LBB34_28
; %bb.29:                               ;   in Loop: Header=BB34_2 Depth=1
	s_or_b64 exec, exec, s[20:21]
.LBB34_30:                              ;   in Loop: Header=BB34_2 Depth=1
	s_or_b64 exec, exec, s[18:19]
	v_sub_u32_e32 v84, v39, v82
	v_lshl_add_u32 v87, v82, 2, v72
	v_lshlrev_b32_e32 v86, 2, v84
	ds_read_b32 v80, v87
	ds_read_b32 v81, v86
	v_add_u32_e32 v85, v82, v36
	v_cmp_le_i32_e64 s[18:19], v8, v85
	v_cmp_gt_i32_e64 s[16:17], v9, v84
                                        ; implicit-def: $vgpr82
                                        ; implicit-def: $vgpr83
	s_waitcnt lgkmcnt(0)
	v_cmp_lt_i32_e64 s[20:21], v81, v80
	s_or_b64 s[18:19], s[18:19], s[20:21]
	s_and_b64 s[16:17], s[16:17], s[18:19]
	s_xor_b64 s[18:19], s[16:17], -1
	s_and_saveexec_b64 s[20:21], s[18:19]
	s_xor_b64 s[18:19], exec, s[20:21]
	s_cbranch_execz .LBB34_32
; %bb.31:                               ;   in Loop: Header=BB34_2 Depth=1
	ds_read_b32 v83, v87 offset:4
	v_mov_b32_e32 v82, v81
                                        ; implicit-def: $vgpr86
.LBB34_32:                              ;   in Loop: Header=BB34_2 Depth=1
	s_andn2_saveexec_b64 s[18:19], s[18:19]
	s_cbranch_execz .LBB34_34
; %bb.33:                               ;   in Loop: Header=BB34_2 Depth=1
	ds_read_b32 v82, v86 offset:4
	s_waitcnt lgkmcnt(1)
	v_mov_b32_e32 v83, v80
.LBB34_34:                              ;   in Loop: Header=BB34_2 Depth=1
	s_or_b64 exec, exec, s[18:19]
	v_add_u32_e32 v87, 1, v85
	v_add_u32_e32 v86, 1, v84
	v_cndmask_b32_e64 v85, v87, v85, s[16:17]
	v_cndmask_b32_e64 v84, v84, v86, s[16:17]
	v_cmp_ge_i32_e64 s[20:21], v85, v8
	s_waitcnt lgkmcnt(0)
	v_cmp_lt_i32_e64 s[22:23], v82, v83
	v_cmp_lt_i32_e64 s[18:19], v84, v9
	s_or_b64 s[20:21], s[20:21], s[22:23]
	s_and_b64 s[18:19], s[18:19], s[20:21]
	s_xor_b64 s[20:21], s[18:19], -1
                                        ; implicit-def: $vgpr86
	s_and_saveexec_b64 s[22:23], s[20:21]
	s_xor_b64 s[20:21], exec, s[22:23]
	s_cbranch_execz .LBB34_36
; %bb.35:                               ;   in Loop: Header=BB34_2 Depth=1
	v_lshlrev_b32_e32 v86, 2, v85
	ds_read_b32 v86, v86 offset:4
.LBB34_36:                              ;   in Loop: Header=BB34_2 Depth=1
	s_or_saveexec_b64 s[20:21], s[20:21]
	v_mov_b32_e32 v87, v82
	s_xor_b64 exec, exec, s[20:21]
	s_cbranch_execz .LBB34_38
; %bb.37:                               ;   in Loop: Header=BB34_2 Depth=1
	s_waitcnt lgkmcnt(0)
	v_lshlrev_b32_e32 v86, 2, v84
	ds_read_b32 v87, v86 offset:4
	v_mov_b32_e32 v86, v83
.LBB34_38:                              ;   in Loop: Header=BB34_2 Depth=1
	s_or_b64 exec, exec, s[20:21]
	v_cndmask_b32_e64 v82, v83, v82, s[18:19]
	v_add_u32_e32 v83, 1, v84
	v_add_u32_e32 v88, 1, v85
	v_cndmask_b32_e64 v83, v84, v83, s[18:19]
	v_cndmask_b32_e64 v84, v88, v85, s[18:19]
	v_cmp_ge_i32_e64 s[18:19], v84, v8
	s_waitcnt lgkmcnt(0)
	v_cmp_lt_i32_e64 s[20:21], v87, v86
	v_cndmask_b32_e64 v80, v80, v81, s[16:17]
	v_cmp_lt_i32_e64 s[16:17], v83, v9
	s_or_b64 s[18:19], s[18:19], s[20:21]
	s_and_b64 s[16:17], s[16:17], s[18:19]
	v_cndmask_b32_e64 v81, v86, v87, s[16:17]
	s_barrier
	ds_write2_b32 v68, v80, v82 offset1:1
	ds_write_b32 v68, v81 offset:8
	v_mov_b32_e32 v82, v41
	s_waitcnt lgkmcnt(0)
	s_barrier
	s_and_saveexec_b64 s[18:19], s[4:5]
	s_cbranch_execz .LBB34_42
; %bb.39:                               ;   in Loop: Header=BB34_2 Depth=1
	s_mov_b64 s[20:21], 0
	v_mov_b32_e32 v82, v41
	v_mov_b32_e32 v80, v42
.LBB34_40:                              ;   Parent Loop BB34_2 Depth=1
                                        ; =>  This Inner Loop Header: Depth=2
	v_sub_u32_e32 v81, v80, v82
	v_lshrrev_b32_e32 v83, 31, v81
	v_add_u32_e32 v81, v81, v83
	v_ashrrev_i32_e32 v81, 1, v81
	v_add_u32_e32 v81, v81, v82
	v_xad_u32 v84, v81, -1, v10
	v_lshl_add_u32 v83, v81, 2, v73
	v_lshl_add_u32 v84, v84, 2, v25
	ds_read_b32 v83, v83
	ds_read_b32 v84, v84
	v_add_u32_e32 v85, 1, v81
	s_waitcnt lgkmcnt(0)
	v_cmp_lt_i32_e64 s[16:17], v84, v83
	s_nop 1
	v_cndmask_b32_e64 v80, v80, v81, s[16:17]
	v_cndmask_b32_e64 v82, v85, v82, s[16:17]
	v_cmp_ge_i32_e64 s[16:17], v82, v80
	s_or_b64 s[20:21], s[16:17], s[20:21]
	s_andn2_b64 exec, exec, s[20:21]
	s_cbranch_execnz .LBB34_40
; %bb.41:                               ;   in Loop: Header=BB34_2 Depth=1
	s_or_b64 exec, exec, s[20:21]
.LBB34_42:                              ;   in Loop: Header=BB34_2 Depth=1
	s_or_b64 exec, exec, s[18:19]
	v_sub_u32_e32 v84, v43, v82
	v_lshl_add_u32 v87, v82, 2, v73
	v_lshlrev_b32_e32 v86, 2, v84
	ds_read_b32 v80, v87
	ds_read_b32 v81, v86
	v_add_u32_e32 v85, v82, v40
	v_cmp_le_i32_e64 s[18:19], v11, v85
	v_cmp_gt_i32_e64 s[16:17], v12, v84
                                        ; implicit-def: $vgpr82
                                        ; implicit-def: $vgpr83
	s_waitcnt lgkmcnt(0)
	v_cmp_lt_i32_e64 s[20:21], v81, v80
	s_or_b64 s[18:19], s[18:19], s[20:21]
	s_and_b64 s[16:17], s[16:17], s[18:19]
	s_xor_b64 s[18:19], s[16:17], -1
	s_and_saveexec_b64 s[20:21], s[18:19]
	s_xor_b64 s[18:19], exec, s[20:21]
	s_cbranch_execz .LBB34_44
; %bb.43:                               ;   in Loop: Header=BB34_2 Depth=1
	ds_read_b32 v83, v87 offset:4
	v_mov_b32_e32 v82, v81
                                        ; implicit-def: $vgpr86
.LBB34_44:                              ;   in Loop: Header=BB34_2 Depth=1
	s_andn2_saveexec_b64 s[18:19], s[18:19]
	s_cbranch_execz .LBB34_46
; %bb.45:                               ;   in Loop: Header=BB34_2 Depth=1
	ds_read_b32 v82, v86 offset:4
	s_waitcnt lgkmcnt(1)
	v_mov_b32_e32 v83, v80
.LBB34_46:                              ;   in Loop: Header=BB34_2 Depth=1
	s_or_b64 exec, exec, s[18:19]
	v_add_u32_e32 v87, 1, v85
	v_add_u32_e32 v86, 1, v84
	v_cndmask_b32_e64 v85, v87, v85, s[16:17]
	v_cndmask_b32_e64 v84, v84, v86, s[16:17]
	v_cmp_ge_i32_e64 s[20:21], v85, v11
	s_waitcnt lgkmcnt(0)
	v_cmp_lt_i32_e64 s[22:23], v82, v83
	v_cmp_lt_i32_e64 s[18:19], v84, v12
	s_or_b64 s[20:21], s[20:21], s[22:23]
	s_and_b64 s[18:19], s[18:19], s[20:21]
	s_xor_b64 s[20:21], s[18:19], -1
                                        ; implicit-def: $vgpr86
	s_and_saveexec_b64 s[22:23], s[20:21]
	s_xor_b64 s[20:21], exec, s[22:23]
	s_cbranch_execz .LBB34_48
; %bb.47:                               ;   in Loop: Header=BB34_2 Depth=1
	v_lshlrev_b32_e32 v86, 2, v85
	ds_read_b32 v86, v86 offset:4
.LBB34_48:                              ;   in Loop: Header=BB34_2 Depth=1
	s_or_saveexec_b64 s[20:21], s[20:21]
	v_mov_b32_e32 v87, v82
	s_xor_b64 exec, exec, s[20:21]
	s_cbranch_execz .LBB34_50
; %bb.49:                               ;   in Loop: Header=BB34_2 Depth=1
	s_waitcnt lgkmcnt(0)
	v_lshlrev_b32_e32 v86, 2, v84
	ds_read_b32 v87, v86 offset:4
	v_mov_b32_e32 v86, v83
.LBB34_50:                              ;   in Loop: Header=BB34_2 Depth=1
	s_or_b64 exec, exec, s[20:21]
	v_cndmask_b32_e64 v82, v83, v82, s[18:19]
	v_add_u32_e32 v83, 1, v84
	v_add_u32_e32 v88, 1, v85
	v_cndmask_b32_e64 v83, v84, v83, s[18:19]
	v_cndmask_b32_e64 v84, v88, v85, s[18:19]
	v_cmp_ge_i32_e64 s[18:19], v84, v11
	s_waitcnt lgkmcnt(0)
	v_cmp_lt_i32_e64 s[20:21], v87, v86
	v_cndmask_b32_e64 v80, v80, v81, s[16:17]
	v_cmp_lt_i32_e64 s[16:17], v83, v12
	s_or_b64 s[18:19], s[18:19], s[20:21]
	s_and_b64 s[16:17], s[16:17], s[18:19]
	v_cndmask_b32_e64 v81, v86, v87, s[16:17]
	s_barrier
	ds_write2_b32 v68, v80, v82 offset1:1
	ds_write_b32 v68, v81 offset:8
	v_mov_b32_e32 v82, v45
	s_waitcnt lgkmcnt(0)
	s_barrier
	s_and_saveexec_b64 s[18:19], s[6:7]
	s_cbranch_execz .LBB34_54
; %bb.51:                               ;   in Loop: Header=BB34_2 Depth=1
	s_mov_b64 s[20:21], 0
	v_mov_b32_e32 v82, v45
	v_mov_b32_e32 v80, v46
.LBB34_52:                              ;   Parent Loop BB34_2 Depth=1
                                        ; =>  This Inner Loop Header: Depth=2
	v_sub_u32_e32 v81, v80, v82
	v_lshrrev_b32_e32 v83, 31, v81
	v_add_u32_e32 v81, v81, v83
	v_ashrrev_i32_e32 v81, 1, v81
	v_add_u32_e32 v81, v81, v82
	v_xad_u32 v84, v81, -1, v13
	v_lshl_add_u32 v83, v81, 2, v74
	v_lshl_add_u32 v84, v84, 2, v26
	ds_read_b32 v83, v83
	ds_read_b32 v84, v84
	v_add_u32_e32 v85, 1, v81
	s_waitcnt lgkmcnt(0)
	v_cmp_lt_i32_e64 s[16:17], v84, v83
	s_nop 1
	v_cndmask_b32_e64 v80, v80, v81, s[16:17]
	v_cndmask_b32_e64 v82, v85, v82, s[16:17]
	v_cmp_ge_i32_e64 s[16:17], v82, v80
	s_or_b64 s[20:21], s[16:17], s[20:21]
	s_andn2_b64 exec, exec, s[20:21]
	s_cbranch_execnz .LBB34_52
; %bb.53:                               ;   in Loop: Header=BB34_2 Depth=1
	s_or_b64 exec, exec, s[20:21]
.LBB34_54:                              ;   in Loop: Header=BB34_2 Depth=1
	s_or_b64 exec, exec, s[18:19]
	v_sub_u32_e32 v84, v47, v82
	v_lshl_add_u32 v87, v82, 2, v74
	v_lshlrev_b32_e32 v86, 2, v84
	ds_read_b32 v80, v87
	ds_read_b32 v81, v86
	v_add_u32_e32 v85, v82, v44
	v_cmp_le_i32_e64 s[18:19], v14, v85
	v_cmp_gt_i32_e64 s[16:17], v15, v84
                                        ; implicit-def: $vgpr82
                                        ; implicit-def: $vgpr83
	s_waitcnt lgkmcnt(0)
	v_cmp_lt_i32_e64 s[20:21], v81, v80
	s_or_b64 s[18:19], s[18:19], s[20:21]
	s_and_b64 s[16:17], s[16:17], s[18:19]
	s_xor_b64 s[18:19], s[16:17], -1
	s_and_saveexec_b64 s[20:21], s[18:19]
	s_xor_b64 s[18:19], exec, s[20:21]
	s_cbranch_execz .LBB34_56
; %bb.55:                               ;   in Loop: Header=BB34_2 Depth=1
	ds_read_b32 v83, v87 offset:4
	v_mov_b32_e32 v82, v81
                                        ; implicit-def: $vgpr86
.LBB34_56:                              ;   in Loop: Header=BB34_2 Depth=1
	s_andn2_saveexec_b64 s[18:19], s[18:19]
	s_cbranch_execz .LBB34_58
; %bb.57:                               ;   in Loop: Header=BB34_2 Depth=1
	ds_read_b32 v82, v86 offset:4
	s_waitcnt lgkmcnt(1)
	v_mov_b32_e32 v83, v80
.LBB34_58:                              ;   in Loop: Header=BB34_2 Depth=1
	s_or_b64 exec, exec, s[18:19]
	v_add_u32_e32 v87, 1, v85
	v_add_u32_e32 v86, 1, v84
	v_cndmask_b32_e64 v85, v87, v85, s[16:17]
	v_cndmask_b32_e64 v84, v84, v86, s[16:17]
	v_cmp_ge_i32_e64 s[20:21], v85, v14
	s_waitcnt lgkmcnt(0)
	v_cmp_lt_i32_e64 s[22:23], v82, v83
	v_cmp_lt_i32_e64 s[18:19], v84, v15
	s_or_b64 s[20:21], s[20:21], s[22:23]
	s_and_b64 s[18:19], s[18:19], s[20:21]
	s_xor_b64 s[20:21], s[18:19], -1
                                        ; implicit-def: $vgpr86
	s_and_saveexec_b64 s[22:23], s[20:21]
	s_xor_b64 s[20:21], exec, s[22:23]
	s_cbranch_execz .LBB34_60
; %bb.59:                               ;   in Loop: Header=BB34_2 Depth=1
	v_lshlrev_b32_e32 v86, 2, v85
	ds_read_b32 v86, v86 offset:4
.LBB34_60:                              ;   in Loop: Header=BB34_2 Depth=1
	s_or_saveexec_b64 s[20:21], s[20:21]
	v_mov_b32_e32 v87, v82
	s_xor_b64 exec, exec, s[20:21]
	s_cbranch_execz .LBB34_62
; %bb.61:                               ;   in Loop: Header=BB34_2 Depth=1
	s_waitcnt lgkmcnt(0)
	v_lshlrev_b32_e32 v86, 2, v84
	ds_read_b32 v87, v86 offset:4
	v_mov_b32_e32 v86, v83
.LBB34_62:                              ;   in Loop: Header=BB34_2 Depth=1
	s_or_b64 exec, exec, s[20:21]
	v_cndmask_b32_e64 v82, v83, v82, s[18:19]
	v_add_u32_e32 v83, 1, v84
	v_add_u32_e32 v88, 1, v85
	v_cndmask_b32_e64 v83, v84, v83, s[18:19]
	v_cndmask_b32_e64 v84, v88, v85, s[18:19]
	v_cmp_ge_i32_e64 s[18:19], v84, v14
	s_waitcnt lgkmcnt(0)
	v_cmp_lt_i32_e64 s[20:21], v87, v86
	v_cndmask_b32_e64 v80, v80, v81, s[16:17]
	v_cmp_lt_i32_e64 s[16:17], v83, v15
	s_or_b64 s[18:19], s[18:19], s[20:21]
	s_and_b64 s[16:17], s[16:17], s[18:19]
	v_cndmask_b32_e64 v81, v86, v87, s[16:17]
	s_barrier
	ds_write2_b32 v68, v80, v82 offset1:1
	ds_write_b32 v68, v81 offset:8
	v_mov_b32_e32 v82, v49
	s_waitcnt lgkmcnt(0)
	s_barrier
	s_and_saveexec_b64 s[18:19], s[8:9]
	s_cbranch_execz .LBB34_66
; %bb.63:                               ;   in Loop: Header=BB34_2 Depth=1
	s_mov_b64 s[20:21], 0
	v_mov_b32_e32 v82, v49
	v_mov_b32_e32 v80, v50
.LBB34_64:                              ;   Parent Loop BB34_2 Depth=1
                                        ; =>  This Inner Loop Header: Depth=2
	v_sub_u32_e32 v81, v80, v82
	v_lshrrev_b32_e32 v83, 31, v81
	v_add_u32_e32 v81, v81, v83
	v_ashrrev_i32_e32 v81, 1, v81
	v_add_u32_e32 v81, v81, v82
	v_xad_u32 v84, v81, -1, v16
	v_lshl_add_u32 v83, v81, 2, v75
	v_lshl_add_u32 v84, v84, 2, v27
	ds_read_b32 v83, v83
	ds_read_b32 v84, v84
	v_add_u32_e32 v85, 1, v81
	s_waitcnt lgkmcnt(0)
	v_cmp_lt_i32_e64 s[16:17], v84, v83
	s_nop 1
	v_cndmask_b32_e64 v80, v80, v81, s[16:17]
	v_cndmask_b32_e64 v82, v85, v82, s[16:17]
	v_cmp_ge_i32_e64 s[16:17], v82, v80
	s_or_b64 s[20:21], s[16:17], s[20:21]
	s_andn2_b64 exec, exec, s[20:21]
	s_cbranch_execnz .LBB34_64
; %bb.65:                               ;   in Loop: Header=BB34_2 Depth=1
	s_or_b64 exec, exec, s[20:21]
.LBB34_66:                              ;   in Loop: Header=BB34_2 Depth=1
	s_or_b64 exec, exec, s[18:19]
	v_sub_u32_e32 v84, v51, v82
	v_lshl_add_u32 v87, v82, 2, v75
	v_lshlrev_b32_e32 v86, 2, v84
	ds_read_b32 v80, v87
	ds_read_b32 v81, v86
	v_add_u32_e32 v85, v82, v48
	v_cmp_le_i32_e64 s[18:19], v17, v85
	v_cmp_gt_i32_e64 s[16:17], v18, v84
                                        ; implicit-def: $vgpr82
                                        ; implicit-def: $vgpr83
	s_waitcnt lgkmcnt(0)
	v_cmp_lt_i32_e64 s[20:21], v81, v80
	s_or_b64 s[18:19], s[18:19], s[20:21]
	s_and_b64 s[16:17], s[16:17], s[18:19]
	s_xor_b64 s[18:19], s[16:17], -1
	s_and_saveexec_b64 s[20:21], s[18:19]
	s_xor_b64 s[18:19], exec, s[20:21]
	s_cbranch_execz .LBB34_68
; %bb.67:                               ;   in Loop: Header=BB34_2 Depth=1
	ds_read_b32 v83, v87 offset:4
	v_mov_b32_e32 v82, v81
                                        ; implicit-def: $vgpr86
.LBB34_68:                              ;   in Loop: Header=BB34_2 Depth=1
	s_andn2_saveexec_b64 s[18:19], s[18:19]
	s_cbranch_execz .LBB34_70
; %bb.69:                               ;   in Loop: Header=BB34_2 Depth=1
	ds_read_b32 v82, v86 offset:4
	s_waitcnt lgkmcnt(1)
	v_mov_b32_e32 v83, v80
.LBB34_70:                              ;   in Loop: Header=BB34_2 Depth=1
	s_or_b64 exec, exec, s[18:19]
	v_add_u32_e32 v87, 1, v85
	v_add_u32_e32 v86, 1, v84
	v_cndmask_b32_e64 v85, v87, v85, s[16:17]
	v_cndmask_b32_e64 v84, v84, v86, s[16:17]
	v_cmp_ge_i32_e64 s[20:21], v85, v17
	s_waitcnt lgkmcnt(0)
	v_cmp_lt_i32_e64 s[22:23], v82, v83
	v_cmp_lt_i32_e64 s[18:19], v84, v18
	s_or_b64 s[20:21], s[20:21], s[22:23]
	s_and_b64 s[18:19], s[18:19], s[20:21]
	s_xor_b64 s[20:21], s[18:19], -1
                                        ; implicit-def: $vgpr86
	s_and_saveexec_b64 s[22:23], s[20:21]
	s_xor_b64 s[20:21], exec, s[22:23]
	s_cbranch_execz .LBB34_72
; %bb.71:                               ;   in Loop: Header=BB34_2 Depth=1
	v_lshlrev_b32_e32 v86, 2, v85
	ds_read_b32 v86, v86 offset:4
.LBB34_72:                              ;   in Loop: Header=BB34_2 Depth=1
	s_or_saveexec_b64 s[20:21], s[20:21]
	v_mov_b32_e32 v87, v82
	s_xor_b64 exec, exec, s[20:21]
	s_cbranch_execz .LBB34_74
; %bb.73:                               ;   in Loop: Header=BB34_2 Depth=1
	s_waitcnt lgkmcnt(0)
	v_lshlrev_b32_e32 v86, 2, v84
	ds_read_b32 v87, v86 offset:4
	v_mov_b32_e32 v86, v83
.LBB34_74:                              ;   in Loop: Header=BB34_2 Depth=1
	s_or_b64 exec, exec, s[20:21]
	v_cndmask_b32_e64 v82, v83, v82, s[18:19]
	v_add_u32_e32 v83, 1, v84
	v_add_u32_e32 v88, 1, v85
	v_cndmask_b32_e64 v83, v84, v83, s[18:19]
	v_cndmask_b32_e64 v84, v88, v85, s[18:19]
	v_cmp_ge_i32_e64 s[18:19], v84, v17
	s_waitcnt lgkmcnt(0)
	v_cmp_lt_i32_e64 s[20:21], v87, v86
	v_cndmask_b32_e64 v80, v80, v81, s[16:17]
	v_cmp_lt_i32_e64 s[16:17], v83, v18
	s_or_b64 s[18:19], s[18:19], s[20:21]
	s_and_b64 s[16:17], s[16:17], s[18:19]
	v_cndmask_b32_e64 v81, v86, v87, s[16:17]
	s_barrier
	ds_write2_b32 v68, v80, v82 offset1:1
	ds_write_b32 v68, v81 offset:8
	v_mov_b32_e32 v82, v53
	s_waitcnt lgkmcnt(0)
	s_barrier
	s_and_saveexec_b64 s[18:19], s[10:11]
	s_cbranch_execz .LBB34_78
; %bb.75:                               ;   in Loop: Header=BB34_2 Depth=1
	s_mov_b64 s[20:21], 0
	v_mov_b32_e32 v82, v53
	v_mov_b32_e32 v80, v54
.LBB34_76:                              ;   Parent Loop BB34_2 Depth=1
                                        ; =>  This Inner Loop Header: Depth=2
	v_sub_u32_e32 v81, v80, v82
	v_lshrrev_b32_e32 v83, 31, v81
	v_add_u32_e32 v81, v81, v83
	v_ashrrev_i32_e32 v81, 1, v81
	v_add_u32_e32 v81, v81, v82
	v_xad_u32 v84, v81, -1, v19
	v_lshl_add_u32 v83, v81, 2, v76
	v_lshl_add_u32 v84, v84, 2, v67
	ds_read_b32 v83, v83
	ds_read_b32 v84, v84
	v_add_u32_e32 v85, 1, v81
	s_waitcnt lgkmcnt(0)
	v_cmp_lt_i32_e64 s[16:17], v84, v83
	s_nop 1
	v_cndmask_b32_e64 v80, v80, v81, s[16:17]
	v_cndmask_b32_e64 v82, v85, v82, s[16:17]
	v_cmp_ge_i32_e64 s[16:17], v82, v80
	s_or_b64 s[20:21], s[16:17], s[20:21]
	s_andn2_b64 exec, exec, s[20:21]
	s_cbranch_execnz .LBB34_76
; %bb.77:                               ;   in Loop: Header=BB34_2 Depth=1
	s_or_b64 exec, exec, s[20:21]
.LBB34_78:                              ;   in Loop: Header=BB34_2 Depth=1
	s_or_b64 exec, exec, s[18:19]
	v_sub_u32_e32 v84, v55, v82
	v_lshl_add_u32 v87, v82, 2, v76
	v_lshlrev_b32_e32 v86, 2, v84
	ds_read_b32 v80, v87
	ds_read_b32 v81, v86
	v_add_u32_e32 v85, v82, v52
	v_cmp_le_i32_e64 s[18:19], v20, v85
	v_cmp_gt_i32_e64 s[16:17], v21, v84
                                        ; implicit-def: $vgpr82
                                        ; implicit-def: $vgpr83
	s_waitcnt lgkmcnt(0)
	v_cmp_lt_i32_e64 s[20:21], v81, v80
	s_or_b64 s[18:19], s[18:19], s[20:21]
	s_and_b64 s[16:17], s[16:17], s[18:19]
	s_xor_b64 s[18:19], s[16:17], -1
	s_and_saveexec_b64 s[20:21], s[18:19]
	s_xor_b64 s[18:19], exec, s[20:21]
	s_cbranch_execz .LBB34_80
; %bb.79:                               ;   in Loop: Header=BB34_2 Depth=1
	ds_read_b32 v83, v87 offset:4
	v_mov_b32_e32 v82, v81
                                        ; implicit-def: $vgpr86
.LBB34_80:                              ;   in Loop: Header=BB34_2 Depth=1
	s_andn2_saveexec_b64 s[18:19], s[18:19]
	s_cbranch_execz .LBB34_82
; %bb.81:                               ;   in Loop: Header=BB34_2 Depth=1
	ds_read_b32 v82, v86 offset:4
	s_waitcnt lgkmcnt(1)
	v_mov_b32_e32 v83, v80
.LBB34_82:                              ;   in Loop: Header=BB34_2 Depth=1
	s_or_b64 exec, exec, s[18:19]
	v_add_u32_e32 v87, 1, v85
	v_add_u32_e32 v86, 1, v84
	v_cndmask_b32_e64 v85, v87, v85, s[16:17]
	v_cndmask_b32_e64 v84, v84, v86, s[16:17]
	v_cmp_ge_i32_e64 s[20:21], v85, v20
	s_waitcnt lgkmcnt(0)
	v_cmp_lt_i32_e64 s[22:23], v82, v83
	v_cmp_lt_i32_e64 s[18:19], v84, v21
	s_or_b64 s[20:21], s[20:21], s[22:23]
	s_and_b64 s[18:19], s[18:19], s[20:21]
	s_xor_b64 s[20:21], s[18:19], -1
                                        ; implicit-def: $vgpr86
	s_and_saveexec_b64 s[22:23], s[20:21]
	s_xor_b64 s[20:21], exec, s[22:23]
	s_cbranch_execz .LBB34_84
; %bb.83:                               ;   in Loop: Header=BB34_2 Depth=1
	v_lshlrev_b32_e32 v86, 2, v85
	ds_read_b32 v86, v86 offset:4
.LBB34_84:                              ;   in Loop: Header=BB34_2 Depth=1
	s_or_saveexec_b64 s[20:21], s[20:21]
	v_mov_b32_e32 v87, v82
	s_xor_b64 exec, exec, s[20:21]
	s_cbranch_execz .LBB34_86
; %bb.85:                               ;   in Loop: Header=BB34_2 Depth=1
	s_waitcnt lgkmcnt(0)
	v_lshlrev_b32_e32 v86, 2, v84
	ds_read_b32 v87, v86 offset:4
	v_mov_b32_e32 v86, v83
.LBB34_86:                              ;   in Loop: Header=BB34_2 Depth=1
	s_or_b64 exec, exec, s[20:21]
	v_cndmask_b32_e64 v82, v83, v82, s[18:19]
	v_add_u32_e32 v83, 1, v84
	v_add_u32_e32 v88, 1, v85
	v_cndmask_b32_e64 v83, v84, v83, s[18:19]
	v_cndmask_b32_e64 v84, v88, v85, s[18:19]
	v_cmp_ge_i32_e64 s[18:19], v84, v20
	s_waitcnt lgkmcnt(0)
	v_cmp_lt_i32_e64 s[20:21], v87, v86
	v_cndmask_b32_e64 v80, v80, v81, s[16:17]
	v_cmp_lt_i32_e64 s[16:17], v83, v21
	s_or_b64 s[18:19], s[18:19], s[20:21]
	s_and_b64 s[16:17], s[16:17], s[18:19]
	v_cndmask_b32_e64 v81, v86, v87, s[16:17]
	s_barrier
	ds_write2_b32 v68, v80, v82 offset1:1
	ds_write_b32 v68, v81 offset:8
	v_mov_b32_e32 v82, v57
	s_waitcnt lgkmcnt(0)
	s_barrier
	s_and_saveexec_b64 s[18:19], s[12:13]
	s_cbranch_execz .LBB34_90
; %bb.87:                               ;   in Loop: Header=BB34_2 Depth=1
	s_mov_b64 s[20:21], 0
	v_mov_b32_e32 v82, v57
	v_mov_b32_e32 v80, v58
.LBB34_88:                              ;   Parent Loop BB34_2 Depth=1
                                        ; =>  This Inner Loop Header: Depth=2
	v_sub_u32_e32 v81, v80, v82
	v_lshrrev_b32_e32 v83, 31, v81
	v_add_u32_e32 v81, v81, v83
	v_ashrrev_i32_e32 v81, 1, v81
	v_add_u32_e32 v81, v81, v82
	v_xad_u32 v84, v81, -1, v22
	v_lshl_add_u32 v83, v81, 2, v77
	v_lshl_add_u32 v84, v84, 2, v28
	ds_read_b32 v83, v83
	ds_read_b32 v84, v84
	v_add_u32_e32 v85, 1, v81
	s_waitcnt lgkmcnt(0)
	v_cmp_lt_i32_e64 s[16:17], v84, v83
	s_nop 1
	v_cndmask_b32_e64 v80, v80, v81, s[16:17]
	v_cndmask_b32_e64 v82, v85, v82, s[16:17]
	v_cmp_ge_i32_e64 s[16:17], v82, v80
	s_or_b64 s[20:21], s[16:17], s[20:21]
	s_andn2_b64 exec, exec, s[20:21]
	s_cbranch_execnz .LBB34_88
; %bb.89:                               ;   in Loop: Header=BB34_2 Depth=1
	s_or_b64 exec, exec, s[20:21]
.LBB34_90:                              ;   in Loop: Header=BB34_2 Depth=1
	s_or_b64 exec, exec, s[18:19]
	v_sub_u32_e32 v84, v59, v82
	v_lshl_add_u32 v87, v82, 2, v77
	v_lshlrev_b32_e32 v86, 2, v84
	ds_read_b32 v80, v87
	ds_read_b32 v81, v86
	v_add_u32_e32 v85, v82, v56
	v_cmp_le_i32_e64 s[18:19], v23, v85
	v_cmp_gt_i32_e64 s[16:17], v24, v84
                                        ; implicit-def: $vgpr82
                                        ; implicit-def: $vgpr83
	s_waitcnt lgkmcnt(0)
	v_cmp_lt_i32_e64 s[20:21], v81, v80
	s_or_b64 s[18:19], s[18:19], s[20:21]
	s_and_b64 s[16:17], s[16:17], s[18:19]
	s_xor_b64 s[18:19], s[16:17], -1
	s_and_saveexec_b64 s[20:21], s[18:19]
	s_xor_b64 s[18:19], exec, s[20:21]
	s_cbranch_execz .LBB34_92
; %bb.91:                               ;   in Loop: Header=BB34_2 Depth=1
	ds_read_b32 v83, v87 offset:4
	v_mov_b32_e32 v82, v81
                                        ; implicit-def: $vgpr86
.LBB34_92:                              ;   in Loop: Header=BB34_2 Depth=1
	s_andn2_saveexec_b64 s[18:19], s[18:19]
	s_cbranch_execz .LBB34_94
; %bb.93:                               ;   in Loop: Header=BB34_2 Depth=1
	ds_read_b32 v82, v86 offset:4
	s_waitcnt lgkmcnt(1)
	v_mov_b32_e32 v83, v80
.LBB34_94:                              ;   in Loop: Header=BB34_2 Depth=1
	s_or_b64 exec, exec, s[18:19]
	v_add_u32_e32 v87, 1, v85
	v_add_u32_e32 v86, 1, v84
	v_cndmask_b32_e64 v85, v87, v85, s[16:17]
	v_cndmask_b32_e64 v84, v84, v86, s[16:17]
	v_cmp_ge_i32_e64 s[20:21], v85, v23
	s_waitcnt lgkmcnt(0)
	v_cmp_lt_i32_e64 s[22:23], v82, v83
	v_cmp_lt_i32_e64 s[18:19], v84, v24
	s_or_b64 s[20:21], s[20:21], s[22:23]
	s_and_b64 s[18:19], s[18:19], s[20:21]
	s_xor_b64 s[20:21], s[18:19], -1
                                        ; implicit-def: $vgpr86
	s_and_saveexec_b64 s[22:23], s[20:21]
	s_xor_b64 s[20:21], exec, s[22:23]
	s_cbranch_execz .LBB34_96
; %bb.95:                               ;   in Loop: Header=BB34_2 Depth=1
	v_lshlrev_b32_e32 v86, 2, v85
	ds_read_b32 v86, v86 offset:4
.LBB34_96:                              ;   in Loop: Header=BB34_2 Depth=1
	s_or_saveexec_b64 s[20:21], s[20:21]
	v_mov_b32_e32 v87, v82
	s_xor_b64 exec, exec, s[20:21]
	s_cbranch_execz .LBB34_98
; %bb.97:                               ;   in Loop: Header=BB34_2 Depth=1
	s_waitcnt lgkmcnt(0)
	v_lshlrev_b32_e32 v86, 2, v84
	ds_read_b32 v87, v86 offset:4
	v_mov_b32_e32 v86, v83
.LBB34_98:                              ;   in Loop: Header=BB34_2 Depth=1
	s_or_b64 exec, exec, s[20:21]
	v_cndmask_b32_e64 v82, v83, v82, s[18:19]
	v_add_u32_e32 v83, 1, v84
	v_add_u32_e32 v88, 1, v85
	v_cndmask_b32_e64 v83, v84, v83, s[18:19]
	v_cndmask_b32_e64 v84, v88, v85, s[18:19]
	v_cmp_ge_i32_e64 s[18:19], v84, v23
	s_waitcnt lgkmcnt(0)
	v_cmp_lt_i32_e64 s[20:21], v87, v86
	v_cndmask_b32_e64 v80, v80, v81, s[16:17]
	v_cmp_lt_i32_e64 s[16:17], v83, v24
	s_or_b64 s[18:19], s[18:19], s[20:21]
	s_and_b64 s[16:17], s[16:17], s[18:19]
	v_cndmask_b32_e64 v81, v86, v87, s[16:17]
	s_barrier
	ds_write2_b32 v68, v80, v82 offset1:1
	ds_write_b32 v68, v81 offset:8
	v_mov_b32_e32 v82, v62
	s_waitcnt lgkmcnt(0)
	s_barrier
	s_and_saveexec_b64 s[18:19], s[14:15]
	s_cbranch_execz .LBB34_102
; %bb.99:                               ;   in Loop: Header=BB34_2 Depth=1
	s_mov_b64 s[20:21], 0
	v_mov_b32_e32 v82, v62
	v_mov_b32_e32 v80, v63
.LBB34_100:                             ;   Parent Loop BB34_2 Depth=1
                                        ; =>  This Inner Loop Header: Depth=2
	v_sub_u32_e32 v81, v80, v82
	v_lshrrev_b32_e32 v83, 31, v81
	v_add_u32_e32 v81, v81, v83
	v_ashrrev_i32_e32 v81, 1, v81
	v_add_u32_e32 v81, v81, v82
	v_xad_u32 v84, v81, -1, v60
	v_lshlrev_b32_e32 v83, 2, v81
	v_lshl_add_u32 v84, v84, 2, v79
	ds_read_b32 v83, v83
	ds_read_b32 v84, v84
	v_add_u32_e32 v85, 1, v81
	s_waitcnt lgkmcnt(0)
	v_cmp_lt_i32_e64 s[16:17], v84, v83
	s_nop 1
	v_cndmask_b32_e64 v80, v80, v81, s[16:17]
	v_cndmask_b32_e64 v82, v85, v82, s[16:17]
	v_cmp_ge_i32_e64 s[16:17], v82, v80
	s_or_b64 s[20:21], s[16:17], s[20:21]
	s_andn2_b64 exec, exec, s[20:21]
	s_cbranch_execnz .LBB34_100
; %bb.101:                              ;   in Loop: Header=BB34_2 Depth=1
	s_or_b64 exec, exec, s[20:21]
.LBB34_102:                             ;   in Loop: Header=BB34_2 Depth=1
	s_or_b64 exec, exec, s[18:19]
	v_sub_u32_e32 v85, v78, v82
	v_lshlrev_b32_e32 v87, 2, v82
	v_lshlrev_b32_e32 v86, 2, v85
	ds_read_b32 v80, v87
	ds_read_b32 v81, v86
	v_cmp_le_i32_e64 s[18:19], v61, v82
	v_cmp_gt_i32_e64 s[16:17], s24, v85
                                        ; implicit-def: $vgpr83
                                        ; implicit-def: $vgpr84
	s_waitcnt lgkmcnt(0)
	v_cmp_lt_i32_e64 s[20:21], v81, v80
	s_or_b64 s[18:19], s[18:19], s[20:21]
	s_and_b64 s[16:17], s[16:17], s[18:19]
	s_xor_b64 s[18:19], s[16:17], -1
	s_and_saveexec_b64 s[20:21], s[18:19]
	s_xor_b64 s[18:19], exec, s[20:21]
	s_cbranch_execz .LBB34_104
; %bb.103:                              ;   in Loop: Header=BB34_2 Depth=1
	ds_read_b32 v84, v87 offset:4
	v_mov_b32_e32 v83, v81
                                        ; implicit-def: $vgpr86
.LBB34_104:                             ;   in Loop: Header=BB34_2 Depth=1
	s_andn2_saveexec_b64 s[18:19], s[18:19]
	s_cbranch_execz .LBB34_106
; %bb.105:                              ;   in Loop: Header=BB34_2 Depth=1
	ds_read_b32 v83, v86 offset:4
	s_waitcnt lgkmcnt(1)
	v_mov_b32_e32 v84, v80
.LBB34_106:                             ;   in Loop: Header=BB34_2 Depth=1
	s_or_b64 exec, exec, s[18:19]
	v_add_u32_e32 v86, 1, v85
	v_add_u32_e32 v87, 1, v82
	v_cndmask_b32_e64 v85, v85, v86, s[16:17]
	v_cndmask_b32_e64 v86, v87, v82, s[16:17]
	v_cmp_ge_i32_e64 s[20:21], v86, v61
	s_waitcnt lgkmcnt(0)
	v_cmp_lt_i32_e64 s[22:23], v83, v84
	v_cmp_gt_i32_e64 s[18:19], s24, v85
	s_or_b64 s[20:21], s[20:21], s[22:23]
	s_and_b64 s[18:19], s[18:19], s[20:21]
	s_xor_b64 s[20:21], s[18:19], -1
                                        ; implicit-def: $vgpr82
                                        ; implicit-def: $vgpr87
	s_and_saveexec_b64 s[22:23], s[20:21]
	s_xor_b64 s[20:21], exec, s[22:23]
	s_cbranch_execz .LBB34_108
; %bb.107:                              ;   in Loop: Header=BB34_2 Depth=1
	v_lshlrev_b32_e32 v82, 2, v86
	ds_read_b32 v82, v82 offset:4
	v_add_u32_e32 v87, 1, v86
                                        ; implicit-def: $vgpr86
.LBB34_108:                             ;   in Loop: Header=BB34_2 Depth=1
	s_or_saveexec_b64 s[20:21], s[20:21]
	v_mov_b32_e32 v88, v83
	s_xor_b64 exec, exec, s[20:21]
	s_cbranch_execz .LBB34_1
; %bb.109:                              ;   in Loop: Header=BB34_2 Depth=1
	s_waitcnt lgkmcnt(0)
	v_lshlrev_b32_e32 v82, 2, v85
	ds_read_b32 v88, v82 offset:4
	v_add_u32_e32 v85, 1, v85
	v_mov_b32_e32 v87, v86
	v_mov_b32_e32 v82, v84
	s_branch .LBB34_1
.LBB34_110:
	s_add_u32 s0, s26, s30
	s_addc_u32 s1, s27, s31
	v_lshlrev_b32_e32 v0, 2, v0
	v_mov_b32_e32 v1, 0
	v_lshl_add_u64 v[2:3], s[0:1], 0, v[0:1]
	global_store_dword v0, v81, s[0:1]
	global_store_dword v0, v80, s[0:1] offset:2048
	v_add_co_u32_e32 v0, vcc, 0x1000, v2
	s_nop 1
	v_addc_co_u32_e32 v1, vcc, 0, v3, vcc
	global_store_dword v[0:1], v82, off
	s_endpgm
	.section	.rodata,"a",@progbits
	.p2align	6, 0x0
	.amdhsa_kernel _Z16sort_keys_kernelIiLj512ELj3EN10test_utils4lessELj10EEvPKT_PS2_T2_
		.amdhsa_group_segment_fixed_size 6148
		.amdhsa_private_segment_fixed_size 0
		.amdhsa_kernarg_size 20
		.amdhsa_user_sgpr_count 2
		.amdhsa_user_sgpr_dispatch_ptr 0
		.amdhsa_user_sgpr_queue_ptr 0
		.amdhsa_user_sgpr_kernarg_segment_ptr 1
		.amdhsa_user_sgpr_dispatch_id 0
		.amdhsa_user_sgpr_kernarg_preload_length 0
		.amdhsa_user_sgpr_kernarg_preload_offset 0
		.amdhsa_user_sgpr_private_segment_size 0
		.amdhsa_uses_dynamic_stack 0
		.amdhsa_enable_private_segment 0
		.amdhsa_system_sgpr_workgroup_id_x 1
		.amdhsa_system_sgpr_workgroup_id_y 0
		.amdhsa_system_sgpr_workgroup_id_z 0
		.amdhsa_system_sgpr_workgroup_info 0
		.amdhsa_system_vgpr_workitem_id 0
		.amdhsa_next_free_vgpr 89
		.amdhsa_next_free_sgpr 32
		.amdhsa_accum_offset 92
		.amdhsa_reserve_vcc 1
		.amdhsa_float_round_mode_32 0
		.amdhsa_float_round_mode_16_64 0
		.amdhsa_float_denorm_mode_32 3
		.amdhsa_float_denorm_mode_16_64 3
		.amdhsa_dx10_clamp 1
		.amdhsa_ieee_mode 1
		.amdhsa_fp16_overflow 0
		.amdhsa_tg_split 0
		.amdhsa_exception_fp_ieee_invalid_op 0
		.amdhsa_exception_fp_denorm_src 0
		.amdhsa_exception_fp_ieee_div_zero 0
		.amdhsa_exception_fp_ieee_overflow 0
		.amdhsa_exception_fp_ieee_underflow 0
		.amdhsa_exception_fp_ieee_inexact 0
		.amdhsa_exception_int_div_zero 0
	.end_amdhsa_kernel
	.section	.text._Z16sort_keys_kernelIiLj512ELj3EN10test_utils4lessELj10EEvPKT_PS2_T2_,"axG",@progbits,_Z16sort_keys_kernelIiLj512ELj3EN10test_utils4lessELj10EEvPKT_PS2_T2_,comdat
.Lfunc_end34:
	.size	_Z16sort_keys_kernelIiLj512ELj3EN10test_utils4lessELj10EEvPKT_PS2_T2_, .Lfunc_end34-_Z16sort_keys_kernelIiLj512ELj3EN10test_utils4lessELj10EEvPKT_PS2_T2_
                                        ; -- End function
	.section	.AMDGPU.csdata,"",@progbits
; Kernel info:
; codeLenInByte = 5920
; NumSgprs: 38
; NumVgprs: 89
; NumAgprs: 0
; TotalNumVgprs: 89
; ScratchSize: 0
; MemoryBound: 0
; FloatMode: 240
; IeeeMode: 1
; LDSByteSize: 6148 bytes/workgroup (compile time only)
; SGPRBlocks: 4
; VGPRBlocks: 11
; NumSGPRsForWavesPerEU: 38
; NumVGPRsForWavesPerEU: 89
; AccumOffset: 92
; Occupancy: 5
; WaveLimiterHint : 1
; COMPUTE_PGM_RSRC2:SCRATCH_EN: 0
; COMPUTE_PGM_RSRC2:USER_SGPR: 2
; COMPUTE_PGM_RSRC2:TRAP_HANDLER: 0
; COMPUTE_PGM_RSRC2:TGID_X_EN: 1
; COMPUTE_PGM_RSRC2:TGID_Y_EN: 0
; COMPUTE_PGM_RSRC2:TGID_Z_EN: 0
; COMPUTE_PGM_RSRC2:TIDIG_COMP_CNT: 0
; COMPUTE_PGM_RSRC3_GFX90A:ACCUM_OFFSET: 22
; COMPUTE_PGM_RSRC3_GFX90A:TG_SPLIT: 0
	.section	.text._Z17sort_pairs_kernelIiLj512ELj3EN10test_utils4lessELj10EEvPKT_PS2_T2_,"axG",@progbits,_Z17sort_pairs_kernelIiLj512ELj3EN10test_utils4lessELj10EEvPKT_PS2_T2_,comdat
	.protected	_Z17sort_pairs_kernelIiLj512ELj3EN10test_utils4lessELj10EEvPKT_PS2_T2_ ; -- Begin function _Z17sort_pairs_kernelIiLj512ELj3EN10test_utils4lessELj10EEvPKT_PS2_T2_
	.globl	_Z17sort_pairs_kernelIiLj512ELj3EN10test_utils4lessELj10EEvPKT_PS2_T2_
	.p2align	8
	.type	_Z17sort_pairs_kernelIiLj512ELj3EN10test_utils4lessELj10EEvPKT_PS2_T2_,@function
_Z17sort_pairs_kernelIiLj512ELj3EN10test_utils4lessELj10EEvPKT_PS2_T2_: ; @_Z17sort_pairs_kernelIiLj512ELj3EN10test_utils4lessELj10EEvPKT_PS2_T2_
; %bb.0:
	s_load_dwordx4 s[28:31], s[0:1], 0x0
	s_mul_i32 s36, s2, 0x600
	s_mov_b32 s37, 0
	s_lshl_b64 s[34:35], s[36:37], 2
	v_mov_b32_e32 v3, 0
	s_waitcnt lgkmcnt(0)
	s_add_u32 s0, s28, s34
	s_addc_u32 s1, s29, s35
	v_lshlrev_b32_e32 v2, 2, v0
	v_lshl_add_u64 v[4:5], s[0:1], 0, v[2:3]
	s_movk_i32 s2, 0x1000
	v_add_co_u32_e32 v4, vcc, s2, v4
	v_and_b32_e32 v10, 0x1f0, v0
	s_nop 0
	v_addc_co_u32_e32 v5, vcc, 0, v5, vcc
	global_load_dword v82, v2, s[0:1] offset:2048
	global_load_dword v81, v2, s[0:1]
	global_load_dword v80, v[4:5], off
	v_mul_u32_u24_e32 v40, 3, v10
	v_and_b32_e32 v13, 0x1e0, v0
	v_and_b32_e32 v1, 0x1fe, v0
	;; [unrolled: 1-line block ×4, first 2 shown]
	v_min_u32_e32 v25, 0x5e8, v40
	v_mul_u32_u24_e32 v44, 3, v13
	v_and_b32_e32 v16, 0x1c0, v0
	v_and_b32_e32 v19, 0x180, v0
	;; [unrolled: 1-line block ×3, first 2 shown]
	v_mov_b32_e32 v30, 0x60
	v_mul_u32_u24_e32 v29, 3, v1
	v_mul_u32_u24_e32 v32, 3, v4
	;; [unrolled: 1-line block ×3, first 2 shown]
	v_add_u32_e32 v11, 24, v25
	v_min_u32_e32 v26, 0x5d0, v44
	v_mul_u32_u24_e32 v48, 3, v16
	v_mul_u32_u24_e32 v52, 3, v19
	;; [unrolled: 1-line block ×3, first 2 shown]
	v_lshl_add_u32 v25, v25, 2, v30
	v_mov_b32_e32 v30, 0xc0
	v_and_b32_e32 v1, 1, v0
	v_min_u32_e32 v64, 0x5fd, v29
	v_min_u32_e32 v3, 0x5fa, v29
	;; [unrolled: 1-line block ×7, first 2 shown]
	v_add_u32_e32 v14, 48, v26
	v_min_u32_e32 v15, 0x5a0, v44
	v_min_u32_e32 v27, 0x5a0, v48
	;; [unrolled: 1-line block ×7, first 2 shown]
	v_lshl_add_u32 v26, v26, 2, v30
	v_mov_b32_e32 v30, 0x180
	v_cmp_eq_u32_e32 vcc, 1, v1
	v_add_u32_e32 v2, 3, v64
	v_add_u32_e32 v3, 6, v3
	v_and_b32_e32 v35, 3, v0
	v_add_u32_e32 v5, 6, v65
	v_add_u32_e32 v6, 12, v6
	v_and_b32_e32 v39, 7, v0
	;; [unrolled: 3-line block ×3, first 2 shown]
	v_add_u32_e32 v12, 48, v12
	v_and_b32_e32 v47, 31, v0
	v_add_u32_e32 v15, 0x60, v15
	v_and_b32_e32 v51, 63, v0
	v_add_u32_e32 v17, 0x60, v27
	v_add_u32_e32 v18, 0xc0, v18
	v_and_b32_e32 v55, 0x7f, v0
	v_add_u32_e32 v20, 0xc0, v67
	;; [unrolled: 3-line block ×3, first 2 shown]
	v_add_u32_e32 v24, 0x300, v24
	v_lshl_add_u32 v27, v27, 2, v30
	v_mov_b32_e32 v30, 0x600
	v_cndmask_b32_e64 v1, 0, 3, vcc
	v_mul_u32_u24_e32 v4, 3, v35
	v_sub_u32_e32 v33, v6, v5
	v_mul_u32_u24_e32 v7, 3, v39
	v_sub_u32_e32 v37, v9, v8
	;; [unrolled: 2-line block ×7, first 2 shown]
	v_lshl_add_u32 v28, v28, 2, v30
	v_sub_u32_e32 v30, v3, v2
	v_sub_u32_e32 v34, v4, v33
	;; [unrolled: 1-line block ×9, first 2 shown]
	v_min_u32_e32 v29, 0x600, v29
	v_cmp_ge_i32_e32 vcc, v1, v30
	v_min_u32_e32 v32, 0x600, v32
	v_cmp_ge_i32_e64 s[0:1], v4, v33
	v_min_u32_e32 v36, 0x600, v36
	v_cmp_ge_i32_e64 s[2:3], v7, v37
	;; [unrolled: 2-line block ×7, first 2 shown]
	v_cndmask_b32_e32 v30, 0, v31, vcc
	v_sub_u32_e32 v31, v2, v29
	v_cndmask_b32_e64 v33, 0, v34, s[0:1]
	v_sub_u32_e32 v34, v5, v32
	v_cndmask_b32_e64 v37, 0, v38, s[2:3]
	;; [unrolled: 2-line block ×7, first 2 shown]
	v_sub_u32_e32 v58, v23, v56
	v_mul_u32_u24_e32 v60, 3, v0
	v_mov_b32_e32 v61, 0x300
	v_min_i32_e32 v31, v1, v31
	v_min_i32_e32 v34, v4, v34
	;; [unrolled: 1-line block ×8, first 2 shown]
	v_sub_u32_e64 v62, v60, v61 clamp
	v_min_i32_e32 v63, 0x300, v60
	s_movk_i32 s33, 0x600
	v_cmp_lt_i32_e32 vcc, v30, v31
	v_cmp_lt_i32_e64 s[0:1], v33, v34
	v_mad_u32_u24 v35, v35, 3, v5
	v_cmp_lt_i32_e64 s[2:3], v37, v38
	v_mad_u32_u24 v39, v39, 3, v8
	;; [unrolled: 2-line block ×7, first 2 shown]
	v_cmp_lt_i32_e64 s[14:15], v62, v63
	v_lshl_add_u32 v64, v64, 2, 12
	v_lshl_add_u32 v65, v65, 2, 24
	;; [unrolled: 1-line block ×4, first 2 shown]
	s_waitcnt vmcnt(1)
	v_add_u32_e32 v83, 1, v81
	v_add_u32_e32 v85, 1, v82
	s_waitcnt vmcnt(0)
	v_add_u32_e32 v84, 1, v80
	v_lshlrev_b32_e32 v68, 2, v60
	v_lshlrev_b32_e32 v69, 2, v29
	v_add_u32_e32 v70, v2, v1
	v_lshlrev_b32_e32 v71, 2, v32
	v_lshlrev_b32_e32 v72, 2, v36
	v_lshlrev_b32_e32 v73, 2, v40
	v_lshlrev_b32_e32 v74, 2, v44
	v_lshlrev_b32_e32 v75, 2, v48
	v_lshlrev_b32_e32 v76, 2, v52
	v_lshlrev_b32_e32 v77, 2, v56
	v_mad_u32_u24 v78, v0, 3, v61
	v_mov_b32_e32 v79, 0xc00
	s_branch .LBB35_2
.LBB35_1:                               ;   in Loop: Header=BB35_2 Depth=1
	s_or_b64 exec, exec, s[20:21]
	v_cmp_ge_i32_e64 s[22:23], v91, v61
	s_waitcnt lgkmcnt(0)
	v_cmp_lt_i32_e64 s[24:25], v94, v92
	v_cmp_gt_i32_e64 s[20:21], s33, v85
	s_or_b64 s[22:23], s[22:23], s[24:25]
	s_and_b64 s[20:21], s[20:21], s[22:23]
	v_cndmask_b32_e64 v84, v80, v84, s[16:17]
	v_cndmask_b32_e64 v85, v91, v85, s[20:21]
	s_barrier
	ds_write2_b32 v68, v81, v82 offset1:1
	ds_write_b32 v68, v83 offset:8
	v_lshlrev_b32_e32 v81, 2, v84
	v_lshlrev_b32_e32 v84, 2, v85
	s_waitcnt lgkmcnt(0)
	s_barrier
	v_lshlrev_b32_e32 v82, 2, v93
	ds_read_b32 v83, v81
	ds_read_b32 v85, v82
	;; [unrolled: 1-line block ×3, first 2 shown]
	s_add_i32 s37, s37, 1
	v_cndmask_b32_e64 v80, v92, v94, s[20:21]
	v_cndmask_b32_e64 v81, v86, v87, s[16:17]
	s_cmp_eq_u32 s37, 10
	v_cndmask_b32_e64 v82, v89, v88, s[18:19]
	s_cbranch_scc1 .LBB35_110
.LBB35_2:                               ; =>This Loop Header: Depth=1
                                        ;     Child Loop BB35_4 Depth 2
                                        ;     Child Loop BB35_16 Depth 2
	;; [unrolled: 1-line block ×9, first 2 shown]
	v_cmp_lt_i32_e64 s[16:17], v82, v81
	s_barrier
	s_nop 0
	v_cndmask_b32_e64 v86, v81, v82, s[16:17]
	v_cndmask_b32_e64 v87, v82, v81, s[16:17]
	v_max_i32_e32 v81, v82, v81
	v_cmp_lt_i32_e64 s[18:19], v80, v81
	s_nop 1
	v_cndmask_b32_e64 v82, v80, v81, s[18:19]
	v_cndmask_b32_e64 v87, v87, v80, s[18:19]
	v_min_i32_e32 v80, v80, v81
	v_cmp_lt_i32_e64 s[20:21], v80, v86
	s_nop 1
	v_cndmask_b32_e64 v81, v87, v86, s[20:21]
	v_cndmask_b32_e64 v80, v86, v80, s[20:21]
	ds_write2_b32 v68, v80, v81 offset1:1
	ds_write_b32 v68, v82 offset:8
	v_mov_b32_e32 v82, v30
	s_waitcnt lgkmcnt(0)
	s_barrier
	s_and_saveexec_b64 s[24:25], vcc
	s_cbranch_execz .LBB35_6
; %bb.3:                                ;   in Loop: Header=BB35_2 Depth=1
	s_mov_b64 s[26:27], 0
	v_mov_b32_e32 v82, v30
	v_mov_b32_e32 v80, v31
.LBB35_4:                               ;   Parent Loop BB35_2 Depth=1
                                        ; =>  This Inner Loop Header: Depth=2
	v_sub_u32_e32 v81, v80, v82
	v_lshrrev_b32_e32 v86, 31, v81
	v_add_u32_e32 v81, v81, v86
	v_ashrrev_i32_e32 v81, 1, v81
	v_add_u32_e32 v81, v81, v82
	v_xad_u32 v87, v81, -1, v1
	v_lshl_add_u32 v86, v81, 2, v69
	v_lshl_add_u32 v87, v87, 2, v64
	ds_read_b32 v86, v86
	ds_read_b32 v87, v87
	v_add_u32_e32 v88, 1, v81
	s_waitcnt lgkmcnt(0)
	v_cmp_lt_i32_e64 s[22:23], v87, v86
	s_nop 1
	v_cndmask_b32_e64 v80, v80, v81, s[22:23]
	v_cndmask_b32_e64 v82, v88, v82, s[22:23]
	v_cmp_ge_i32_e64 s[22:23], v82, v80
	s_or_b64 s[26:27], s[22:23], s[26:27]
	s_andn2_b64 exec, exec, s[26:27]
	s_cbranch_execnz .LBB35_4
; %bb.5:                                ;   in Loop: Header=BB35_2 Depth=1
	s_or_b64 exec, exec, s[26:27]
.LBB35_6:                               ;   in Loop: Header=BB35_2 Depth=1
	s_or_b64 exec, exec, s[24:25]
	v_sub_u32_e32 v80, v70, v82
	v_lshl_add_u32 v90, v82, 2, v69
	v_lshlrev_b32_e32 v89, 2, v80
	ds_read_b32 v81, v90
	ds_read_b32 v86, v89
	v_add_u32_e32 v82, v82, v29
	v_cmp_le_i32_e64 s[24:25], v2, v82
	v_cmp_gt_i32_e64 s[22:23], v3, v80
                                        ; implicit-def: $vgpr87
                                        ; implicit-def: $vgpr88
	s_waitcnt lgkmcnt(0)
	v_cmp_lt_i32_e64 s[26:27], v86, v81
	s_or_b64 s[24:25], s[24:25], s[26:27]
	s_and_b64 s[22:23], s[22:23], s[24:25]
	s_xor_b64 s[24:25], s[22:23], -1
	s_and_saveexec_b64 s[26:27], s[24:25]
	s_xor_b64 s[24:25], exec, s[26:27]
	s_cbranch_execz .LBB35_8
; %bb.7:                                ;   in Loop: Header=BB35_2 Depth=1
	ds_read_b32 v88, v90 offset:4
	v_mov_b32_e32 v87, v86
                                        ; implicit-def: $vgpr89
.LBB35_8:                               ;   in Loop: Header=BB35_2 Depth=1
	s_andn2_saveexec_b64 s[24:25], s[24:25]
	s_cbranch_execz .LBB35_10
; %bb.9:                                ;   in Loop: Header=BB35_2 Depth=1
	ds_read_b32 v87, v89 offset:4
	s_waitcnt lgkmcnt(1)
	v_mov_b32_e32 v88, v81
.LBB35_10:                              ;   in Loop: Header=BB35_2 Depth=1
	s_or_b64 exec, exec, s[24:25]
	v_add_u32_e32 v90, 1, v82
	v_add_u32_e32 v89, 1, v80
	v_cndmask_b32_e64 v91, v90, v82, s[22:23]
	v_cndmask_b32_e64 v89, v80, v89, s[22:23]
	v_cmp_ge_i32_e64 s[26:27], v91, v2
	s_waitcnt lgkmcnt(0)
	v_cmp_lt_i32_e64 s[28:29], v87, v88
	v_cmp_lt_i32_e64 s[24:25], v89, v3
	s_or_b64 s[26:27], s[26:27], s[28:29]
	s_and_b64 s[24:25], s[24:25], s[26:27]
	s_xor_b64 s[26:27], s[24:25], -1
                                        ; implicit-def: $vgpr90
	s_and_saveexec_b64 s[28:29], s[26:27]
	s_xor_b64 s[26:27], exec, s[28:29]
	s_cbranch_execz .LBB35_12
; %bb.11:                               ;   in Loop: Header=BB35_2 Depth=1
	v_lshlrev_b32_e32 v90, 2, v91
	ds_read_b32 v90, v90 offset:4
.LBB35_12:                              ;   in Loop: Header=BB35_2 Depth=1
	s_or_saveexec_b64 s[26:27], s[26:27]
	v_mov_b32_e32 v92, v87
	s_xor_b64 exec, exec, s[26:27]
	s_cbranch_execz .LBB35_14
; %bb.13:                               ;   in Loop: Header=BB35_2 Depth=1
	s_waitcnt lgkmcnt(0)
	v_lshlrev_b32_e32 v90, 2, v89
	ds_read_b32 v92, v90 offset:4
	v_mov_b32_e32 v90, v88
.LBB35_14:                              ;   in Loop: Header=BB35_2 Depth=1
	s_or_b64 exec, exec, s[26:27]
	v_add_u32_e32 v93, 1, v91
	v_cndmask_b32_e64 v80, v82, v80, s[22:23]
	v_cndmask_b32_e64 v82, v85, v83, s[16:17]
	v_cndmask_b32_e64 v87, v88, v87, s[24:25]
	v_add_u32_e32 v88, 1, v89
	v_cndmask_b32_e64 v93, v93, v91, s[24:25]
	v_cndmask_b32_e64 v86, v81, v86, s[22:23]
	;; [unrolled: 1-line block ×8, first 2 shown]
	v_cmp_ge_i32_e64 s[18:19], v93, v2
	s_waitcnt lgkmcnt(0)
	v_cmp_lt_i32_e64 s[20:21], v92, v90
	v_cmp_lt_i32_e64 s[16:17], v88, v3
	s_or_b64 s[18:19], s[18:19], s[20:21]
	s_and_b64 s[16:17], s[16:17], s[18:19]
	v_cndmask_b32_e64 v89, v91, v89, s[24:25]
	v_cndmask_b32_e64 v82, v93, v88, s[16:17]
	s_barrier
	ds_write2_b32 v68, v81, v84 offset1:1
	ds_write_b32 v68, v83 offset:8
	v_lshlrev_b32_e32 v80, 2, v80
	v_lshlrev_b32_e32 v81, 2, v89
	;; [unrolled: 1-line block ×3, first 2 shown]
	s_waitcnt lgkmcnt(0)
	s_barrier
	ds_read_b32 v80, v80
	ds_read_b32 v81, v81
	;; [unrolled: 1-line block ×3, first 2 shown]
	v_cndmask_b32_e64 v85, v90, v92, s[16:17]
	s_waitcnt lgkmcnt(0)
	s_barrier
	ds_write2_b32 v68, v86, v87 offset1:1
	ds_write_b32 v68, v85 offset:8
	v_mov_b32_e32 v85, v33
	s_waitcnt lgkmcnt(0)
	s_barrier
	s_and_saveexec_b64 s[18:19], s[0:1]
	s_cbranch_execz .LBB35_18
; %bb.15:                               ;   in Loop: Header=BB35_2 Depth=1
	s_mov_b64 s[20:21], 0
	v_mov_b32_e32 v85, v33
	v_mov_b32_e32 v83, v34
.LBB35_16:                              ;   Parent Loop BB35_2 Depth=1
                                        ; =>  This Inner Loop Header: Depth=2
	v_sub_u32_e32 v84, v83, v85
	v_lshrrev_b32_e32 v86, 31, v84
	v_add_u32_e32 v84, v84, v86
	v_ashrrev_i32_e32 v84, 1, v84
	v_add_u32_e32 v84, v84, v85
	v_xad_u32 v87, v84, -1, v4
	v_lshl_add_u32 v86, v84, 2, v71
	v_lshl_add_u32 v87, v87, 2, v65
	ds_read_b32 v86, v86
	ds_read_b32 v87, v87
	v_add_u32_e32 v88, 1, v84
	s_waitcnt lgkmcnt(0)
	v_cmp_lt_i32_e64 s[16:17], v87, v86
	s_nop 1
	v_cndmask_b32_e64 v83, v83, v84, s[16:17]
	v_cndmask_b32_e64 v85, v88, v85, s[16:17]
	v_cmp_ge_i32_e64 s[16:17], v85, v83
	s_or_b64 s[20:21], s[16:17], s[20:21]
	s_andn2_b64 exec, exec, s[20:21]
	s_cbranch_execnz .LBB35_16
; %bb.17:                               ;   in Loop: Header=BB35_2 Depth=1
	s_or_b64 exec, exec, s[20:21]
.LBB35_18:                              ;   in Loop: Header=BB35_2 Depth=1
	s_or_b64 exec, exec, s[18:19]
	v_sub_u32_e32 v83, v35, v85
	v_lshl_add_u32 v90, v85, 2, v71
	v_lshlrev_b32_e32 v89, 2, v83
	ds_read_b32 v84, v90
	ds_read_b32 v86, v89
	v_add_u32_e32 v85, v85, v32
	v_cmp_le_i32_e64 s[18:19], v5, v85
	v_cmp_gt_i32_e64 s[16:17], v6, v83
                                        ; implicit-def: $vgpr87
                                        ; implicit-def: $vgpr88
	s_waitcnt lgkmcnt(0)
	v_cmp_lt_i32_e64 s[20:21], v86, v84
	s_or_b64 s[18:19], s[18:19], s[20:21]
	s_and_b64 s[16:17], s[16:17], s[18:19]
	s_xor_b64 s[18:19], s[16:17], -1
	s_and_saveexec_b64 s[20:21], s[18:19]
	s_xor_b64 s[18:19], exec, s[20:21]
	s_cbranch_execz .LBB35_20
; %bb.19:                               ;   in Loop: Header=BB35_2 Depth=1
	ds_read_b32 v88, v90 offset:4
	v_mov_b32_e32 v87, v86
                                        ; implicit-def: $vgpr89
.LBB35_20:                              ;   in Loop: Header=BB35_2 Depth=1
	s_andn2_saveexec_b64 s[18:19], s[18:19]
	s_cbranch_execz .LBB35_22
; %bb.21:                               ;   in Loop: Header=BB35_2 Depth=1
	ds_read_b32 v87, v89 offset:4
	s_waitcnt lgkmcnt(1)
	v_mov_b32_e32 v88, v84
.LBB35_22:                              ;   in Loop: Header=BB35_2 Depth=1
	s_or_b64 exec, exec, s[18:19]
	v_add_u32_e32 v90, 1, v85
	v_add_u32_e32 v89, 1, v83
	v_cndmask_b32_e64 v90, v90, v85, s[16:17]
	v_cndmask_b32_e64 v89, v83, v89, s[16:17]
	v_cmp_ge_i32_e64 s[20:21], v90, v5
	s_waitcnt lgkmcnt(0)
	v_cmp_lt_i32_e64 s[22:23], v87, v88
	v_cmp_lt_i32_e64 s[18:19], v89, v6
	s_or_b64 s[20:21], s[20:21], s[22:23]
	s_and_b64 s[18:19], s[18:19], s[20:21]
	s_xor_b64 s[20:21], s[18:19], -1
                                        ; implicit-def: $vgpr91
	s_and_saveexec_b64 s[22:23], s[20:21]
	s_xor_b64 s[20:21], exec, s[22:23]
	s_cbranch_execz .LBB35_24
; %bb.23:                               ;   in Loop: Header=BB35_2 Depth=1
	v_lshlrev_b32_e32 v91, 2, v90
	ds_read_b32 v91, v91 offset:4
.LBB35_24:                              ;   in Loop: Header=BB35_2 Depth=1
	s_or_saveexec_b64 s[20:21], s[20:21]
	v_mov_b32_e32 v92, v87
	s_xor_b64 exec, exec, s[20:21]
	s_cbranch_execz .LBB35_26
; %bb.25:                               ;   in Loop: Header=BB35_2 Depth=1
	s_waitcnt lgkmcnt(0)
	v_lshlrev_b32_e32 v91, 2, v89
	ds_read_b32 v92, v91 offset:4
	v_mov_b32_e32 v91, v88
.LBB35_26:                              ;   in Loop: Header=BB35_2 Depth=1
	s_or_b64 exec, exec, s[20:21]
	v_add_u32_e32 v93, 1, v90
	v_cndmask_b32_e64 v87, v88, v87, s[18:19]
	v_add_u32_e32 v88, 1, v89
	v_cndmask_b32_e64 v93, v93, v90, s[18:19]
	v_cndmask_b32_e64 v88, v89, v88, s[18:19]
	;; [unrolled: 1-line block ×3, first 2 shown]
	v_cmp_ge_i32_e64 s[18:19], v93, v5
	s_waitcnt lgkmcnt(0)
	v_cmp_lt_i32_e64 s[20:21], v92, v91
	v_cndmask_b32_e64 v84, v84, v86, s[16:17]
	v_cndmask_b32_e64 v83, v85, v83, s[16:17]
	v_cmp_lt_i32_e64 s[16:17], v88, v6
	s_or_b64 s[18:19], s[18:19], s[20:21]
	s_and_b64 s[16:17], s[16:17], s[18:19]
	v_cndmask_b32_e64 v86, v93, v88, s[16:17]
	s_barrier
	ds_write2_b32 v68, v80, v81 offset1:1
	ds_write_b32 v68, v82 offset:8
	v_lshlrev_b32_e32 v80, 2, v83
	v_lshlrev_b32_e32 v81, 2, v89
	;; [unrolled: 1-line block ×3, first 2 shown]
	s_waitcnt lgkmcnt(0)
	s_barrier
	ds_read_b32 v80, v80
	ds_read_b32 v81, v81
	;; [unrolled: 1-line block ×3, first 2 shown]
	v_cndmask_b32_e64 v85, v91, v92, s[16:17]
	s_waitcnt lgkmcnt(0)
	s_barrier
	ds_write2_b32 v68, v84, v87 offset1:1
	ds_write_b32 v68, v85 offset:8
	v_mov_b32_e32 v85, v37
	s_waitcnt lgkmcnt(0)
	s_barrier
	s_and_saveexec_b64 s[18:19], s[2:3]
	s_cbranch_execz .LBB35_30
; %bb.27:                               ;   in Loop: Header=BB35_2 Depth=1
	s_mov_b64 s[20:21], 0
	v_mov_b32_e32 v85, v37
	v_mov_b32_e32 v83, v38
.LBB35_28:                              ;   Parent Loop BB35_2 Depth=1
                                        ; =>  This Inner Loop Header: Depth=2
	v_sub_u32_e32 v84, v83, v85
	v_lshrrev_b32_e32 v86, 31, v84
	v_add_u32_e32 v84, v84, v86
	v_ashrrev_i32_e32 v84, 1, v84
	v_add_u32_e32 v84, v84, v85
	v_xad_u32 v87, v84, -1, v7
	v_lshl_add_u32 v86, v84, 2, v72
	v_lshl_add_u32 v87, v87, 2, v66
	ds_read_b32 v86, v86
	ds_read_b32 v87, v87
	v_add_u32_e32 v88, 1, v84
	s_waitcnt lgkmcnt(0)
	v_cmp_lt_i32_e64 s[16:17], v87, v86
	s_nop 1
	v_cndmask_b32_e64 v83, v83, v84, s[16:17]
	v_cndmask_b32_e64 v85, v88, v85, s[16:17]
	v_cmp_ge_i32_e64 s[16:17], v85, v83
	s_or_b64 s[20:21], s[16:17], s[20:21]
	s_andn2_b64 exec, exec, s[20:21]
	s_cbranch_execnz .LBB35_28
; %bb.29:                               ;   in Loop: Header=BB35_2 Depth=1
	s_or_b64 exec, exec, s[20:21]
.LBB35_30:                              ;   in Loop: Header=BB35_2 Depth=1
	s_or_b64 exec, exec, s[18:19]
	v_sub_u32_e32 v83, v39, v85
	v_lshl_add_u32 v90, v85, 2, v72
	v_lshlrev_b32_e32 v89, 2, v83
	ds_read_b32 v84, v90
	ds_read_b32 v86, v89
	v_add_u32_e32 v85, v85, v36
	v_cmp_le_i32_e64 s[18:19], v8, v85
	v_cmp_gt_i32_e64 s[16:17], v9, v83
                                        ; implicit-def: $vgpr87
                                        ; implicit-def: $vgpr88
	s_waitcnt lgkmcnt(0)
	v_cmp_lt_i32_e64 s[20:21], v86, v84
	s_or_b64 s[18:19], s[18:19], s[20:21]
	s_and_b64 s[16:17], s[16:17], s[18:19]
	s_xor_b64 s[18:19], s[16:17], -1
	s_and_saveexec_b64 s[20:21], s[18:19]
	s_xor_b64 s[18:19], exec, s[20:21]
	s_cbranch_execz .LBB35_32
; %bb.31:                               ;   in Loop: Header=BB35_2 Depth=1
	ds_read_b32 v88, v90 offset:4
	v_mov_b32_e32 v87, v86
                                        ; implicit-def: $vgpr89
.LBB35_32:                              ;   in Loop: Header=BB35_2 Depth=1
	s_andn2_saveexec_b64 s[18:19], s[18:19]
	s_cbranch_execz .LBB35_34
; %bb.33:                               ;   in Loop: Header=BB35_2 Depth=1
	ds_read_b32 v87, v89 offset:4
	s_waitcnt lgkmcnt(1)
	v_mov_b32_e32 v88, v84
.LBB35_34:                              ;   in Loop: Header=BB35_2 Depth=1
	s_or_b64 exec, exec, s[18:19]
	v_add_u32_e32 v90, 1, v85
	v_add_u32_e32 v89, 1, v83
	v_cndmask_b32_e64 v90, v90, v85, s[16:17]
	v_cndmask_b32_e64 v89, v83, v89, s[16:17]
	v_cmp_ge_i32_e64 s[20:21], v90, v8
	s_waitcnt lgkmcnt(0)
	v_cmp_lt_i32_e64 s[22:23], v87, v88
	v_cmp_lt_i32_e64 s[18:19], v89, v9
	s_or_b64 s[20:21], s[20:21], s[22:23]
	s_and_b64 s[18:19], s[18:19], s[20:21]
	s_xor_b64 s[20:21], s[18:19], -1
                                        ; implicit-def: $vgpr91
	s_and_saveexec_b64 s[22:23], s[20:21]
	s_xor_b64 s[20:21], exec, s[22:23]
	s_cbranch_execz .LBB35_36
; %bb.35:                               ;   in Loop: Header=BB35_2 Depth=1
	v_lshlrev_b32_e32 v91, 2, v90
	ds_read_b32 v91, v91 offset:4
.LBB35_36:                              ;   in Loop: Header=BB35_2 Depth=1
	s_or_saveexec_b64 s[20:21], s[20:21]
	v_mov_b32_e32 v92, v87
	s_xor_b64 exec, exec, s[20:21]
	s_cbranch_execz .LBB35_38
; %bb.37:                               ;   in Loop: Header=BB35_2 Depth=1
	s_waitcnt lgkmcnt(0)
	v_lshlrev_b32_e32 v91, 2, v89
	ds_read_b32 v92, v91 offset:4
	v_mov_b32_e32 v91, v88
.LBB35_38:                              ;   in Loop: Header=BB35_2 Depth=1
	s_or_b64 exec, exec, s[20:21]
	v_add_u32_e32 v93, 1, v90
	v_cndmask_b32_e64 v87, v88, v87, s[18:19]
	v_add_u32_e32 v88, 1, v89
	v_cndmask_b32_e64 v93, v93, v90, s[18:19]
	v_cndmask_b32_e64 v88, v89, v88, s[18:19]
	;; [unrolled: 1-line block ×3, first 2 shown]
	v_cmp_ge_i32_e64 s[18:19], v93, v8
	s_waitcnt lgkmcnt(0)
	v_cmp_lt_i32_e64 s[20:21], v92, v91
	v_cndmask_b32_e64 v84, v84, v86, s[16:17]
	v_cndmask_b32_e64 v83, v85, v83, s[16:17]
	v_cmp_lt_i32_e64 s[16:17], v88, v9
	s_or_b64 s[18:19], s[18:19], s[20:21]
	s_and_b64 s[16:17], s[16:17], s[18:19]
	v_cndmask_b32_e64 v86, v93, v88, s[16:17]
	s_barrier
	ds_write2_b32 v68, v80, v81 offset1:1
	ds_write_b32 v68, v82 offset:8
	v_lshlrev_b32_e32 v80, 2, v83
	v_lshlrev_b32_e32 v81, 2, v89
	;; [unrolled: 1-line block ×3, first 2 shown]
	s_waitcnt lgkmcnt(0)
	s_barrier
	ds_read_b32 v80, v80
	ds_read_b32 v81, v81
	;; [unrolled: 1-line block ×3, first 2 shown]
	v_cndmask_b32_e64 v85, v91, v92, s[16:17]
	s_waitcnt lgkmcnt(0)
	s_barrier
	ds_write2_b32 v68, v84, v87 offset1:1
	ds_write_b32 v68, v85 offset:8
	v_mov_b32_e32 v85, v41
	s_waitcnt lgkmcnt(0)
	s_barrier
	s_and_saveexec_b64 s[18:19], s[4:5]
	s_cbranch_execz .LBB35_42
; %bb.39:                               ;   in Loop: Header=BB35_2 Depth=1
	s_mov_b64 s[20:21], 0
	v_mov_b32_e32 v85, v41
	v_mov_b32_e32 v83, v42
.LBB35_40:                              ;   Parent Loop BB35_2 Depth=1
                                        ; =>  This Inner Loop Header: Depth=2
	v_sub_u32_e32 v84, v83, v85
	v_lshrrev_b32_e32 v86, 31, v84
	v_add_u32_e32 v84, v84, v86
	v_ashrrev_i32_e32 v84, 1, v84
	v_add_u32_e32 v84, v84, v85
	v_xad_u32 v87, v84, -1, v10
	v_lshl_add_u32 v86, v84, 2, v73
	v_lshl_add_u32 v87, v87, 2, v25
	ds_read_b32 v86, v86
	ds_read_b32 v87, v87
	v_add_u32_e32 v88, 1, v84
	s_waitcnt lgkmcnt(0)
	v_cmp_lt_i32_e64 s[16:17], v87, v86
	s_nop 1
	v_cndmask_b32_e64 v83, v83, v84, s[16:17]
	v_cndmask_b32_e64 v85, v88, v85, s[16:17]
	v_cmp_ge_i32_e64 s[16:17], v85, v83
	s_or_b64 s[20:21], s[16:17], s[20:21]
	s_andn2_b64 exec, exec, s[20:21]
	s_cbranch_execnz .LBB35_40
; %bb.41:                               ;   in Loop: Header=BB35_2 Depth=1
	s_or_b64 exec, exec, s[20:21]
.LBB35_42:                              ;   in Loop: Header=BB35_2 Depth=1
	s_or_b64 exec, exec, s[18:19]
	v_sub_u32_e32 v83, v43, v85
	v_lshl_add_u32 v90, v85, 2, v73
	v_lshlrev_b32_e32 v89, 2, v83
	ds_read_b32 v84, v90
	ds_read_b32 v86, v89
	v_add_u32_e32 v85, v85, v40
	v_cmp_le_i32_e64 s[18:19], v11, v85
	v_cmp_gt_i32_e64 s[16:17], v12, v83
                                        ; implicit-def: $vgpr87
                                        ; implicit-def: $vgpr88
	s_waitcnt lgkmcnt(0)
	v_cmp_lt_i32_e64 s[20:21], v86, v84
	s_or_b64 s[18:19], s[18:19], s[20:21]
	s_and_b64 s[16:17], s[16:17], s[18:19]
	s_xor_b64 s[18:19], s[16:17], -1
	s_and_saveexec_b64 s[20:21], s[18:19]
	s_xor_b64 s[18:19], exec, s[20:21]
	s_cbranch_execz .LBB35_44
; %bb.43:                               ;   in Loop: Header=BB35_2 Depth=1
	ds_read_b32 v88, v90 offset:4
	v_mov_b32_e32 v87, v86
                                        ; implicit-def: $vgpr89
.LBB35_44:                              ;   in Loop: Header=BB35_2 Depth=1
	s_andn2_saveexec_b64 s[18:19], s[18:19]
	s_cbranch_execz .LBB35_46
; %bb.45:                               ;   in Loop: Header=BB35_2 Depth=1
	ds_read_b32 v87, v89 offset:4
	s_waitcnt lgkmcnt(1)
	v_mov_b32_e32 v88, v84
.LBB35_46:                              ;   in Loop: Header=BB35_2 Depth=1
	s_or_b64 exec, exec, s[18:19]
	v_add_u32_e32 v90, 1, v85
	v_add_u32_e32 v89, 1, v83
	v_cndmask_b32_e64 v90, v90, v85, s[16:17]
	v_cndmask_b32_e64 v89, v83, v89, s[16:17]
	v_cmp_ge_i32_e64 s[20:21], v90, v11
	s_waitcnt lgkmcnt(0)
	v_cmp_lt_i32_e64 s[22:23], v87, v88
	v_cmp_lt_i32_e64 s[18:19], v89, v12
	s_or_b64 s[20:21], s[20:21], s[22:23]
	s_and_b64 s[18:19], s[18:19], s[20:21]
	s_xor_b64 s[20:21], s[18:19], -1
                                        ; implicit-def: $vgpr91
	s_and_saveexec_b64 s[22:23], s[20:21]
	s_xor_b64 s[20:21], exec, s[22:23]
	s_cbranch_execz .LBB35_48
; %bb.47:                               ;   in Loop: Header=BB35_2 Depth=1
	v_lshlrev_b32_e32 v91, 2, v90
	ds_read_b32 v91, v91 offset:4
.LBB35_48:                              ;   in Loop: Header=BB35_2 Depth=1
	s_or_saveexec_b64 s[20:21], s[20:21]
	v_mov_b32_e32 v92, v87
	s_xor_b64 exec, exec, s[20:21]
	s_cbranch_execz .LBB35_50
; %bb.49:                               ;   in Loop: Header=BB35_2 Depth=1
	s_waitcnt lgkmcnt(0)
	v_lshlrev_b32_e32 v91, 2, v89
	ds_read_b32 v92, v91 offset:4
	v_mov_b32_e32 v91, v88
.LBB35_50:                              ;   in Loop: Header=BB35_2 Depth=1
	s_or_b64 exec, exec, s[20:21]
	v_add_u32_e32 v93, 1, v90
	v_cndmask_b32_e64 v87, v88, v87, s[18:19]
	v_add_u32_e32 v88, 1, v89
	v_cndmask_b32_e64 v93, v93, v90, s[18:19]
	v_cndmask_b32_e64 v88, v89, v88, s[18:19]
	;; [unrolled: 1-line block ×3, first 2 shown]
	v_cmp_ge_i32_e64 s[18:19], v93, v11
	s_waitcnt lgkmcnt(0)
	v_cmp_lt_i32_e64 s[20:21], v92, v91
	v_cndmask_b32_e64 v84, v84, v86, s[16:17]
	v_cndmask_b32_e64 v83, v85, v83, s[16:17]
	v_cmp_lt_i32_e64 s[16:17], v88, v12
	s_or_b64 s[18:19], s[18:19], s[20:21]
	s_and_b64 s[16:17], s[16:17], s[18:19]
	v_cndmask_b32_e64 v86, v93, v88, s[16:17]
	s_barrier
	ds_write2_b32 v68, v80, v81 offset1:1
	ds_write_b32 v68, v82 offset:8
	v_lshlrev_b32_e32 v80, 2, v83
	v_lshlrev_b32_e32 v81, 2, v89
	;; [unrolled: 1-line block ×3, first 2 shown]
	s_waitcnt lgkmcnt(0)
	s_barrier
	ds_read_b32 v80, v80
	ds_read_b32 v81, v81
	;; [unrolled: 1-line block ×3, first 2 shown]
	v_cndmask_b32_e64 v85, v91, v92, s[16:17]
	s_waitcnt lgkmcnt(0)
	s_barrier
	ds_write2_b32 v68, v84, v87 offset1:1
	ds_write_b32 v68, v85 offset:8
	v_mov_b32_e32 v85, v45
	s_waitcnt lgkmcnt(0)
	s_barrier
	s_and_saveexec_b64 s[18:19], s[6:7]
	s_cbranch_execz .LBB35_54
; %bb.51:                               ;   in Loop: Header=BB35_2 Depth=1
	s_mov_b64 s[20:21], 0
	v_mov_b32_e32 v85, v45
	v_mov_b32_e32 v83, v46
.LBB35_52:                              ;   Parent Loop BB35_2 Depth=1
                                        ; =>  This Inner Loop Header: Depth=2
	v_sub_u32_e32 v84, v83, v85
	v_lshrrev_b32_e32 v86, 31, v84
	v_add_u32_e32 v84, v84, v86
	v_ashrrev_i32_e32 v84, 1, v84
	v_add_u32_e32 v84, v84, v85
	v_xad_u32 v87, v84, -1, v13
	v_lshl_add_u32 v86, v84, 2, v74
	v_lshl_add_u32 v87, v87, 2, v26
	ds_read_b32 v86, v86
	ds_read_b32 v87, v87
	v_add_u32_e32 v88, 1, v84
	s_waitcnt lgkmcnt(0)
	v_cmp_lt_i32_e64 s[16:17], v87, v86
	s_nop 1
	v_cndmask_b32_e64 v83, v83, v84, s[16:17]
	v_cndmask_b32_e64 v85, v88, v85, s[16:17]
	v_cmp_ge_i32_e64 s[16:17], v85, v83
	s_or_b64 s[20:21], s[16:17], s[20:21]
	s_andn2_b64 exec, exec, s[20:21]
	s_cbranch_execnz .LBB35_52
; %bb.53:                               ;   in Loop: Header=BB35_2 Depth=1
	s_or_b64 exec, exec, s[20:21]
.LBB35_54:                              ;   in Loop: Header=BB35_2 Depth=1
	s_or_b64 exec, exec, s[18:19]
	v_sub_u32_e32 v83, v47, v85
	v_lshl_add_u32 v90, v85, 2, v74
	v_lshlrev_b32_e32 v89, 2, v83
	ds_read_b32 v84, v90
	ds_read_b32 v86, v89
	v_add_u32_e32 v85, v85, v44
	v_cmp_le_i32_e64 s[18:19], v14, v85
	v_cmp_gt_i32_e64 s[16:17], v15, v83
                                        ; implicit-def: $vgpr87
                                        ; implicit-def: $vgpr88
	s_waitcnt lgkmcnt(0)
	v_cmp_lt_i32_e64 s[20:21], v86, v84
	s_or_b64 s[18:19], s[18:19], s[20:21]
	s_and_b64 s[16:17], s[16:17], s[18:19]
	s_xor_b64 s[18:19], s[16:17], -1
	s_and_saveexec_b64 s[20:21], s[18:19]
	s_xor_b64 s[18:19], exec, s[20:21]
	s_cbranch_execz .LBB35_56
; %bb.55:                               ;   in Loop: Header=BB35_2 Depth=1
	ds_read_b32 v88, v90 offset:4
	v_mov_b32_e32 v87, v86
                                        ; implicit-def: $vgpr89
.LBB35_56:                              ;   in Loop: Header=BB35_2 Depth=1
	s_andn2_saveexec_b64 s[18:19], s[18:19]
	s_cbranch_execz .LBB35_58
; %bb.57:                               ;   in Loop: Header=BB35_2 Depth=1
	ds_read_b32 v87, v89 offset:4
	s_waitcnt lgkmcnt(1)
	v_mov_b32_e32 v88, v84
.LBB35_58:                              ;   in Loop: Header=BB35_2 Depth=1
	s_or_b64 exec, exec, s[18:19]
	v_add_u32_e32 v90, 1, v85
	v_add_u32_e32 v89, 1, v83
	v_cndmask_b32_e64 v90, v90, v85, s[16:17]
	v_cndmask_b32_e64 v89, v83, v89, s[16:17]
	v_cmp_ge_i32_e64 s[20:21], v90, v14
	s_waitcnt lgkmcnt(0)
	v_cmp_lt_i32_e64 s[22:23], v87, v88
	v_cmp_lt_i32_e64 s[18:19], v89, v15
	s_or_b64 s[20:21], s[20:21], s[22:23]
	s_and_b64 s[18:19], s[18:19], s[20:21]
	s_xor_b64 s[20:21], s[18:19], -1
                                        ; implicit-def: $vgpr91
	s_and_saveexec_b64 s[22:23], s[20:21]
	s_xor_b64 s[20:21], exec, s[22:23]
	s_cbranch_execz .LBB35_60
; %bb.59:                               ;   in Loop: Header=BB35_2 Depth=1
	v_lshlrev_b32_e32 v91, 2, v90
	ds_read_b32 v91, v91 offset:4
.LBB35_60:                              ;   in Loop: Header=BB35_2 Depth=1
	s_or_saveexec_b64 s[20:21], s[20:21]
	v_mov_b32_e32 v92, v87
	s_xor_b64 exec, exec, s[20:21]
	s_cbranch_execz .LBB35_62
; %bb.61:                               ;   in Loop: Header=BB35_2 Depth=1
	s_waitcnt lgkmcnt(0)
	v_lshlrev_b32_e32 v91, 2, v89
	ds_read_b32 v92, v91 offset:4
	v_mov_b32_e32 v91, v88
.LBB35_62:                              ;   in Loop: Header=BB35_2 Depth=1
	s_or_b64 exec, exec, s[20:21]
	v_add_u32_e32 v93, 1, v90
	v_cndmask_b32_e64 v87, v88, v87, s[18:19]
	v_add_u32_e32 v88, 1, v89
	v_cndmask_b32_e64 v93, v93, v90, s[18:19]
	v_cndmask_b32_e64 v88, v89, v88, s[18:19]
	;; [unrolled: 1-line block ×3, first 2 shown]
	v_cmp_ge_i32_e64 s[18:19], v93, v14
	s_waitcnt lgkmcnt(0)
	v_cmp_lt_i32_e64 s[20:21], v92, v91
	v_cndmask_b32_e64 v84, v84, v86, s[16:17]
	v_cndmask_b32_e64 v83, v85, v83, s[16:17]
	v_cmp_lt_i32_e64 s[16:17], v88, v15
	s_or_b64 s[18:19], s[18:19], s[20:21]
	s_and_b64 s[16:17], s[16:17], s[18:19]
	v_cndmask_b32_e64 v86, v93, v88, s[16:17]
	s_barrier
	ds_write2_b32 v68, v80, v81 offset1:1
	ds_write_b32 v68, v82 offset:8
	v_lshlrev_b32_e32 v80, 2, v83
	v_lshlrev_b32_e32 v81, 2, v89
	;; [unrolled: 1-line block ×3, first 2 shown]
	s_waitcnt lgkmcnt(0)
	s_barrier
	ds_read_b32 v80, v80
	ds_read_b32 v81, v81
	;; [unrolled: 1-line block ×3, first 2 shown]
	v_cndmask_b32_e64 v85, v91, v92, s[16:17]
	s_waitcnt lgkmcnt(0)
	s_barrier
	ds_write2_b32 v68, v84, v87 offset1:1
	ds_write_b32 v68, v85 offset:8
	v_mov_b32_e32 v85, v49
	s_waitcnt lgkmcnt(0)
	s_barrier
	s_and_saveexec_b64 s[18:19], s[8:9]
	s_cbranch_execz .LBB35_66
; %bb.63:                               ;   in Loop: Header=BB35_2 Depth=1
	s_mov_b64 s[20:21], 0
	v_mov_b32_e32 v85, v49
	v_mov_b32_e32 v83, v50
.LBB35_64:                              ;   Parent Loop BB35_2 Depth=1
                                        ; =>  This Inner Loop Header: Depth=2
	v_sub_u32_e32 v84, v83, v85
	v_lshrrev_b32_e32 v86, 31, v84
	v_add_u32_e32 v84, v84, v86
	v_ashrrev_i32_e32 v84, 1, v84
	v_add_u32_e32 v84, v84, v85
	v_xad_u32 v87, v84, -1, v16
	v_lshl_add_u32 v86, v84, 2, v75
	v_lshl_add_u32 v87, v87, 2, v27
	ds_read_b32 v86, v86
	ds_read_b32 v87, v87
	v_add_u32_e32 v88, 1, v84
	s_waitcnt lgkmcnt(0)
	v_cmp_lt_i32_e64 s[16:17], v87, v86
	s_nop 1
	v_cndmask_b32_e64 v83, v83, v84, s[16:17]
	v_cndmask_b32_e64 v85, v88, v85, s[16:17]
	v_cmp_ge_i32_e64 s[16:17], v85, v83
	s_or_b64 s[20:21], s[16:17], s[20:21]
	s_andn2_b64 exec, exec, s[20:21]
	s_cbranch_execnz .LBB35_64
; %bb.65:                               ;   in Loop: Header=BB35_2 Depth=1
	s_or_b64 exec, exec, s[20:21]
.LBB35_66:                              ;   in Loop: Header=BB35_2 Depth=1
	s_or_b64 exec, exec, s[18:19]
	v_sub_u32_e32 v83, v51, v85
	v_lshl_add_u32 v90, v85, 2, v75
	v_lshlrev_b32_e32 v89, 2, v83
	ds_read_b32 v84, v90
	ds_read_b32 v86, v89
	v_add_u32_e32 v85, v85, v48
	v_cmp_le_i32_e64 s[18:19], v17, v85
	v_cmp_gt_i32_e64 s[16:17], v18, v83
                                        ; implicit-def: $vgpr87
                                        ; implicit-def: $vgpr88
	s_waitcnt lgkmcnt(0)
	v_cmp_lt_i32_e64 s[20:21], v86, v84
	s_or_b64 s[18:19], s[18:19], s[20:21]
	s_and_b64 s[16:17], s[16:17], s[18:19]
	s_xor_b64 s[18:19], s[16:17], -1
	s_and_saveexec_b64 s[20:21], s[18:19]
	s_xor_b64 s[18:19], exec, s[20:21]
	s_cbranch_execz .LBB35_68
; %bb.67:                               ;   in Loop: Header=BB35_2 Depth=1
	ds_read_b32 v88, v90 offset:4
	v_mov_b32_e32 v87, v86
                                        ; implicit-def: $vgpr89
.LBB35_68:                              ;   in Loop: Header=BB35_2 Depth=1
	s_andn2_saveexec_b64 s[18:19], s[18:19]
	s_cbranch_execz .LBB35_70
; %bb.69:                               ;   in Loop: Header=BB35_2 Depth=1
	ds_read_b32 v87, v89 offset:4
	s_waitcnt lgkmcnt(1)
	v_mov_b32_e32 v88, v84
.LBB35_70:                              ;   in Loop: Header=BB35_2 Depth=1
	s_or_b64 exec, exec, s[18:19]
	v_add_u32_e32 v90, 1, v85
	v_add_u32_e32 v89, 1, v83
	v_cndmask_b32_e64 v90, v90, v85, s[16:17]
	v_cndmask_b32_e64 v89, v83, v89, s[16:17]
	v_cmp_ge_i32_e64 s[20:21], v90, v17
	s_waitcnt lgkmcnt(0)
	v_cmp_lt_i32_e64 s[22:23], v87, v88
	v_cmp_lt_i32_e64 s[18:19], v89, v18
	s_or_b64 s[20:21], s[20:21], s[22:23]
	s_and_b64 s[18:19], s[18:19], s[20:21]
	s_xor_b64 s[20:21], s[18:19], -1
                                        ; implicit-def: $vgpr91
	s_and_saveexec_b64 s[22:23], s[20:21]
	s_xor_b64 s[20:21], exec, s[22:23]
	s_cbranch_execz .LBB35_72
; %bb.71:                               ;   in Loop: Header=BB35_2 Depth=1
	v_lshlrev_b32_e32 v91, 2, v90
	ds_read_b32 v91, v91 offset:4
.LBB35_72:                              ;   in Loop: Header=BB35_2 Depth=1
	s_or_saveexec_b64 s[20:21], s[20:21]
	v_mov_b32_e32 v92, v87
	s_xor_b64 exec, exec, s[20:21]
	s_cbranch_execz .LBB35_74
; %bb.73:                               ;   in Loop: Header=BB35_2 Depth=1
	s_waitcnt lgkmcnt(0)
	v_lshlrev_b32_e32 v91, 2, v89
	ds_read_b32 v92, v91 offset:4
	v_mov_b32_e32 v91, v88
.LBB35_74:                              ;   in Loop: Header=BB35_2 Depth=1
	s_or_b64 exec, exec, s[20:21]
	v_add_u32_e32 v93, 1, v90
	v_cndmask_b32_e64 v87, v88, v87, s[18:19]
	v_add_u32_e32 v88, 1, v89
	v_cndmask_b32_e64 v93, v93, v90, s[18:19]
	v_cndmask_b32_e64 v88, v89, v88, s[18:19]
	;; [unrolled: 1-line block ×3, first 2 shown]
	v_cmp_ge_i32_e64 s[18:19], v93, v17
	s_waitcnt lgkmcnt(0)
	v_cmp_lt_i32_e64 s[20:21], v92, v91
	v_cndmask_b32_e64 v84, v84, v86, s[16:17]
	v_cndmask_b32_e64 v83, v85, v83, s[16:17]
	v_cmp_lt_i32_e64 s[16:17], v88, v18
	s_or_b64 s[18:19], s[18:19], s[20:21]
	s_and_b64 s[16:17], s[16:17], s[18:19]
	v_cndmask_b32_e64 v86, v93, v88, s[16:17]
	s_barrier
	ds_write2_b32 v68, v80, v81 offset1:1
	ds_write_b32 v68, v82 offset:8
	v_lshlrev_b32_e32 v80, 2, v83
	v_lshlrev_b32_e32 v81, 2, v89
	;; [unrolled: 1-line block ×3, first 2 shown]
	s_waitcnt lgkmcnt(0)
	s_barrier
	ds_read_b32 v80, v80
	ds_read_b32 v81, v81
	;; [unrolled: 1-line block ×3, first 2 shown]
	v_cndmask_b32_e64 v85, v91, v92, s[16:17]
	s_waitcnt lgkmcnt(0)
	s_barrier
	ds_write2_b32 v68, v84, v87 offset1:1
	ds_write_b32 v68, v85 offset:8
	v_mov_b32_e32 v85, v53
	s_waitcnt lgkmcnt(0)
	s_barrier
	s_and_saveexec_b64 s[18:19], s[10:11]
	s_cbranch_execz .LBB35_78
; %bb.75:                               ;   in Loop: Header=BB35_2 Depth=1
	s_mov_b64 s[20:21], 0
	v_mov_b32_e32 v85, v53
	v_mov_b32_e32 v83, v54
.LBB35_76:                              ;   Parent Loop BB35_2 Depth=1
                                        ; =>  This Inner Loop Header: Depth=2
	v_sub_u32_e32 v84, v83, v85
	v_lshrrev_b32_e32 v86, 31, v84
	v_add_u32_e32 v84, v84, v86
	v_ashrrev_i32_e32 v84, 1, v84
	v_add_u32_e32 v84, v84, v85
	v_xad_u32 v87, v84, -1, v19
	v_lshl_add_u32 v86, v84, 2, v76
	v_lshl_add_u32 v87, v87, 2, v67
	ds_read_b32 v86, v86
	ds_read_b32 v87, v87
	v_add_u32_e32 v88, 1, v84
	s_waitcnt lgkmcnt(0)
	v_cmp_lt_i32_e64 s[16:17], v87, v86
	s_nop 1
	v_cndmask_b32_e64 v83, v83, v84, s[16:17]
	v_cndmask_b32_e64 v85, v88, v85, s[16:17]
	v_cmp_ge_i32_e64 s[16:17], v85, v83
	s_or_b64 s[20:21], s[16:17], s[20:21]
	s_andn2_b64 exec, exec, s[20:21]
	s_cbranch_execnz .LBB35_76
; %bb.77:                               ;   in Loop: Header=BB35_2 Depth=1
	s_or_b64 exec, exec, s[20:21]
.LBB35_78:                              ;   in Loop: Header=BB35_2 Depth=1
	s_or_b64 exec, exec, s[18:19]
	v_sub_u32_e32 v83, v55, v85
	v_lshl_add_u32 v90, v85, 2, v76
	v_lshlrev_b32_e32 v89, 2, v83
	ds_read_b32 v84, v90
	ds_read_b32 v86, v89
	v_add_u32_e32 v85, v85, v52
	v_cmp_le_i32_e64 s[18:19], v20, v85
	v_cmp_gt_i32_e64 s[16:17], v21, v83
                                        ; implicit-def: $vgpr87
                                        ; implicit-def: $vgpr88
	s_waitcnt lgkmcnt(0)
	v_cmp_lt_i32_e64 s[20:21], v86, v84
	s_or_b64 s[18:19], s[18:19], s[20:21]
	s_and_b64 s[16:17], s[16:17], s[18:19]
	s_xor_b64 s[18:19], s[16:17], -1
	s_and_saveexec_b64 s[20:21], s[18:19]
	s_xor_b64 s[18:19], exec, s[20:21]
	s_cbranch_execz .LBB35_80
; %bb.79:                               ;   in Loop: Header=BB35_2 Depth=1
	ds_read_b32 v88, v90 offset:4
	v_mov_b32_e32 v87, v86
                                        ; implicit-def: $vgpr89
.LBB35_80:                              ;   in Loop: Header=BB35_2 Depth=1
	s_andn2_saveexec_b64 s[18:19], s[18:19]
	s_cbranch_execz .LBB35_82
; %bb.81:                               ;   in Loop: Header=BB35_2 Depth=1
	ds_read_b32 v87, v89 offset:4
	s_waitcnt lgkmcnt(1)
	v_mov_b32_e32 v88, v84
.LBB35_82:                              ;   in Loop: Header=BB35_2 Depth=1
	s_or_b64 exec, exec, s[18:19]
	v_add_u32_e32 v90, 1, v85
	v_add_u32_e32 v89, 1, v83
	v_cndmask_b32_e64 v90, v90, v85, s[16:17]
	v_cndmask_b32_e64 v89, v83, v89, s[16:17]
	v_cmp_ge_i32_e64 s[20:21], v90, v20
	s_waitcnt lgkmcnt(0)
	v_cmp_lt_i32_e64 s[22:23], v87, v88
	v_cmp_lt_i32_e64 s[18:19], v89, v21
	s_or_b64 s[20:21], s[20:21], s[22:23]
	s_and_b64 s[18:19], s[18:19], s[20:21]
	s_xor_b64 s[20:21], s[18:19], -1
                                        ; implicit-def: $vgpr91
	s_and_saveexec_b64 s[22:23], s[20:21]
	s_xor_b64 s[20:21], exec, s[22:23]
	s_cbranch_execz .LBB35_84
; %bb.83:                               ;   in Loop: Header=BB35_2 Depth=1
	v_lshlrev_b32_e32 v91, 2, v90
	ds_read_b32 v91, v91 offset:4
.LBB35_84:                              ;   in Loop: Header=BB35_2 Depth=1
	s_or_saveexec_b64 s[20:21], s[20:21]
	v_mov_b32_e32 v92, v87
	s_xor_b64 exec, exec, s[20:21]
	s_cbranch_execz .LBB35_86
; %bb.85:                               ;   in Loop: Header=BB35_2 Depth=1
	s_waitcnt lgkmcnt(0)
	v_lshlrev_b32_e32 v91, 2, v89
	ds_read_b32 v92, v91 offset:4
	v_mov_b32_e32 v91, v88
.LBB35_86:                              ;   in Loop: Header=BB35_2 Depth=1
	s_or_b64 exec, exec, s[20:21]
	v_add_u32_e32 v93, 1, v90
	v_cndmask_b32_e64 v87, v88, v87, s[18:19]
	v_add_u32_e32 v88, 1, v89
	v_cndmask_b32_e64 v93, v93, v90, s[18:19]
	v_cndmask_b32_e64 v88, v89, v88, s[18:19]
	;; [unrolled: 1-line block ×3, first 2 shown]
	v_cmp_ge_i32_e64 s[18:19], v93, v20
	s_waitcnt lgkmcnt(0)
	v_cmp_lt_i32_e64 s[20:21], v92, v91
	v_cndmask_b32_e64 v84, v84, v86, s[16:17]
	v_cndmask_b32_e64 v83, v85, v83, s[16:17]
	v_cmp_lt_i32_e64 s[16:17], v88, v21
	s_or_b64 s[18:19], s[18:19], s[20:21]
	s_and_b64 s[16:17], s[16:17], s[18:19]
	v_cndmask_b32_e64 v86, v93, v88, s[16:17]
	s_barrier
	ds_write2_b32 v68, v80, v81 offset1:1
	ds_write_b32 v68, v82 offset:8
	v_lshlrev_b32_e32 v80, 2, v83
	v_lshlrev_b32_e32 v81, 2, v89
	;; [unrolled: 1-line block ×3, first 2 shown]
	s_waitcnt lgkmcnt(0)
	s_barrier
	ds_read_b32 v80, v80
	ds_read_b32 v81, v81
	;; [unrolled: 1-line block ×3, first 2 shown]
	v_cndmask_b32_e64 v85, v91, v92, s[16:17]
	s_waitcnt lgkmcnt(0)
	s_barrier
	ds_write2_b32 v68, v84, v87 offset1:1
	ds_write_b32 v68, v85 offset:8
	v_mov_b32_e32 v85, v57
	s_waitcnt lgkmcnt(0)
	s_barrier
	s_and_saveexec_b64 s[18:19], s[12:13]
	s_cbranch_execz .LBB35_90
; %bb.87:                               ;   in Loop: Header=BB35_2 Depth=1
	s_mov_b64 s[20:21], 0
	v_mov_b32_e32 v85, v57
	v_mov_b32_e32 v83, v58
.LBB35_88:                              ;   Parent Loop BB35_2 Depth=1
                                        ; =>  This Inner Loop Header: Depth=2
	v_sub_u32_e32 v84, v83, v85
	v_lshrrev_b32_e32 v86, 31, v84
	v_add_u32_e32 v84, v84, v86
	v_ashrrev_i32_e32 v84, 1, v84
	v_add_u32_e32 v84, v84, v85
	v_xad_u32 v87, v84, -1, v22
	v_lshl_add_u32 v86, v84, 2, v77
	v_lshl_add_u32 v87, v87, 2, v28
	ds_read_b32 v86, v86
	ds_read_b32 v87, v87
	v_add_u32_e32 v88, 1, v84
	s_waitcnt lgkmcnt(0)
	v_cmp_lt_i32_e64 s[16:17], v87, v86
	s_nop 1
	v_cndmask_b32_e64 v83, v83, v84, s[16:17]
	v_cndmask_b32_e64 v85, v88, v85, s[16:17]
	v_cmp_ge_i32_e64 s[16:17], v85, v83
	s_or_b64 s[20:21], s[16:17], s[20:21]
	s_andn2_b64 exec, exec, s[20:21]
	s_cbranch_execnz .LBB35_88
; %bb.89:                               ;   in Loop: Header=BB35_2 Depth=1
	s_or_b64 exec, exec, s[20:21]
.LBB35_90:                              ;   in Loop: Header=BB35_2 Depth=1
	s_or_b64 exec, exec, s[18:19]
	v_sub_u32_e32 v83, v59, v85
	v_lshl_add_u32 v90, v85, 2, v77
	v_lshlrev_b32_e32 v89, 2, v83
	ds_read_b32 v84, v90
	ds_read_b32 v86, v89
	v_add_u32_e32 v85, v85, v56
	v_cmp_le_i32_e64 s[18:19], v23, v85
	v_cmp_gt_i32_e64 s[16:17], v24, v83
                                        ; implicit-def: $vgpr87
                                        ; implicit-def: $vgpr88
	s_waitcnt lgkmcnt(0)
	v_cmp_lt_i32_e64 s[20:21], v86, v84
	s_or_b64 s[18:19], s[18:19], s[20:21]
	s_and_b64 s[16:17], s[16:17], s[18:19]
	s_xor_b64 s[18:19], s[16:17], -1
	s_and_saveexec_b64 s[20:21], s[18:19]
	s_xor_b64 s[18:19], exec, s[20:21]
	s_cbranch_execz .LBB35_92
; %bb.91:                               ;   in Loop: Header=BB35_2 Depth=1
	ds_read_b32 v88, v90 offset:4
	v_mov_b32_e32 v87, v86
                                        ; implicit-def: $vgpr89
.LBB35_92:                              ;   in Loop: Header=BB35_2 Depth=1
	s_andn2_saveexec_b64 s[18:19], s[18:19]
	s_cbranch_execz .LBB35_94
; %bb.93:                               ;   in Loop: Header=BB35_2 Depth=1
	ds_read_b32 v87, v89 offset:4
	s_waitcnt lgkmcnt(1)
	v_mov_b32_e32 v88, v84
.LBB35_94:                              ;   in Loop: Header=BB35_2 Depth=1
	s_or_b64 exec, exec, s[18:19]
	v_add_u32_e32 v90, 1, v85
	v_add_u32_e32 v89, 1, v83
	v_cndmask_b32_e64 v90, v90, v85, s[16:17]
	v_cndmask_b32_e64 v89, v83, v89, s[16:17]
	v_cmp_ge_i32_e64 s[20:21], v90, v23
	s_waitcnt lgkmcnt(0)
	v_cmp_lt_i32_e64 s[22:23], v87, v88
	v_cmp_lt_i32_e64 s[18:19], v89, v24
	s_or_b64 s[20:21], s[20:21], s[22:23]
	s_and_b64 s[18:19], s[18:19], s[20:21]
	s_xor_b64 s[20:21], s[18:19], -1
                                        ; implicit-def: $vgpr91
	s_and_saveexec_b64 s[22:23], s[20:21]
	s_xor_b64 s[20:21], exec, s[22:23]
	s_cbranch_execz .LBB35_96
; %bb.95:                               ;   in Loop: Header=BB35_2 Depth=1
	v_lshlrev_b32_e32 v91, 2, v90
	ds_read_b32 v91, v91 offset:4
.LBB35_96:                              ;   in Loop: Header=BB35_2 Depth=1
	s_or_saveexec_b64 s[20:21], s[20:21]
	v_mov_b32_e32 v92, v87
	s_xor_b64 exec, exec, s[20:21]
	s_cbranch_execz .LBB35_98
; %bb.97:                               ;   in Loop: Header=BB35_2 Depth=1
	s_waitcnt lgkmcnt(0)
	v_lshlrev_b32_e32 v91, 2, v89
	ds_read_b32 v92, v91 offset:4
	v_mov_b32_e32 v91, v88
.LBB35_98:                              ;   in Loop: Header=BB35_2 Depth=1
	s_or_b64 exec, exec, s[20:21]
	v_add_u32_e32 v93, 1, v90
	v_cndmask_b32_e64 v87, v88, v87, s[18:19]
	v_add_u32_e32 v88, 1, v89
	v_cndmask_b32_e64 v93, v93, v90, s[18:19]
	v_cndmask_b32_e64 v88, v89, v88, s[18:19]
	;; [unrolled: 1-line block ×3, first 2 shown]
	v_cmp_ge_i32_e64 s[18:19], v93, v23
	s_waitcnt lgkmcnt(0)
	v_cmp_lt_i32_e64 s[20:21], v92, v91
	v_cndmask_b32_e64 v84, v84, v86, s[16:17]
	v_cndmask_b32_e64 v83, v85, v83, s[16:17]
	v_cmp_lt_i32_e64 s[16:17], v88, v24
	s_or_b64 s[18:19], s[18:19], s[20:21]
	s_and_b64 s[16:17], s[16:17], s[18:19]
	v_cndmask_b32_e64 v86, v93, v88, s[16:17]
	s_barrier
	ds_write2_b32 v68, v80, v81 offset1:1
	ds_write_b32 v68, v82 offset:8
	v_lshlrev_b32_e32 v80, 2, v83
	v_lshlrev_b32_e32 v82, 2, v89
	;; [unrolled: 1-line block ×3, first 2 shown]
	s_waitcnt lgkmcnt(0)
	s_barrier
	ds_read_b32 v81, v80
	ds_read_b32 v82, v82
	;; [unrolled: 1-line block ×3, first 2 shown]
	v_mov_b32_e32 v80, v62
	v_cndmask_b32_e64 v85, v91, v92, s[16:17]
	s_waitcnt lgkmcnt(0)
	s_barrier
	ds_write2_b32 v68, v84, v87 offset1:1
	ds_write_b32 v68, v85 offset:8
	s_waitcnt lgkmcnt(0)
	s_barrier
	s_and_saveexec_b64 s[18:19], s[14:15]
	s_cbranch_execz .LBB35_102
; %bb.99:                               ;   in Loop: Header=BB35_2 Depth=1
	s_mov_b64 s[20:21], 0
	v_mov_b32_e32 v80, v62
	v_mov_b32_e32 v84, v63
.LBB35_100:                             ;   Parent Loop BB35_2 Depth=1
                                        ; =>  This Inner Loop Header: Depth=2
	v_sub_u32_e32 v85, v84, v80
	v_lshrrev_b32_e32 v86, 31, v85
	v_add_u32_e32 v85, v85, v86
	v_ashrrev_i32_e32 v85, 1, v85
	v_add_u32_e32 v85, v85, v80
	v_xad_u32 v87, v85, -1, v60
	v_lshlrev_b32_e32 v86, 2, v85
	v_lshl_add_u32 v87, v87, 2, v79
	ds_read_b32 v86, v86
	ds_read_b32 v87, v87
	v_add_u32_e32 v88, 1, v85
	s_waitcnt lgkmcnt(0)
	v_cmp_lt_i32_e64 s[16:17], v87, v86
	s_nop 1
	v_cndmask_b32_e64 v84, v84, v85, s[16:17]
	v_cndmask_b32_e64 v80, v88, v80, s[16:17]
	v_cmp_ge_i32_e64 s[16:17], v80, v84
	s_or_b64 s[20:21], s[16:17], s[20:21]
	s_andn2_b64 exec, exec, s[20:21]
	s_cbranch_execnz .LBB35_100
; %bb.101:                              ;   in Loop: Header=BB35_2 Depth=1
	s_or_b64 exec, exec, s[20:21]
.LBB35_102:                             ;   in Loop: Header=BB35_2 Depth=1
	s_or_b64 exec, exec, s[18:19]
	v_sub_u32_e32 v84, v78, v80
	v_lshlrev_b32_e32 v90, 2, v80
	v_lshlrev_b32_e32 v85, 2, v84
	ds_read_b32 v86, v90
	ds_read_b32 v87, v85
	v_cmp_le_i32_e64 s[18:19], v61, v80
	v_cmp_gt_i32_e64 s[16:17], s33, v84
                                        ; implicit-def: $vgpr88
                                        ; implicit-def: $vgpr89
	s_waitcnt lgkmcnt(0)
	v_cmp_lt_i32_e64 s[20:21], v87, v86
	s_or_b64 s[18:19], s[18:19], s[20:21]
	s_and_b64 s[16:17], s[16:17], s[18:19]
	s_xor_b64 s[18:19], s[16:17], -1
	s_and_saveexec_b64 s[20:21], s[18:19]
	s_xor_b64 s[18:19], exec, s[20:21]
	s_cbranch_execz .LBB35_104
; %bb.103:                              ;   in Loop: Header=BB35_2 Depth=1
	ds_read_b32 v89, v90 offset:4
	v_mov_b32_e32 v88, v87
                                        ; implicit-def: $vgpr85
.LBB35_104:                             ;   in Loop: Header=BB35_2 Depth=1
	s_andn2_saveexec_b64 s[18:19], s[18:19]
	s_cbranch_execz .LBB35_106
; %bb.105:                              ;   in Loop: Header=BB35_2 Depth=1
	ds_read_b32 v88, v85 offset:4
	s_waitcnt lgkmcnt(1)
	v_mov_b32_e32 v89, v86
.LBB35_106:                             ;   in Loop: Header=BB35_2 Depth=1
	s_or_b64 exec, exec, s[18:19]
	v_add_u32_e32 v90, 1, v80
	v_add_u32_e32 v85, 1, v84
	v_cndmask_b32_e64 v90, v90, v80, s[16:17]
	v_cndmask_b32_e64 v85, v84, v85, s[16:17]
	v_cmp_ge_i32_e64 s[20:21], v90, v61
	s_waitcnt lgkmcnt(0)
	v_cmp_lt_i32_e64 s[22:23], v88, v89
	v_cmp_gt_i32_e64 s[18:19], s33, v85
	s_or_b64 s[20:21], s[20:21], s[22:23]
	s_and_b64 s[18:19], s[18:19], s[20:21]
	s_xor_b64 s[20:21], s[18:19], -1
                                        ; implicit-def: $vgpr92
                                        ; implicit-def: $vgpr91
	s_and_saveexec_b64 s[22:23], s[20:21]
	s_xor_b64 s[20:21], exec, s[22:23]
	s_cbranch_execz .LBB35_108
; %bb.107:                              ;   in Loop: Header=BB35_2 Depth=1
	v_lshlrev_b32_e32 v91, 2, v90
	ds_read_b32 v92, v91 offset:4
	v_add_u32_e32 v91, 1, v90
.LBB35_108:                             ;   in Loop: Header=BB35_2 Depth=1
	s_or_saveexec_b64 s[20:21], s[20:21]
	v_mov_b32_e32 v93, v90
	v_mov_b32_e32 v94, v88
	s_xor_b64 exec, exec, s[20:21]
	s_cbranch_execz .LBB35_1
; %bb.109:                              ;   in Loop: Header=BB35_2 Depth=1
	v_lshlrev_b32_e32 v91, 2, v85
	ds_read_b32 v94, v91 offset:4
	s_waitcnt lgkmcnt(1)
	v_add_u32_e32 v92, 1, v85
	v_mov_b32_e32 v93, v85
	v_mov_b32_e32 v91, v90
	;; [unrolled: 1-line block ×4, first 2 shown]
	s_branch .LBB35_1
.LBB35_110:
	s_add_u32 s0, s30, s34
	s_addc_u32 s1, s31, s35
	v_lshlrev_b32_e32 v0, 2, v0
	v_mov_b32_e32 v1, 0
	s_waitcnt lgkmcnt(2)
	v_add_u32_e32 v4, v81, v83
	v_lshl_add_u64 v[2:3], s[0:1], 0, v[0:1]
	s_waitcnt lgkmcnt(1)
	v_add_u32_e32 v5, v82, v85
	global_store_dword v0, v4, s[0:1]
	global_store_dword v0, v5, s[0:1] offset:2048
	v_add_co_u32_e32 v0, vcc, 0x1000, v2
	s_waitcnt lgkmcnt(0)
	v_add_u32_e32 v6, v80, v84
	v_addc_co_u32_e32 v1, vcc, 0, v3, vcc
	global_store_dword v[0:1], v6, off
	s_endpgm
	.section	.rodata,"a",@progbits
	.p2align	6, 0x0
	.amdhsa_kernel _Z17sort_pairs_kernelIiLj512ELj3EN10test_utils4lessELj10EEvPKT_PS2_T2_
		.amdhsa_group_segment_fixed_size 6148
		.amdhsa_private_segment_fixed_size 0
		.amdhsa_kernarg_size 20
		.amdhsa_user_sgpr_count 2
		.amdhsa_user_sgpr_dispatch_ptr 0
		.amdhsa_user_sgpr_queue_ptr 0
		.amdhsa_user_sgpr_kernarg_segment_ptr 1
		.amdhsa_user_sgpr_dispatch_id 0
		.amdhsa_user_sgpr_kernarg_preload_length 0
		.amdhsa_user_sgpr_kernarg_preload_offset 0
		.amdhsa_user_sgpr_private_segment_size 0
		.amdhsa_uses_dynamic_stack 0
		.amdhsa_enable_private_segment 0
		.amdhsa_system_sgpr_workgroup_id_x 1
		.amdhsa_system_sgpr_workgroup_id_y 0
		.amdhsa_system_sgpr_workgroup_id_z 0
		.amdhsa_system_sgpr_workgroup_info 0
		.amdhsa_system_vgpr_workitem_id 0
		.amdhsa_next_free_vgpr 95
		.amdhsa_next_free_sgpr 38
		.amdhsa_accum_offset 96
		.amdhsa_reserve_vcc 1
		.amdhsa_float_round_mode_32 0
		.amdhsa_float_round_mode_16_64 0
		.amdhsa_float_denorm_mode_32 3
		.amdhsa_float_denorm_mode_16_64 3
		.amdhsa_dx10_clamp 1
		.amdhsa_ieee_mode 1
		.amdhsa_fp16_overflow 0
		.amdhsa_tg_split 0
		.amdhsa_exception_fp_ieee_invalid_op 0
		.amdhsa_exception_fp_denorm_src 0
		.amdhsa_exception_fp_ieee_div_zero 0
		.amdhsa_exception_fp_ieee_overflow 0
		.amdhsa_exception_fp_ieee_underflow 0
		.amdhsa_exception_fp_ieee_inexact 0
		.amdhsa_exception_int_div_zero 0
	.end_amdhsa_kernel
	.section	.text._Z17sort_pairs_kernelIiLj512ELj3EN10test_utils4lessELj10EEvPKT_PS2_T2_,"axG",@progbits,_Z17sort_pairs_kernelIiLj512ELj3EN10test_utils4lessELj10EEvPKT_PS2_T2_,comdat
.Lfunc_end35:
	.size	_Z17sort_pairs_kernelIiLj512ELj3EN10test_utils4lessELj10EEvPKT_PS2_T2_, .Lfunc_end35-_Z17sort_pairs_kernelIiLj512ELj3EN10test_utils4lessELj10EEvPKT_PS2_T2_
                                        ; -- End function
	.section	.AMDGPU.csdata,"",@progbits
; Kernel info:
; codeLenInByte = 6824
; NumSgprs: 44
; NumVgprs: 95
; NumAgprs: 0
; TotalNumVgprs: 95
; ScratchSize: 0
; MemoryBound: 0
; FloatMode: 240
; IeeeMode: 1
; LDSByteSize: 6148 bytes/workgroup (compile time only)
; SGPRBlocks: 5
; VGPRBlocks: 11
; NumSGPRsForWavesPerEU: 44
; NumVGPRsForWavesPerEU: 95
; AccumOffset: 96
; Occupancy: 5
; WaveLimiterHint : 1
; COMPUTE_PGM_RSRC2:SCRATCH_EN: 0
; COMPUTE_PGM_RSRC2:USER_SGPR: 2
; COMPUTE_PGM_RSRC2:TRAP_HANDLER: 0
; COMPUTE_PGM_RSRC2:TGID_X_EN: 1
; COMPUTE_PGM_RSRC2:TGID_Y_EN: 0
; COMPUTE_PGM_RSRC2:TGID_Z_EN: 0
; COMPUTE_PGM_RSRC2:TIDIG_COMP_CNT: 0
; COMPUTE_PGM_RSRC3_GFX90A:ACCUM_OFFSET: 23
; COMPUTE_PGM_RSRC3_GFX90A:TG_SPLIT: 0
	.section	.text._Z16sort_keys_kernelIiLj512ELj4EN10test_utils4lessELj10EEvPKT_PS2_T2_,"axG",@progbits,_Z16sort_keys_kernelIiLj512ELj4EN10test_utils4lessELj10EEvPKT_PS2_T2_,comdat
	.protected	_Z16sort_keys_kernelIiLj512ELj4EN10test_utils4lessELj10EEvPKT_PS2_T2_ ; -- Begin function _Z16sort_keys_kernelIiLj512ELj4EN10test_utils4lessELj10EEvPKT_PS2_T2_
	.globl	_Z16sort_keys_kernelIiLj512ELj4EN10test_utils4lessELj10EEvPKT_PS2_T2_
	.p2align	8
	.type	_Z16sort_keys_kernelIiLj512ELj4EN10test_utils4lessELj10EEvPKT_PS2_T2_,@function
_Z16sort_keys_kernelIiLj512ELj4EN10test_utils4lessELj10EEvPKT_PS2_T2_: ; @_Z16sort_keys_kernelIiLj512ELj4EN10test_utils4lessELj10EEvPKT_PS2_T2_
; %bb.0:
	s_load_dwordx4 s[24:27], s[0:1], 0x0
	s_lshl_b32 s28, s2, 11
	s_mov_b32 s29, 0
	s_lshl_b64 s[30:31], s[28:29], 2
	v_mov_b32_e32 v3, 0
	s_waitcnt lgkmcnt(0)
	s_add_u32 s0, s24, s30
	s_addc_u32 s1, s25, s31
	v_lshlrev_b32_e32 v2, 2, v0
	v_lshl_add_u64 v[4:5], s[0:1], 0, v[2:3]
	s_movk_i32 s2, 0x1000
	v_add_co_u32_e32 v4, vcc, s2, v4
	v_and_b32_e32 v3, 0x7f8, v2
	s_nop 0
	v_addc_co_u32_e32 v5, vcc, 0, v5, vcc
	global_load_dword v80, v[4:5], off
	global_load_dword v81, v2, s[0:1] offset:2048
	global_load_dword v83, v2, s[0:1]
	global_load_dword v82, v[4:5], off offset:2048
	v_or_b32_e32 v5, 4, v3
	v_add_u32_e32 v6, 8, v3
	v_and_b32_e32 v4, 4, v2
	v_sub_u32_e32 v7, v6, v5
	v_sub_u32_e32 v9, v4, v7
	v_cmp_ge_i32_e32 vcc, v4, v7
	v_and_b32_e32 v10, 12, v2
	v_and_b32_e32 v16, 28, v2
	v_cndmask_b32_e32 v7, 0, v9, vcc
	v_and_b32_e32 v9, 0x7f0, v2
	v_or_b32_e32 v11, 8, v9
	v_add_u32_e32 v12, 16, v9
	v_sub_u32_e32 v13, v12, v11
	v_sub_u32_e32 v15, v10, v13
	v_cmp_ge_i32_e64 s[0:1], v10, v13
	v_and_b32_e32 v22, 60, v2
	v_and_b32_e32 v28, 0x7c, v2
	v_cndmask_b32_e64 v13, 0, v15, s[0:1]
	v_and_b32_e32 v15, 0x7e0, v2
	v_or_b32_e32 v17, 16, v15
	v_add_u32_e32 v18, 32, v15
	v_sub_u32_e32 v19, v18, v17
	v_sub_u32_e32 v21, v16, v19
	v_cmp_ge_i32_e64 s[2:3], v16, v19
	v_and_b32_e32 v34, 0xfc, v2
	v_and_b32_e32 v46, 0x400, v2
	v_cndmask_b32_e64 v19, 0, v21, s[2:3]
	v_and_b32_e32 v21, 0x7c0, v2
	v_or_b32_e32 v23, 32, v21
	v_add_u32_e32 v24, 64, v21
	v_sub_u32_e32 v25, v24, v23
	v_sub_u32_e32 v27, v22, v25
	v_cmp_ge_i32_e64 s[4:5], v22, v25
	v_and_b32_e32 v40, 0x1fc, v2
	v_or_b32_e32 v48, 0x200, v46
	v_cndmask_b32_e64 v25, 0, v27, s[4:5]
	v_and_b32_e32 v27, 0x780, v2
	v_or_b32_e32 v29, 64, v27
	v_add_u32_e32 v30, 0x80, v27
	v_sub_u32_e32 v31, v30, v29
	v_sub_u32_e32 v33, v28, v31
	v_cmp_ge_i32_e64 s[6:7], v28, v31
	v_add_u32_e32 v49, 0x400, v46
	v_and_b32_e32 v47, 0x3fc, v2
	v_cndmask_b32_e64 v31, 0, v33, s[6:7]
	v_and_b32_e32 v33, 0x700, v2
	v_or_b32_e32 v35, 0x80, v33
	v_add_u32_e32 v36, 0x100, v33
	v_sub_u32_e32 v37, v36, v35
	v_sub_u32_e32 v39, v34, v37
	v_cmp_ge_i32_e64 s[8:9], v34, v37
	v_sub_u32_e32 v50, v49, v48
	v_sub_u32_e32 v8, v5, v3
	v_cndmask_b32_e64 v37, 0, v39, s[8:9]
	v_and_b32_e32 v39, 0x600, v2
	v_or_b32_e32 v41, 0x100, v39
	v_add_u32_e32 v42, 0x200, v39
	v_sub_u32_e32 v43, v42, v41
	v_sub_u32_e32 v45, v40, v43
	v_cmp_ge_i32_e64 s[10:11], v40, v43
	v_sub_u32_e32 v14, v11, v9
	v_sub_u32_e32 v20, v17, v15
	;; [unrolled: 1-line block ×6, first 2 shown]
	v_cndmask_b32_e64 v43, 0, v45, s[10:11]
	v_mov_b32_e32 v45, 0x400
	v_sub_u32_e32 v51, v48, v46
	v_sub_u32_e32 v52, v47, v50
	v_cmp_ge_i32_e64 s[12:13], v47, v50
	v_min_i32_e32 v8, v4, v8
	v_min_i32_e32 v14, v10, v14
	;; [unrolled: 1-line block ×7, first 2 shown]
	v_cndmask_b32_e64 v50, 0, v52, s[12:13]
	v_min_i32_e32 v51, v47, v51
	v_sub_u32_e64 v52, v2, v45 clamp
	v_min_i32_e32 v53, 0x400, v2
	v_lshlrev_b32_e32 v1, 4, v0
	v_cmp_lt_i32_e32 vcc, v7, v8
	v_cmp_lt_i32_e64 s[0:1], v13, v14
	v_cmp_lt_i32_e64 s[2:3], v19, v20
	;; [unrolled: 1-line block ×8, first 2 shown]
	s_movk_i32 s28, 0x800
	v_lshlrev_b32_e32 v54, 2, v3
	v_lshlrev_b32_e32 v55, 2, v5
	v_add_u32_e32 v56, v5, v4
	v_lshlrev_b32_e32 v57, 2, v9
	v_lshlrev_b32_e32 v58, 2, v11
	v_add_u32_e32 v59, v11, v10
	;; [unrolled: 3-line block ×8, first 2 shown]
	v_mov_b32_e32 v78, 0x1000
	v_add_u32_e32 v79, 0x400, v2
	s_branch .LBB36_2
.LBB36_1:                               ;   in Loop: Header=BB36_2 Depth=1
	s_or_b64 exec, exec, s[22:23]
	v_cndmask_b32_e64 v83, v80, v81, s[16:17]
	v_cndmask_b32_e64 v81, v84, v82, s[18:19]
	;; [unrolled: 1-line block ×3, first 2 shown]
	v_cmp_ge_i32_e64 s[18:19], v89, v45
	s_waitcnt lgkmcnt(0)
	v_cmp_lt_i32_e64 s[20:21], v90, v88
	v_cmp_gt_i32_e64 s[16:17], s28, v87
	s_or_b64 s[18:19], s[18:19], s[20:21]
	s_add_i32 s29, s29, 1
	s_and_b64 s[16:17], s[16:17], s[18:19]
	s_cmp_eq_u32 s29, 10
	v_cndmask_b32_e64 v82, v88, v90, s[16:17]
	s_cbranch_scc1 .LBB36_146
.LBB36_2:                               ; =>This Loop Header: Depth=1
                                        ;     Child Loop BB36_4 Depth 2
                                        ;     Child Loop BB36_20 Depth 2
	;; [unrolled: 1-line block ×9, first 2 shown]
	s_waitcnt vmcnt(1)
	v_cmp_lt_i32_e64 s[16:17], v81, v83
	v_min_i32_e32 v86, v81, v83
	s_waitcnt vmcnt(0)
	v_max_i32_e32 v88, v82, v80
	v_cndmask_b32_e64 v84, v83, v81, s[16:17]
	v_cndmask_b32_e64 v85, v81, v83, s[16:17]
	v_cmp_lt_i32_e64 s[16:17], v82, v80
	v_max_i32_e32 v81, v81, v83
	s_nop 0
	v_cndmask_b32_e64 v83, v82, v80, s[16:17]
	v_cndmask_b32_e64 v87, v80, v82, s[16:17]
	v_min_i32_e32 v80, v82, v80
	v_cmp_lt_i32_e64 s[16:17], v80, v81
	v_min_i32_e32 v89, v80, v81
	s_barrier
	v_cndmask_b32_e64 v82, v87, v81, s[16:17]
	v_cndmask_b32_e64 v85, v85, v80, s[16:17]
	v_cmp_lt_i32_e64 s[16:17], v80, v86
	v_max_i32_e32 v87, v80, v81
	s_nop 0
	v_cndmask_b32_e64 v80, v84, v89, s[16:17]
	v_cndmask_b32_e64 v84, v85, v86, s[16:17]
	;; [unrolled: 1-line block ×3, first 2 shown]
	v_cmp_gt_i32_e64 s[16:17], v81, v88
	s_nop 1
	v_cndmask_b32_e64 v81, v83, v87, s[16:17]
	v_cndmask_b32_e64 v83, v87, v88, s[16:17]
	;; [unrolled: 1-line block ×3, first 2 shown]
	v_cmp_lt_i32_e64 s[16:17], v83, v85
	s_nop 1
	v_cndmask_b32_e64 v82, v82, v85, s[16:17]
	v_cndmask_b32_e64 v83, v84, v83, s[16:17]
	ds_write2_b32 v1, v80, v83 offset1:1
	ds_write2_b32 v1, v82, v81 offset0:2 offset1:3
	v_mov_b32_e32 v82, v7
	s_waitcnt lgkmcnt(0)
	s_barrier
	s_and_saveexec_b64 s[18:19], vcc
	s_cbranch_execz .LBB36_6
; %bb.3:                                ;   in Loop: Header=BB36_2 Depth=1
	s_mov_b64 s[20:21], 0
	v_mov_b32_e32 v82, v7
	v_mov_b32_e32 v80, v8
.LBB36_4:                               ;   Parent Loop BB36_2 Depth=1
                                        ; =>  This Inner Loop Header: Depth=2
	v_sub_u32_e32 v81, v80, v82
	v_lshrrev_b32_e32 v83, 31, v81
	v_add_u32_e32 v81, v81, v83
	v_ashrrev_i32_e32 v81, 1, v81
	v_add_u32_e32 v81, v81, v82
	v_xad_u32 v84, v81, -1, v4
	v_lshl_add_u32 v83, v81, 2, v54
	v_lshl_add_u32 v84, v84, 2, v55
	ds_read_b32 v83, v83
	ds_read_b32 v84, v84
	v_add_u32_e32 v85, 1, v81
	s_waitcnt lgkmcnt(0)
	v_cmp_lt_i32_e64 s[16:17], v84, v83
	s_nop 1
	v_cndmask_b32_e64 v80, v80, v81, s[16:17]
	v_cndmask_b32_e64 v82, v85, v82, s[16:17]
	v_cmp_ge_i32_e64 s[16:17], v82, v80
	s_or_b64 s[20:21], s[16:17], s[20:21]
	s_andn2_b64 exec, exec, s[20:21]
	s_cbranch_execnz .LBB36_4
; %bb.5:                                ;   in Loop: Header=BB36_2 Depth=1
	s_or_b64 exec, exec, s[20:21]
.LBB36_6:                               ;   in Loop: Header=BB36_2 Depth=1
	s_or_b64 exec, exec, s[18:19]
	v_sub_u32_e32 v84, v56, v82
	v_lshl_add_u32 v87, v82, 2, v54
	v_lshlrev_b32_e32 v86, 2, v84
	ds_read_b32 v80, v87
	ds_read_b32 v81, v86
	v_add_u32_e32 v85, v82, v3
	v_cmp_le_i32_e64 s[18:19], v5, v85
	v_cmp_gt_i32_e64 s[16:17], v6, v84
                                        ; implicit-def: $vgpr82
                                        ; implicit-def: $vgpr83
	s_waitcnt lgkmcnt(0)
	v_cmp_lt_i32_e64 s[20:21], v81, v80
	s_or_b64 s[18:19], s[18:19], s[20:21]
	s_and_b64 s[16:17], s[16:17], s[18:19]
	s_xor_b64 s[18:19], s[16:17], -1
	s_and_saveexec_b64 s[20:21], s[18:19]
	s_xor_b64 s[18:19], exec, s[20:21]
	s_cbranch_execz .LBB36_8
; %bb.7:                                ;   in Loop: Header=BB36_2 Depth=1
	ds_read_b32 v83, v87 offset:4
	v_mov_b32_e32 v82, v81
                                        ; implicit-def: $vgpr86
.LBB36_8:                               ;   in Loop: Header=BB36_2 Depth=1
	s_andn2_saveexec_b64 s[18:19], s[18:19]
	s_cbranch_execz .LBB36_10
; %bb.9:                                ;   in Loop: Header=BB36_2 Depth=1
	ds_read_b32 v82, v86 offset:4
	s_waitcnt lgkmcnt(1)
	v_mov_b32_e32 v83, v80
.LBB36_10:                              ;   in Loop: Header=BB36_2 Depth=1
	s_or_b64 exec, exec, s[18:19]
	v_add_u32_e32 v87, 1, v85
	v_add_u32_e32 v86, 1, v84
	v_cndmask_b32_e64 v87, v87, v85, s[16:17]
	v_cndmask_b32_e64 v86, v84, v86, s[16:17]
	v_cmp_ge_i32_e64 s[20:21], v87, v5
	s_waitcnt lgkmcnt(0)
	v_cmp_lt_i32_e64 s[22:23], v82, v83
	v_cmp_lt_i32_e64 s[18:19], v86, v6
	s_or_b64 s[20:21], s[20:21], s[22:23]
	s_and_b64 s[18:19], s[18:19], s[20:21]
	s_xor_b64 s[20:21], s[18:19], -1
                                        ; implicit-def: $vgpr84
	s_and_saveexec_b64 s[22:23], s[20:21]
	s_xor_b64 s[20:21], exec, s[22:23]
	s_cbranch_execz .LBB36_12
; %bb.11:                               ;   in Loop: Header=BB36_2 Depth=1
	v_lshlrev_b32_e32 v84, 2, v87
	ds_read_b32 v84, v84 offset:4
.LBB36_12:                              ;   in Loop: Header=BB36_2 Depth=1
	s_or_saveexec_b64 s[20:21], s[20:21]
	v_mov_b32_e32 v85, v82
	s_xor_b64 exec, exec, s[20:21]
	s_cbranch_execz .LBB36_14
; %bb.13:                               ;   in Loop: Header=BB36_2 Depth=1
	s_waitcnt lgkmcnt(0)
	v_lshlrev_b32_e32 v84, 2, v86
	ds_read_b32 v85, v84 offset:4
	v_mov_b32_e32 v84, v83
.LBB36_14:                              ;   in Loop: Header=BB36_2 Depth=1
	s_or_b64 exec, exec, s[20:21]
	v_add_u32_e32 v89, 1, v87
	v_add_u32_e32 v88, 1, v86
	v_cndmask_b32_e64 v87, v89, v87, s[18:19]
	v_cndmask_b32_e64 v86, v86, v88, s[18:19]
	v_cmp_ge_i32_e64 s[22:23], v87, v5
	s_waitcnt lgkmcnt(0)
	v_cmp_lt_i32_e64 s[24:25], v85, v84
	v_cmp_lt_i32_e64 s[20:21], v86, v6
	s_or_b64 s[22:23], s[22:23], s[24:25]
	s_and_b64 s[20:21], s[20:21], s[22:23]
	s_xor_b64 s[22:23], s[20:21], -1
                                        ; implicit-def: $vgpr88
	s_and_saveexec_b64 s[24:25], s[22:23]
	s_xor_b64 s[22:23], exec, s[24:25]
	s_cbranch_execz .LBB36_16
; %bb.15:                               ;   in Loop: Header=BB36_2 Depth=1
	v_lshlrev_b32_e32 v88, 2, v87
	ds_read_b32 v88, v88 offset:4
.LBB36_16:                              ;   in Loop: Header=BB36_2 Depth=1
	s_or_saveexec_b64 s[22:23], s[22:23]
	v_mov_b32_e32 v89, v85
	s_xor_b64 exec, exec, s[22:23]
	s_cbranch_execz .LBB36_18
; %bb.17:                               ;   in Loop: Header=BB36_2 Depth=1
	s_waitcnt lgkmcnt(0)
	v_lshlrev_b32_e32 v88, 2, v86
	ds_read_b32 v89, v88 offset:4
	v_mov_b32_e32 v88, v84
.LBB36_18:                              ;   in Loop: Header=BB36_2 Depth=1
	s_or_b64 exec, exec, s[22:23]
	v_cndmask_b32_e64 v84, v84, v85, s[20:21]
	v_add_u32_e32 v85, 1, v86
	v_add_u32_e32 v90, 1, v87
	v_cndmask_b32_e64 v85, v86, v85, s[20:21]
	v_cndmask_b32_e64 v86, v90, v87, s[20:21]
	v_cndmask_b32_e64 v82, v83, v82, s[18:19]
	v_cmp_ge_i32_e64 s[18:19], v86, v5
	s_waitcnt lgkmcnt(0)
	v_cmp_lt_i32_e64 s[20:21], v89, v88
	v_cndmask_b32_e64 v80, v80, v81, s[16:17]
	v_cmp_lt_i32_e64 s[16:17], v85, v6
	s_or_b64 s[18:19], s[18:19], s[20:21]
	s_and_b64 s[16:17], s[16:17], s[18:19]
	v_cndmask_b32_e64 v81, v88, v89, s[16:17]
	s_barrier
	ds_write2_b32 v1, v80, v82 offset1:1
	ds_write2_b32 v1, v84, v81 offset0:2 offset1:3
	v_mov_b32_e32 v82, v13
	s_waitcnt lgkmcnt(0)
	s_barrier
	s_and_saveexec_b64 s[18:19], s[0:1]
	s_cbranch_execz .LBB36_22
; %bb.19:                               ;   in Loop: Header=BB36_2 Depth=1
	s_mov_b64 s[20:21], 0
	v_mov_b32_e32 v82, v13
	v_mov_b32_e32 v80, v14
.LBB36_20:                              ;   Parent Loop BB36_2 Depth=1
                                        ; =>  This Inner Loop Header: Depth=2
	v_sub_u32_e32 v81, v80, v82
	v_lshrrev_b32_e32 v83, 31, v81
	v_add_u32_e32 v81, v81, v83
	v_ashrrev_i32_e32 v81, 1, v81
	v_add_u32_e32 v81, v81, v82
	v_xad_u32 v84, v81, -1, v10
	v_lshl_add_u32 v83, v81, 2, v57
	v_lshl_add_u32 v84, v84, 2, v58
	ds_read_b32 v83, v83
	ds_read_b32 v84, v84
	v_add_u32_e32 v85, 1, v81
	s_waitcnt lgkmcnt(0)
	v_cmp_lt_i32_e64 s[16:17], v84, v83
	s_nop 1
	v_cndmask_b32_e64 v80, v80, v81, s[16:17]
	v_cndmask_b32_e64 v82, v85, v82, s[16:17]
	v_cmp_ge_i32_e64 s[16:17], v82, v80
	s_or_b64 s[20:21], s[16:17], s[20:21]
	s_andn2_b64 exec, exec, s[20:21]
	s_cbranch_execnz .LBB36_20
; %bb.21:                               ;   in Loop: Header=BB36_2 Depth=1
	s_or_b64 exec, exec, s[20:21]
.LBB36_22:                              ;   in Loop: Header=BB36_2 Depth=1
	s_or_b64 exec, exec, s[18:19]
	v_sub_u32_e32 v84, v59, v82
	v_lshl_add_u32 v87, v82, 2, v57
	v_lshlrev_b32_e32 v86, 2, v84
	ds_read_b32 v80, v87
	ds_read_b32 v81, v86
	v_add_u32_e32 v85, v82, v9
	v_cmp_le_i32_e64 s[18:19], v11, v85
	v_cmp_gt_i32_e64 s[16:17], v12, v84
                                        ; implicit-def: $vgpr82
                                        ; implicit-def: $vgpr83
	s_waitcnt lgkmcnt(0)
	v_cmp_lt_i32_e64 s[20:21], v81, v80
	s_or_b64 s[18:19], s[18:19], s[20:21]
	s_and_b64 s[16:17], s[16:17], s[18:19]
	s_xor_b64 s[18:19], s[16:17], -1
	s_and_saveexec_b64 s[20:21], s[18:19]
	s_xor_b64 s[18:19], exec, s[20:21]
	s_cbranch_execz .LBB36_24
; %bb.23:                               ;   in Loop: Header=BB36_2 Depth=1
	ds_read_b32 v83, v87 offset:4
	v_mov_b32_e32 v82, v81
                                        ; implicit-def: $vgpr86
.LBB36_24:                              ;   in Loop: Header=BB36_2 Depth=1
	s_andn2_saveexec_b64 s[18:19], s[18:19]
	s_cbranch_execz .LBB36_26
; %bb.25:                               ;   in Loop: Header=BB36_2 Depth=1
	ds_read_b32 v82, v86 offset:4
	s_waitcnt lgkmcnt(1)
	v_mov_b32_e32 v83, v80
.LBB36_26:                              ;   in Loop: Header=BB36_2 Depth=1
	s_or_b64 exec, exec, s[18:19]
	v_add_u32_e32 v87, 1, v85
	v_add_u32_e32 v86, 1, v84
	v_cndmask_b32_e64 v87, v87, v85, s[16:17]
	v_cndmask_b32_e64 v86, v84, v86, s[16:17]
	v_cmp_ge_i32_e64 s[20:21], v87, v11
	s_waitcnt lgkmcnt(0)
	v_cmp_lt_i32_e64 s[22:23], v82, v83
	v_cmp_lt_i32_e64 s[18:19], v86, v12
	s_or_b64 s[20:21], s[20:21], s[22:23]
	s_and_b64 s[18:19], s[18:19], s[20:21]
	s_xor_b64 s[20:21], s[18:19], -1
                                        ; implicit-def: $vgpr84
	s_and_saveexec_b64 s[22:23], s[20:21]
	s_xor_b64 s[20:21], exec, s[22:23]
	s_cbranch_execz .LBB36_28
; %bb.27:                               ;   in Loop: Header=BB36_2 Depth=1
	v_lshlrev_b32_e32 v84, 2, v87
	ds_read_b32 v84, v84 offset:4
.LBB36_28:                              ;   in Loop: Header=BB36_2 Depth=1
	s_or_saveexec_b64 s[20:21], s[20:21]
	v_mov_b32_e32 v85, v82
	s_xor_b64 exec, exec, s[20:21]
	s_cbranch_execz .LBB36_30
; %bb.29:                               ;   in Loop: Header=BB36_2 Depth=1
	s_waitcnt lgkmcnt(0)
	v_lshlrev_b32_e32 v84, 2, v86
	ds_read_b32 v85, v84 offset:4
	v_mov_b32_e32 v84, v83
.LBB36_30:                              ;   in Loop: Header=BB36_2 Depth=1
	s_or_b64 exec, exec, s[20:21]
	v_add_u32_e32 v89, 1, v87
	v_add_u32_e32 v88, 1, v86
	v_cndmask_b32_e64 v87, v89, v87, s[18:19]
	v_cndmask_b32_e64 v86, v86, v88, s[18:19]
	v_cmp_ge_i32_e64 s[22:23], v87, v11
	s_waitcnt lgkmcnt(0)
	v_cmp_lt_i32_e64 s[24:25], v85, v84
	v_cmp_lt_i32_e64 s[20:21], v86, v12
	s_or_b64 s[22:23], s[22:23], s[24:25]
	s_and_b64 s[20:21], s[20:21], s[22:23]
	s_xor_b64 s[22:23], s[20:21], -1
                                        ; implicit-def: $vgpr88
	s_and_saveexec_b64 s[24:25], s[22:23]
	s_xor_b64 s[22:23], exec, s[24:25]
	s_cbranch_execz .LBB36_32
; %bb.31:                               ;   in Loop: Header=BB36_2 Depth=1
	v_lshlrev_b32_e32 v88, 2, v87
	ds_read_b32 v88, v88 offset:4
.LBB36_32:                              ;   in Loop: Header=BB36_2 Depth=1
	s_or_saveexec_b64 s[22:23], s[22:23]
	v_mov_b32_e32 v89, v85
	s_xor_b64 exec, exec, s[22:23]
	s_cbranch_execz .LBB36_34
; %bb.33:                               ;   in Loop: Header=BB36_2 Depth=1
	s_waitcnt lgkmcnt(0)
	v_lshlrev_b32_e32 v88, 2, v86
	ds_read_b32 v89, v88 offset:4
	v_mov_b32_e32 v88, v84
.LBB36_34:                              ;   in Loop: Header=BB36_2 Depth=1
	s_or_b64 exec, exec, s[22:23]
	v_cndmask_b32_e64 v84, v84, v85, s[20:21]
	v_add_u32_e32 v85, 1, v86
	v_add_u32_e32 v90, 1, v87
	v_cndmask_b32_e64 v85, v86, v85, s[20:21]
	v_cndmask_b32_e64 v86, v90, v87, s[20:21]
	;; [unrolled: 1-line block ×3, first 2 shown]
	v_cmp_ge_i32_e64 s[18:19], v86, v11
	s_waitcnt lgkmcnt(0)
	v_cmp_lt_i32_e64 s[20:21], v89, v88
	v_cndmask_b32_e64 v80, v80, v81, s[16:17]
	v_cmp_lt_i32_e64 s[16:17], v85, v12
	s_or_b64 s[18:19], s[18:19], s[20:21]
	s_and_b64 s[16:17], s[16:17], s[18:19]
	v_cndmask_b32_e64 v81, v88, v89, s[16:17]
	s_barrier
	ds_write2_b32 v1, v80, v82 offset1:1
	ds_write2_b32 v1, v84, v81 offset0:2 offset1:3
	v_mov_b32_e32 v82, v19
	s_waitcnt lgkmcnt(0)
	s_barrier
	s_and_saveexec_b64 s[18:19], s[2:3]
	s_cbranch_execz .LBB36_38
; %bb.35:                               ;   in Loop: Header=BB36_2 Depth=1
	s_mov_b64 s[20:21], 0
	v_mov_b32_e32 v82, v19
	v_mov_b32_e32 v80, v20
.LBB36_36:                              ;   Parent Loop BB36_2 Depth=1
                                        ; =>  This Inner Loop Header: Depth=2
	v_sub_u32_e32 v81, v80, v82
	v_lshrrev_b32_e32 v83, 31, v81
	v_add_u32_e32 v81, v81, v83
	v_ashrrev_i32_e32 v81, 1, v81
	v_add_u32_e32 v81, v81, v82
	v_xad_u32 v84, v81, -1, v16
	v_lshl_add_u32 v83, v81, 2, v60
	v_lshl_add_u32 v84, v84, 2, v61
	ds_read_b32 v83, v83
	ds_read_b32 v84, v84
	v_add_u32_e32 v85, 1, v81
	s_waitcnt lgkmcnt(0)
	v_cmp_lt_i32_e64 s[16:17], v84, v83
	s_nop 1
	v_cndmask_b32_e64 v80, v80, v81, s[16:17]
	v_cndmask_b32_e64 v82, v85, v82, s[16:17]
	v_cmp_ge_i32_e64 s[16:17], v82, v80
	s_or_b64 s[20:21], s[16:17], s[20:21]
	s_andn2_b64 exec, exec, s[20:21]
	s_cbranch_execnz .LBB36_36
; %bb.37:                               ;   in Loop: Header=BB36_2 Depth=1
	s_or_b64 exec, exec, s[20:21]
.LBB36_38:                              ;   in Loop: Header=BB36_2 Depth=1
	s_or_b64 exec, exec, s[18:19]
	v_sub_u32_e32 v84, v62, v82
	v_lshl_add_u32 v87, v82, 2, v60
	v_lshlrev_b32_e32 v86, 2, v84
	ds_read_b32 v80, v87
	ds_read_b32 v81, v86
	v_add_u32_e32 v85, v82, v15
	v_cmp_le_i32_e64 s[18:19], v17, v85
	v_cmp_gt_i32_e64 s[16:17], v18, v84
                                        ; implicit-def: $vgpr82
                                        ; implicit-def: $vgpr83
	s_waitcnt lgkmcnt(0)
	v_cmp_lt_i32_e64 s[20:21], v81, v80
	s_or_b64 s[18:19], s[18:19], s[20:21]
	s_and_b64 s[16:17], s[16:17], s[18:19]
	s_xor_b64 s[18:19], s[16:17], -1
	s_and_saveexec_b64 s[20:21], s[18:19]
	s_xor_b64 s[18:19], exec, s[20:21]
	s_cbranch_execz .LBB36_40
; %bb.39:                               ;   in Loop: Header=BB36_2 Depth=1
	ds_read_b32 v83, v87 offset:4
	v_mov_b32_e32 v82, v81
                                        ; implicit-def: $vgpr86
.LBB36_40:                              ;   in Loop: Header=BB36_2 Depth=1
	s_andn2_saveexec_b64 s[18:19], s[18:19]
	s_cbranch_execz .LBB36_42
; %bb.41:                               ;   in Loop: Header=BB36_2 Depth=1
	ds_read_b32 v82, v86 offset:4
	s_waitcnt lgkmcnt(1)
	v_mov_b32_e32 v83, v80
.LBB36_42:                              ;   in Loop: Header=BB36_2 Depth=1
	s_or_b64 exec, exec, s[18:19]
	v_add_u32_e32 v87, 1, v85
	v_add_u32_e32 v86, 1, v84
	v_cndmask_b32_e64 v87, v87, v85, s[16:17]
	v_cndmask_b32_e64 v86, v84, v86, s[16:17]
	v_cmp_ge_i32_e64 s[20:21], v87, v17
	s_waitcnt lgkmcnt(0)
	v_cmp_lt_i32_e64 s[22:23], v82, v83
	v_cmp_lt_i32_e64 s[18:19], v86, v18
	s_or_b64 s[20:21], s[20:21], s[22:23]
	s_and_b64 s[18:19], s[18:19], s[20:21]
	s_xor_b64 s[20:21], s[18:19], -1
                                        ; implicit-def: $vgpr84
	s_and_saveexec_b64 s[22:23], s[20:21]
	s_xor_b64 s[20:21], exec, s[22:23]
	s_cbranch_execz .LBB36_44
; %bb.43:                               ;   in Loop: Header=BB36_2 Depth=1
	v_lshlrev_b32_e32 v84, 2, v87
	ds_read_b32 v84, v84 offset:4
.LBB36_44:                              ;   in Loop: Header=BB36_2 Depth=1
	s_or_saveexec_b64 s[20:21], s[20:21]
	v_mov_b32_e32 v85, v82
	s_xor_b64 exec, exec, s[20:21]
	s_cbranch_execz .LBB36_46
; %bb.45:                               ;   in Loop: Header=BB36_2 Depth=1
	s_waitcnt lgkmcnt(0)
	v_lshlrev_b32_e32 v84, 2, v86
	ds_read_b32 v85, v84 offset:4
	v_mov_b32_e32 v84, v83
.LBB36_46:                              ;   in Loop: Header=BB36_2 Depth=1
	s_or_b64 exec, exec, s[20:21]
	v_add_u32_e32 v89, 1, v87
	v_add_u32_e32 v88, 1, v86
	v_cndmask_b32_e64 v87, v89, v87, s[18:19]
	v_cndmask_b32_e64 v86, v86, v88, s[18:19]
	v_cmp_ge_i32_e64 s[22:23], v87, v17
	s_waitcnt lgkmcnt(0)
	v_cmp_lt_i32_e64 s[24:25], v85, v84
	v_cmp_lt_i32_e64 s[20:21], v86, v18
	s_or_b64 s[22:23], s[22:23], s[24:25]
	s_and_b64 s[20:21], s[20:21], s[22:23]
	s_xor_b64 s[22:23], s[20:21], -1
                                        ; implicit-def: $vgpr88
	s_and_saveexec_b64 s[24:25], s[22:23]
	s_xor_b64 s[22:23], exec, s[24:25]
	s_cbranch_execz .LBB36_48
; %bb.47:                               ;   in Loop: Header=BB36_2 Depth=1
	v_lshlrev_b32_e32 v88, 2, v87
	ds_read_b32 v88, v88 offset:4
.LBB36_48:                              ;   in Loop: Header=BB36_2 Depth=1
	s_or_saveexec_b64 s[22:23], s[22:23]
	v_mov_b32_e32 v89, v85
	s_xor_b64 exec, exec, s[22:23]
	s_cbranch_execz .LBB36_50
; %bb.49:                               ;   in Loop: Header=BB36_2 Depth=1
	s_waitcnt lgkmcnt(0)
	v_lshlrev_b32_e32 v88, 2, v86
	ds_read_b32 v89, v88 offset:4
	v_mov_b32_e32 v88, v84
.LBB36_50:                              ;   in Loop: Header=BB36_2 Depth=1
	s_or_b64 exec, exec, s[22:23]
	v_cndmask_b32_e64 v84, v84, v85, s[20:21]
	v_add_u32_e32 v85, 1, v86
	v_add_u32_e32 v90, 1, v87
	v_cndmask_b32_e64 v85, v86, v85, s[20:21]
	v_cndmask_b32_e64 v86, v90, v87, s[20:21]
	;; [unrolled: 1-line block ×3, first 2 shown]
	v_cmp_ge_i32_e64 s[18:19], v86, v17
	s_waitcnt lgkmcnt(0)
	v_cmp_lt_i32_e64 s[20:21], v89, v88
	v_cndmask_b32_e64 v80, v80, v81, s[16:17]
	v_cmp_lt_i32_e64 s[16:17], v85, v18
	s_or_b64 s[18:19], s[18:19], s[20:21]
	s_and_b64 s[16:17], s[16:17], s[18:19]
	v_cndmask_b32_e64 v81, v88, v89, s[16:17]
	s_barrier
	ds_write2_b32 v1, v80, v82 offset1:1
	ds_write2_b32 v1, v84, v81 offset0:2 offset1:3
	v_mov_b32_e32 v82, v25
	s_waitcnt lgkmcnt(0)
	s_barrier
	s_and_saveexec_b64 s[18:19], s[4:5]
	s_cbranch_execz .LBB36_54
; %bb.51:                               ;   in Loop: Header=BB36_2 Depth=1
	s_mov_b64 s[20:21], 0
	v_mov_b32_e32 v82, v25
	v_mov_b32_e32 v80, v26
.LBB36_52:                              ;   Parent Loop BB36_2 Depth=1
                                        ; =>  This Inner Loop Header: Depth=2
	v_sub_u32_e32 v81, v80, v82
	v_lshrrev_b32_e32 v83, 31, v81
	v_add_u32_e32 v81, v81, v83
	v_ashrrev_i32_e32 v81, 1, v81
	v_add_u32_e32 v81, v81, v82
	v_xad_u32 v84, v81, -1, v22
	v_lshl_add_u32 v83, v81, 2, v63
	v_lshl_add_u32 v84, v84, 2, v64
	ds_read_b32 v83, v83
	ds_read_b32 v84, v84
	v_add_u32_e32 v85, 1, v81
	s_waitcnt lgkmcnt(0)
	v_cmp_lt_i32_e64 s[16:17], v84, v83
	s_nop 1
	v_cndmask_b32_e64 v80, v80, v81, s[16:17]
	v_cndmask_b32_e64 v82, v85, v82, s[16:17]
	v_cmp_ge_i32_e64 s[16:17], v82, v80
	s_or_b64 s[20:21], s[16:17], s[20:21]
	s_andn2_b64 exec, exec, s[20:21]
	s_cbranch_execnz .LBB36_52
; %bb.53:                               ;   in Loop: Header=BB36_2 Depth=1
	s_or_b64 exec, exec, s[20:21]
.LBB36_54:                              ;   in Loop: Header=BB36_2 Depth=1
	s_or_b64 exec, exec, s[18:19]
	v_sub_u32_e32 v84, v65, v82
	v_lshl_add_u32 v87, v82, 2, v63
	v_lshlrev_b32_e32 v86, 2, v84
	ds_read_b32 v80, v87
	ds_read_b32 v81, v86
	v_add_u32_e32 v85, v82, v21
	v_cmp_le_i32_e64 s[18:19], v23, v85
	v_cmp_gt_i32_e64 s[16:17], v24, v84
                                        ; implicit-def: $vgpr82
                                        ; implicit-def: $vgpr83
	s_waitcnt lgkmcnt(0)
	v_cmp_lt_i32_e64 s[20:21], v81, v80
	s_or_b64 s[18:19], s[18:19], s[20:21]
	s_and_b64 s[16:17], s[16:17], s[18:19]
	s_xor_b64 s[18:19], s[16:17], -1
	s_and_saveexec_b64 s[20:21], s[18:19]
	s_xor_b64 s[18:19], exec, s[20:21]
	s_cbranch_execz .LBB36_56
; %bb.55:                               ;   in Loop: Header=BB36_2 Depth=1
	ds_read_b32 v83, v87 offset:4
	v_mov_b32_e32 v82, v81
                                        ; implicit-def: $vgpr86
.LBB36_56:                              ;   in Loop: Header=BB36_2 Depth=1
	s_andn2_saveexec_b64 s[18:19], s[18:19]
	s_cbranch_execz .LBB36_58
; %bb.57:                               ;   in Loop: Header=BB36_2 Depth=1
	ds_read_b32 v82, v86 offset:4
	s_waitcnt lgkmcnt(1)
	v_mov_b32_e32 v83, v80
.LBB36_58:                              ;   in Loop: Header=BB36_2 Depth=1
	s_or_b64 exec, exec, s[18:19]
	v_add_u32_e32 v87, 1, v85
	v_add_u32_e32 v86, 1, v84
	v_cndmask_b32_e64 v87, v87, v85, s[16:17]
	v_cndmask_b32_e64 v86, v84, v86, s[16:17]
	v_cmp_ge_i32_e64 s[20:21], v87, v23
	s_waitcnt lgkmcnt(0)
	v_cmp_lt_i32_e64 s[22:23], v82, v83
	v_cmp_lt_i32_e64 s[18:19], v86, v24
	s_or_b64 s[20:21], s[20:21], s[22:23]
	s_and_b64 s[18:19], s[18:19], s[20:21]
	s_xor_b64 s[20:21], s[18:19], -1
                                        ; implicit-def: $vgpr84
	s_and_saveexec_b64 s[22:23], s[20:21]
	s_xor_b64 s[20:21], exec, s[22:23]
	s_cbranch_execz .LBB36_60
; %bb.59:                               ;   in Loop: Header=BB36_2 Depth=1
	v_lshlrev_b32_e32 v84, 2, v87
	ds_read_b32 v84, v84 offset:4
.LBB36_60:                              ;   in Loop: Header=BB36_2 Depth=1
	s_or_saveexec_b64 s[20:21], s[20:21]
	v_mov_b32_e32 v85, v82
	s_xor_b64 exec, exec, s[20:21]
	s_cbranch_execz .LBB36_62
; %bb.61:                               ;   in Loop: Header=BB36_2 Depth=1
	s_waitcnt lgkmcnt(0)
	v_lshlrev_b32_e32 v84, 2, v86
	ds_read_b32 v85, v84 offset:4
	v_mov_b32_e32 v84, v83
.LBB36_62:                              ;   in Loop: Header=BB36_2 Depth=1
	s_or_b64 exec, exec, s[20:21]
	v_add_u32_e32 v89, 1, v87
	v_add_u32_e32 v88, 1, v86
	v_cndmask_b32_e64 v87, v89, v87, s[18:19]
	v_cndmask_b32_e64 v86, v86, v88, s[18:19]
	v_cmp_ge_i32_e64 s[22:23], v87, v23
	s_waitcnt lgkmcnt(0)
	v_cmp_lt_i32_e64 s[24:25], v85, v84
	v_cmp_lt_i32_e64 s[20:21], v86, v24
	s_or_b64 s[22:23], s[22:23], s[24:25]
	s_and_b64 s[20:21], s[20:21], s[22:23]
	s_xor_b64 s[22:23], s[20:21], -1
                                        ; implicit-def: $vgpr88
	s_and_saveexec_b64 s[24:25], s[22:23]
	s_xor_b64 s[22:23], exec, s[24:25]
	s_cbranch_execz .LBB36_64
; %bb.63:                               ;   in Loop: Header=BB36_2 Depth=1
	v_lshlrev_b32_e32 v88, 2, v87
	ds_read_b32 v88, v88 offset:4
.LBB36_64:                              ;   in Loop: Header=BB36_2 Depth=1
	s_or_saveexec_b64 s[22:23], s[22:23]
	v_mov_b32_e32 v89, v85
	s_xor_b64 exec, exec, s[22:23]
	s_cbranch_execz .LBB36_66
; %bb.65:                               ;   in Loop: Header=BB36_2 Depth=1
	s_waitcnt lgkmcnt(0)
	v_lshlrev_b32_e32 v88, 2, v86
	ds_read_b32 v89, v88 offset:4
	v_mov_b32_e32 v88, v84
.LBB36_66:                              ;   in Loop: Header=BB36_2 Depth=1
	s_or_b64 exec, exec, s[22:23]
	v_cndmask_b32_e64 v84, v84, v85, s[20:21]
	v_add_u32_e32 v85, 1, v86
	v_add_u32_e32 v90, 1, v87
	v_cndmask_b32_e64 v85, v86, v85, s[20:21]
	v_cndmask_b32_e64 v86, v90, v87, s[20:21]
	;; [unrolled: 1-line block ×3, first 2 shown]
	v_cmp_ge_i32_e64 s[18:19], v86, v23
	s_waitcnt lgkmcnt(0)
	v_cmp_lt_i32_e64 s[20:21], v89, v88
	v_cndmask_b32_e64 v80, v80, v81, s[16:17]
	v_cmp_lt_i32_e64 s[16:17], v85, v24
	s_or_b64 s[18:19], s[18:19], s[20:21]
	s_and_b64 s[16:17], s[16:17], s[18:19]
	v_cndmask_b32_e64 v81, v88, v89, s[16:17]
	s_barrier
	ds_write2_b32 v1, v80, v82 offset1:1
	ds_write2_b32 v1, v84, v81 offset0:2 offset1:3
	v_mov_b32_e32 v82, v31
	s_waitcnt lgkmcnt(0)
	s_barrier
	s_and_saveexec_b64 s[18:19], s[6:7]
	s_cbranch_execz .LBB36_70
; %bb.67:                               ;   in Loop: Header=BB36_2 Depth=1
	s_mov_b64 s[20:21], 0
	v_mov_b32_e32 v82, v31
	v_mov_b32_e32 v80, v32
.LBB36_68:                              ;   Parent Loop BB36_2 Depth=1
                                        ; =>  This Inner Loop Header: Depth=2
	v_sub_u32_e32 v81, v80, v82
	v_lshrrev_b32_e32 v83, 31, v81
	v_add_u32_e32 v81, v81, v83
	v_ashrrev_i32_e32 v81, 1, v81
	v_add_u32_e32 v81, v81, v82
	v_xad_u32 v84, v81, -1, v28
	v_lshl_add_u32 v83, v81, 2, v66
	v_lshl_add_u32 v84, v84, 2, v67
	ds_read_b32 v83, v83
	ds_read_b32 v84, v84
	v_add_u32_e32 v85, 1, v81
	s_waitcnt lgkmcnt(0)
	v_cmp_lt_i32_e64 s[16:17], v84, v83
	s_nop 1
	v_cndmask_b32_e64 v80, v80, v81, s[16:17]
	v_cndmask_b32_e64 v82, v85, v82, s[16:17]
	v_cmp_ge_i32_e64 s[16:17], v82, v80
	s_or_b64 s[20:21], s[16:17], s[20:21]
	s_andn2_b64 exec, exec, s[20:21]
	s_cbranch_execnz .LBB36_68
; %bb.69:                               ;   in Loop: Header=BB36_2 Depth=1
	s_or_b64 exec, exec, s[20:21]
.LBB36_70:                              ;   in Loop: Header=BB36_2 Depth=1
	s_or_b64 exec, exec, s[18:19]
	v_sub_u32_e32 v84, v68, v82
	v_lshl_add_u32 v87, v82, 2, v66
	v_lshlrev_b32_e32 v86, 2, v84
	ds_read_b32 v80, v87
	ds_read_b32 v81, v86
	v_add_u32_e32 v85, v82, v27
	v_cmp_le_i32_e64 s[18:19], v29, v85
	v_cmp_gt_i32_e64 s[16:17], v30, v84
                                        ; implicit-def: $vgpr82
                                        ; implicit-def: $vgpr83
	s_waitcnt lgkmcnt(0)
	v_cmp_lt_i32_e64 s[20:21], v81, v80
	s_or_b64 s[18:19], s[18:19], s[20:21]
	s_and_b64 s[16:17], s[16:17], s[18:19]
	s_xor_b64 s[18:19], s[16:17], -1
	s_and_saveexec_b64 s[20:21], s[18:19]
	s_xor_b64 s[18:19], exec, s[20:21]
	s_cbranch_execz .LBB36_72
; %bb.71:                               ;   in Loop: Header=BB36_2 Depth=1
	ds_read_b32 v83, v87 offset:4
	v_mov_b32_e32 v82, v81
                                        ; implicit-def: $vgpr86
.LBB36_72:                              ;   in Loop: Header=BB36_2 Depth=1
	s_andn2_saveexec_b64 s[18:19], s[18:19]
	s_cbranch_execz .LBB36_74
; %bb.73:                               ;   in Loop: Header=BB36_2 Depth=1
	ds_read_b32 v82, v86 offset:4
	s_waitcnt lgkmcnt(1)
	v_mov_b32_e32 v83, v80
.LBB36_74:                              ;   in Loop: Header=BB36_2 Depth=1
	s_or_b64 exec, exec, s[18:19]
	v_add_u32_e32 v87, 1, v85
	v_add_u32_e32 v86, 1, v84
	v_cndmask_b32_e64 v87, v87, v85, s[16:17]
	v_cndmask_b32_e64 v86, v84, v86, s[16:17]
	v_cmp_ge_i32_e64 s[20:21], v87, v29
	s_waitcnt lgkmcnt(0)
	v_cmp_lt_i32_e64 s[22:23], v82, v83
	v_cmp_lt_i32_e64 s[18:19], v86, v30
	s_or_b64 s[20:21], s[20:21], s[22:23]
	s_and_b64 s[18:19], s[18:19], s[20:21]
	s_xor_b64 s[20:21], s[18:19], -1
                                        ; implicit-def: $vgpr84
	s_and_saveexec_b64 s[22:23], s[20:21]
	s_xor_b64 s[20:21], exec, s[22:23]
	s_cbranch_execz .LBB36_76
; %bb.75:                               ;   in Loop: Header=BB36_2 Depth=1
	v_lshlrev_b32_e32 v84, 2, v87
	ds_read_b32 v84, v84 offset:4
.LBB36_76:                              ;   in Loop: Header=BB36_2 Depth=1
	s_or_saveexec_b64 s[20:21], s[20:21]
	v_mov_b32_e32 v85, v82
	s_xor_b64 exec, exec, s[20:21]
	s_cbranch_execz .LBB36_78
; %bb.77:                               ;   in Loop: Header=BB36_2 Depth=1
	s_waitcnt lgkmcnt(0)
	v_lshlrev_b32_e32 v84, 2, v86
	ds_read_b32 v85, v84 offset:4
	v_mov_b32_e32 v84, v83
.LBB36_78:                              ;   in Loop: Header=BB36_2 Depth=1
	s_or_b64 exec, exec, s[20:21]
	v_add_u32_e32 v89, 1, v87
	v_add_u32_e32 v88, 1, v86
	v_cndmask_b32_e64 v87, v89, v87, s[18:19]
	v_cndmask_b32_e64 v86, v86, v88, s[18:19]
	v_cmp_ge_i32_e64 s[22:23], v87, v29
	s_waitcnt lgkmcnt(0)
	v_cmp_lt_i32_e64 s[24:25], v85, v84
	v_cmp_lt_i32_e64 s[20:21], v86, v30
	s_or_b64 s[22:23], s[22:23], s[24:25]
	s_and_b64 s[20:21], s[20:21], s[22:23]
	s_xor_b64 s[22:23], s[20:21], -1
                                        ; implicit-def: $vgpr88
	s_and_saveexec_b64 s[24:25], s[22:23]
	s_xor_b64 s[22:23], exec, s[24:25]
	s_cbranch_execz .LBB36_80
; %bb.79:                               ;   in Loop: Header=BB36_2 Depth=1
	v_lshlrev_b32_e32 v88, 2, v87
	ds_read_b32 v88, v88 offset:4
.LBB36_80:                              ;   in Loop: Header=BB36_2 Depth=1
	s_or_saveexec_b64 s[22:23], s[22:23]
	v_mov_b32_e32 v89, v85
	s_xor_b64 exec, exec, s[22:23]
	s_cbranch_execz .LBB36_82
; %bb.81:                               ;   in Loop: Header=BB36_2 Depth=1
	s_waitcnt lgkmcnt(0)
	v_lshlrev_b32_e32 v88, 2, v86
	ds_read_b32 v89, v88 offset:4
	v_mov_b32_e32 v88, v84
.LBB36_82:                              ;   in Loop: Header=BB36_2 Depth=1
	s_or_b64 exec, exec, s[22:23]
	v_cndmask_b32_e64 v84, v84, v85, s[20:21]
	v_add_u32_e32 v85, 1, v86
	v_add_u32_e32 v90, 1, v87
	v_cndmask_b32_e64 v85, v86, v85, s[20:21]
	v_cndmask_b32_e64 v86, v90, v87, s[20:21]
	;; [unrolled: 1-line block ×3, first 2 shown]
	v_cmp_ge_i32_e64 s[18:19], v86, v29
	s_waitcnt lgkmcnt(0)
	v_cmp_lt_i32_e64 s[20:21], v89, v88
	v_cndmask_b32_e64 v80, v80, v81, s[16:17]
	v_cmp_lt_i32_e64 s[16:17], v85, v30
	s_or_b64 s[18:19], s[18:19], s[20:21]
	s_and_b64 s[16:17], s[16:17], s[18:19]
	v_cndmask_b32_e64 v81, v88, v89, s[16:17]
	s_barrier
	ds_write2_b32 v1, v80, v82 offset1:1
	ds_write2_b32 v1, v84, v81 offset0:2 offset1:3
	v_mov_b32_e32 v82, v37
	s_waitcnt lgkmcnt(0)
	s_barrier
	s_and_saveexec_b64 s[18:19], s[8:9]
	s_cbranch_execz .LBB36_86
; %bb.83:                               ;   in Loop: Header=BB36_2 Depth=1
	s_mov_b64 s[20:21], 0
	v_mov_b32_e32 v82, v37
	v_mov_b32_e32 v80, v38
.LBB36_84:                              ;   Parent Loop BB36_2 Depth=1
                                        ; =>  This Inner Loop Header: Depth=2
	v_sub_u32_e32 v81, v80, v82
	v_lshrrev_b32_e32 v83, 31, v81
	v_add_u32_e32 v81, v81, v83
	v_ashrrev_i32_e32 v81, 1, v81
	v_add_u32_e32 v81, v81, v82
	v_xad_u32 v84, v81, -1, v34
	v_lshl_add_u32 v83, v81, 2, v69
	v_lshl_add_u32 v84, v84, 2, v70
	ds_read_b32 v83, v83
	ds_read_b32 v84, v84
	v_add_u32_e32 v85, 1, v81
	s_waitcnt lgkmcnt(0)
	v_cmp_lt_i32_e64 s[16:17], v84, v83
	s_nop 1
	v_cndmask_b32_e64 v80, v80, v81, s[16:17]
	v_cndmask_b32_e64 v82, v85, v82, s[16:17]
	v_cmp_ge_i32_e64 s[16:17], v82, v80
	s_or_b64 s[20:21], s[16:17], s[20:21]
	s_andn2_b64 exec, exec, s[20:21]
	s_cbranch_execnz .LBB36_84
; %bb.85:                               ;   in Loop: Header=BB36_2 Depth=1
	s_or_b64 exec, exec, s[20:21]
.LBB36_86:                              ;   in Loop: Header=BB36_2 Depth=1
	s_or_b64 exec, exec, s[18:19]
	v_sub_u32_e32 v84, v71, v82
	v_lshl_add_u32 v87, v82, 2, v69
	v_lshlrev_b32_e32 v86, 2, v84
	ds_read_b32 v80, v87
	ds_read_b32 v81, v86
	v_add_u32_e32 v85, v82, v33
	v_cmp_le_i32_e64 s[18:19], v35, v85
	v_cmp_gt_i32_e64 s[16:17], v36, v84
                                        ; implicit-def: $vgpr82
                                        ; implicit-def: $vgpr83
	s_waitcnt lgkmcnt(0)
	v_cmp_lt_i32_e64 s[20:21], v81, v80
	s_or_b64 s[18:19], s[18:19], s[20:21]
	s_and_b64 s[16:17], s[16:17], s[18:19]
	s_xor_b64 s[18:19], s[16:17], -1
	s_and_saveexec_b64 s[20:21], s[18:19]
	s_xor_b64 s[18:19], exec, s[20:21]
	s_cbranch_execz .LBB36_88
; %bb.87:                               ;   in Loop: Header=BB36_2 Depth=1
	ds_read_b32 v83, v87 offset:4
	v_mov_b32_e32 v82, v81
                                        ; implicit-def: $vgpr86
.LBB36_88:                              ;   in Loop: Header=BB36_2 Depth=1
	s_andn2_saveexec_b64 s[18:19], s[18:19]
	s_cbranch_execz .LBB36_90
; %bb.89:                               ;   in Loop: Header=BB36_2 Depth=1
	ds_read_b32 v82, v86 offset:4
	s_waitcnt lgkmcnt(1)
	v_mov_b32_e32 v83, v80
.LBB36_90:                              ;   in Loop: Header=BB36_2 Depth=1
	s_or_b64 exec, exec, s[18:19]
	v_add_u32_e32 v87, 1, v85
	v_add_u32_e32 v86, 1, v84
	v_cndmask_b32_e64 v87, v87, v85, s[16:17]
	v_cndmask_b32_e64 v86, v84, v86, s[16:17]
	v_cmp_ge_i32_e64 s[20:21], v87, v35
	s_waitcnt lgkmcnt(0)
	v_cmp_lt_i32_e64 s[22:23], v82, v83
	v_cmp_lt_i32_e64 s[18:19], v86, v36
	s_or_b64 s[20:21], s[20:21], s[22:23]
	s_and_b64 s[18:19], s[18:19], s[20:21]
	s_xor_b64 s[20:21], s[18:19], -1
                                        ; implicit-def: $vgpr84
	s_and_saveexec_b64 s[22:23], s[20:21]
	s_xor_b64 s[20:21], exec, s[22:23]
	s_cbranch_execz .LBB36_92
; %bb.91:                               ;   in Loop: Header=BB36_2 Depth=1
	v_lshlrev_b32_e32 v84, 2, v87
	ds_read_b32 v84, v84 offset:4
.LBB36_92:                              ;   in Loop: Header=BB36_2 Depth=1
	s_or_saveexec_b64 s[20:21], s[20:21]
	v_mov_b32_e32 v85, v82
	s_xor_b64 exec, exec, s[20:21]
	s_cbranch_execz .LBB36_94
; %bb.93:                               ;   in Loop: Header=BB36_2 Depth=1
	s_waitcnt lgkmcnt(0)
	v_lshlrev_b32_e32 v84, 2, v86
	ds_read_b32 v85, v84 offset:4
	v_mov_b32_e32 v84, v83
.LBB36_94:                              ;   in Loop: Header=BB36_2 Depth=1
	s_or_b64 exec, exec, s[20:21]
	v_add_u32_e32 v89, 1, v87
	v_add_u32_e32 v88, 1, v86
	v_cndmask_b32_e64 v87, v89, v87, s[18:19]
	v_cndmask_b32_e64 v86, v86, v88, s[18:19]
	v_cmp_ge_i32_e64 s[22:23], v87, v35
	s_waitcnt lgkmcnt(0)
	v_cmp_lt_i32_e64 s[24:25], v85, v84
	v_cmp_lt_i32_e64 s[20:21], v86, v36
	s_or_b64 s[22:23], s[22:23], s[24:25]
	s_and_b64 s[20:21], s[20:21], s[22:23]
	s_xor_b64 s[22:23], s[20:21], -1
                                        ; implicit-def: $vgpr88
	s_and_saveexec_b64 s[24:25], s[22:23]
	s_xor_b64 s[22:23], exec, s[24:25]
	s_cbranch_execz .LBB36_96
; %bb.95:                               ;   in Loop: Header=BB36_2 Depth=1
	v_lshlrev_b32_e32 v88, 2, v87
	ds_read_b32 v88, v88 offset:4
.LBB36_96:                              ;   in Loop: Header=BB36_2 Depth=1
	s_or_saveexec_b64 s[22:23], s[22:23]
	v_mov_b32_e32 v89, v85
	s_xor_b64 exec, exec, s[22:23]
	s_cbranch_execz .LBB36_98
; %bb.97:                               ;   in Loop: Header=BB36_2 Depth=1
	s_waitcnt lgkmcnt(0)
	v_lshlrev_b32_e32 v88, 2, v86
	ds_read_b32 v89, v88 offset:4
	v_mov_b32_e32 v88, v84
.LBB36_98:                              ;   in Loop: Header=BB36_2 Depth=1
	s_or_b64 exec, exec, s[22:23]
	v_cndmask_b32_e64 v84, v84, v85, s[20:21]
	v_add_u32_e32 v85, 1, v86
	v_add_u32_e32 v90, 1, v87
	v_cndmask_b32_e64 v85, v86, v85, s[20:21]
	v_cndmask_b32_e64 v86, v90, v87, s[20:21]
	;; [unrolled: 1-line block ×3, first 2 shown]
	v_cmp_ge_i32_e64 s[18:19], v86, v35
	s_waitcnt lgkmcnt(0)
	v_cmp_lt_i32_e64 s[20:21], v89, v88
	v_cndmask_b32_e64 v80, v80, v81, s[16:17]
	v_cmp_lt_i32_e64 s[16:17], v85, v36
	s_or_b64 s[18:19], s[18:19], s[20:21]
	s_and_b64 s[16:17], s[16:17], s[18:19]
	v_cndmask_b32_e64 v81, v88, v89, s[16:17]
	s_barrier
	ds_write2_b32 v1, v80, v82 offset1:1
	ds_write2_b32 v1, v84, v81 offset0:2 offset1:3
	v_mov_b32_e32 v82, v43
	s_waitcnt lgkmcnt(0)
	s_barrier
	s_and_saveexec_b64 s[18:19], s[10:11]
	s_cbranch_execz .LBB36_102
; %bb.99:                               ;   in Loop: Header=BB36_2 Depth=1
	s_mov_b64 s[20:21], 0
	v_mov_b32_e32 v82, v43
	v_mov_b32_e32 v80, v44
.LBB36_100:                             ;   Parent Loop BB36_2 Depth=1
                                        ; =>  This Inner Loop Header: Depth=2
	v_sub_u32_e32 v81, v80, v82
	v_lshrrev_b32_e32 v83, 31, v81
	v_add_u32_e32 v81, v81, v83
	v_ashrrev_i32_e32 v81, 1, v81
	v_add_u32_e32 v81, v81, v82
	v_xad_u32 v84, v81, -1, v40
	v_lshl_add_u32 v83, v81, 2, v72
	v_lshl_add_u32 v84, v84, 2, v73
	ds_read_b32 v83, v83
	ds_read_b32 v84, v84
	v_add_u32_e32 v85, 1, v81
	s_waitcnt lgkmcnt(0)
	v_cmp_lt_i32_e64 s[16:17], v84, v83
	s_nop 1
	v_cndmask_b32_e64 v80, v80, v81, s[16:17]
	v_cndmask_b32_e64 v82, v85, v82, s[16:17]
	v_cmp_ge_i32_e64 s[16:17], v82, v80
	s_or_b64 s[20:21], s[16:17], s[20:21]
	s_andn2_b64 exec, exec, s[20:21]
	s_cbranch_execnz .LBB36_100
; %bb.101:                              ;   in Loop: Header=BB36_2 Depth=1
	s_or_b64 exec, exec, s[20:21]
.LBB36_102:                             ;   in Loop: Header=BB36_2 Depth=1
	s_or_b64 exec, exec, s[18:19]
	v_sub_u32_e32 v84, v74, v82
	v_lshl_add_u32 v87, v82, 2, v72
	v_lshlrev_b32_e32 v86, 2, v84
	ds_read_b32 v80, v87
	ds_read_b32 v81, v86
	v_add_u32_e32 v85, v82, v39
	v_cmp_le_i32_e64 s[18:19], v41, v85
	v_cmp_gt_i32_e64 s[16:17], v42, v84
                                        ; implicit-def: $vgpr82
                                        ; implicit-def: $vgpr83
	s_waitcnt lgkmcnt(0)
	v_cmp_lt_i32_e64 s[20:21], v81, v80
	s_or_b64 s[18:19], s[18:19], s[20:21]
	s_and_b64 s[16:17], s[16:17], s[18:19]
	s_xor_b64 s[18:19], s[16:17], -1
	s_and_saveexec_b64 s[20:21], s[18:19]
	s_xor_b64 s[18:19], exec, s[20:21]
	s_cbranch_execz .LBB36_104
; %bb.103:                              ;   in Loop: Header=BB36_2 Depth=1
	ds_read_b32 v83, v87 offset:4
	v_mov_b32_e32 v82, v81
                                        ; implicit-def: $vgpr86
.LBB36_104:                             ;   in Loop: Header=BB36_2 Depth=1
	s_andn2_saveexec_b64 s[18:19], s[18:19]
	s_cbranch_execz .LBB36_106
; %bb.105:                              ;   in Loop: Header=BB36_2 Depth=1
	ds_read_b32 v82, v86 offset:4
	s_waitcnt lgkmcnt(1)
	v_mov_b32_e32 v83, v80
.LBB36_106:                             ;   in Loop: Header=BB36_2 Depth=1
	s_or_b64 exec, exec, s[18:19]
	v_add_u32_e32 v87, 1, v85
	v_add_u32_e32 v86, 1, v84
	v_cndmask_b32_e64 v87, v87, v85, s[16:17]
	v_cndmask_b32_e64 v86, v84, v86, s[16:17]
	v_cmp_ge_i32_e64 s[20:21], v87, v41
	s_waitcnt lgkmcnt(0)
	v_cmp_lt_i32_e64 s[22:23], v82, v83
	v_cmp_lt_i32_e64 s[18:19], v86, v42
	s_or_b64 s[20:21], s[20:21], s[22:23]
	s_and_b64 s[18:19], s[18:19], s[20:21]
	s_xor_b64 s[20:21], s[18:19], -1
                                        ; implicit-def: $vgpr84
	s_and_saveexec_b64 s[22:23], s[20:21]
	s_xor_b64 s[20:21], exec, s[22:23]
	s_cbranch_execz .LBB36_108
; %bb.107:                              ;   in Loop: Header=BB36_2 Depth=1
	v_lshlrev_b32_e32 v84, 2, v87
	ds_read_b32 v84, v84 offset:4
.LBB36_108:                             ;   in Loop: Header=BB36_2 Depth=1
	s_or_saveexec_b64 s[20:21], s[20:21]
	v_mov_b32_e32 v85, v82
	s_xor_b64 exec, exec, s[20:21]
	s_cbranch_execz .LBB36_110
; %bb.109:                              ;   in Loop: Header=BB36_2 Depth=1
	s_waitcnt lgkmcnt(0)
	v_lshlrev_b32_e32 v84, 2, v86
	ds_read_b32 v85, v84 offset:4
	v_mov_b32_e32 v84, v83
.LBB36_110:                             ;   in Loop: Header=BB36_2 Depth=1
	s_or_b64 exec, exec, s[20:21]
	v_add_u32_e32 v89, 1, v87
	v_add_u32_e32 v88, 1, v86
	v_cndmask_b32_e64 v87, v89, v87, s[18:19]
	v_cndmask_b32_e64 v86, v86, v88, s[18:19]
	v_cmp_ge_i32_e64 s[22:23], v87, v41
	s_waitcnt lgkmcnt(0)
	v_cmp_lt_i32_e64 s[24:25], v85, v84
	v_cmp_lt_i32_e64 s[20:21], v86, v42
	s_or_b64 s[22:23], s[22:23], s[24:25]
	s_and_b64 s[20:21], s[20:21], s[22:23]
	s_xor_b64 s[22:23], s[20:21], -1
                                        ; implicit-def: $vgpr88
	s_and_saveexec_b64 s[24:25], s[22:23]
	s_xor_b64 s[22:23], exec, s[24:25]
	s_cbranch_execz .LBB36_112
; %bb.111:                              ;   in Loop: Header=BB36_2 Depth=1
	v_lshlrev_b32_e32 v88, 2, v87
	ds_read_b32 v88, v88 offset:4
.LBB36_112:                             ;   in Loop: Header=BB36_2 Depth=1
	s_or_saveexec_b64 s[22:23], s[22:23]
	v_mov_b32_e32 v89, v85
	s_xor_b64 exec, exec, s[22:23]
	s_cbranch_execz .LBB36_114
; %bb.113:                              ;   in Loop: Header=BB36_2 Depth=1
	s_waitcnt lgkmcnt(0)
	v_lshlrev_b32_e32 v88, 2, v86
	ds_read_b32 v89, v88 offset:4
	v_mov_b32_e32 v88, v84
.LBB36_114:                             ;   in Loop: Header=BB36_2 Depth=1
	s_or_b64 exec, exec, s[22:23]
	v_cndmask_b32_e64 v84, v84, v85, s[20:21]
	v_add_u32_e32 v85, 1, v86
	v_add_u32_e32 v90, 1, v87
	v_cndmask_b32_e64 v85, v86, v85, s[20:21]
	v_cndmask_b32_e64 v86, v90, v87, s[20:21]
	;; [unrolled: 1-line block ×3, first 2 shown]
	v_cmp_ge_i32_e64 s[18:19], v86, v41
	s_waitcnt lgkmcnt(0)
	v_cmp_lt_i32_e64 s[20:21], v89, v88
	v_cndmask_b32_e64 v80, v80, v81, s[16:17]
	v_cmp_lt_i32_e64 s[16:17], v85, v42
	s_or_b64 s[18:19], s[18:19], s[20:21]
	s_and_b64 s[16:17], s[16:17], s[18:19]
	v_cndmask_b32_e64 v81, v88, v89, s[16:17]
	s_barrier
	ds_write2_b32 v1, v80, v82 offset1:1
	ds_write2_b32 v1, v84, v81 offset0:2 offset1:3
	v_mov_b32_e32 v82, v50
	s_waitcnt lgkmcnt(0)
	s_barrier
	s_and_saveexec_b64 s[18:19], s[12:13]
	s_cbranch_execz .LBB36_118
; %bb.115:                              ;   in Loop: Header=BB36_2 Depth=1
	s_mov_b64 s[20:21], 0
	v_mov_b32_e32 v82, v50
	v_mov_b32_e32 v80, v51
.LBB36_116:                             ;   Parent Loop BB36_2 Depth=1
                                        ; =>  This Inner Loop Header: Depth=2
	v_sub_u32_e32 v81, v80, v82
	v_lshrrev_b32_e32 v83, 31, v81
	v_add_u32_e32 v81, v81, v83
	v_ashrrev_i32_e32 v81, 1, v81
	v_add_u32_e32 v81, v81, v82
	v_xad_u32 v84, v81, -1, v47
	v_lshl_add_u32 v83, v81, 2, v75
	v_lshl_add_u32 v84, v84, 2, v76
	ds_read_b32 v83, v83
	ds_read_b32 v84, v84
	v_add_u32_e32 v85, 1, v81
	s_waitcnt lgkmcnt(0)
	v_cmp_lt_i32_e64 s[16:17], v84, v83
	s_nop 1
	v_cndmask_b32_e64 v80, v80, v81, s[16:17]
	v_cndmask_b32_e64 v82, v85, v82, s[16:17]
	v_cmp_ge_i32_e64 s[16:17], v82, v80
	s_or_b64 s[20:21], s[16:17], s[20:21]
	s_andn2_b64 exec, exec, s[20:21]
	s_cbranch_execnz .LBB36_116
; %bb.117:                              ;   in Loop: Header=BB36_2 Depth=1
	s_or_b64 exec, exec, s[20:21]
.LBB36_118:                             ;   in Loop: Header=BB36_2 Depth=1
	s_or_b64 exec, exec, s[18:19]
	v_sub_u32_e32 v84, v77, v82
	v_lshl_add_u32 v87, v82, 2, v75
	v_lshlrev_b32_e32 v86, 2, v84
	ds_read_b32 v80, v87
	ds_read_b32 v81, v86
	v_add_u32_e32 v85, v82, v46
	v_cmp_le_i32_e64 s[18:19], v48, v85
	v_cmp_gt_i32_e64 s[16:17], v49, v84
                                        ; implicit-def: $vgpr82
                                        ; implicit-def: $vgpr83
	s_waitcnt lgkmcnt(0)
	v_cmp_lt_i32_e64 s[20:21], v81, v80
	s_or_b64 s[18:19], s[18:19], s[20:21]
	s_and_b64 s[16:17], s[16:17], s[18:19]
	s_xor_b64 s[18:19], s[16:17], -1
	s_and_saveexec_b64 s[20:21], s[18:19]
	s_xor_b64 s[18:19], exec, s[20:21]
	s_cbranch_execz .LBB36_120
; %bb.119:                              ;   in Loop: Header=BB36_2 Depth=1
	ds_read_b32 v83, v87 offset:4
	v_mov_b32_e32 v82, v81
                                        ; implicit-def: $vgpr86
.LBB36_120:                             ;   in Loop: Header=BB36_2 Depth=1
	s_andn2_saveexec_b64 s[18:19], s[18:19]
	s_cbranch_execz .LBB36_122
; %bb.121:                              ;   in Loop: Header=BB36_2 Depth=1
	ds_read_b32 v82, v86 offset:4
	s_waitcnt lgkmcnt(1)
	v_mov_b32_e32 v83, v80
.LBB36_122:                             ;   in Loop: Header=BB36_2 Depth=1
	s_or_b64 exec, exec, s[18:19]
	v_add_u32_e32 v87, 1, v85
	v_add_u32_e32 v86, 1, v84
	v_cndmask_b32_e64 v87, v87, v85, s[16:17]
	v_cndmask_b32_e64 v86, v84, v86, s[16:17]
	v_cmp_ge_i32_e64 s[20:21], v87, v48
	s_waitcnt lgkmcnt(0)
	v_cmp_lt_i32_e64 s[22:23], v82, v83
	v_cmp_lt_i32_e64 s[18:19], v86, v49
	s_or_b64 s[20:21], s[20:21], s[22:23]
	s_and_b64 s[18:19], s[18:19], s[20:21]
	s_xor_b64 s[20:21], s[18:19], -1
                                        ; implicit-def: $vgpr84
	s_and_saveexec_b64 s[22:23], s[20:21]
	s_xor_b64 s[20:21], exec, s[22:23]
	s_cbranch_execz .LBB36_124
; %bb.123:                              ;   in Loop: Header=BB36_2 Depth=1
	v_lshlrev_b32_e32 v84, 2, v87
	ds_read_b32 v84, v84 offset:4
.LBB36_124:                             ;   in Loop: Header=BB36_2 Depth=1
	s_or_saveexec_b64 s[20:21], s[20:21]
	v_mov_b32_e32 v85, v82
	s_xor_b64 exec, exec, s[20:21]
	s_cbranch_execz .LBB36_126
; %bb.125:                              ;   in Loop: Header=BB36_2 Depth=1
	s_waitcnt lgkmcnt(0)
	v_lshlrev_b32_e32 v84, 2, v86
	ds_read_b32 v85, v84 offset:4
	v_mov_b32_e32 v84, v83
.LBB36_126:                             ;   in Loop: Header=BB36_2 Depth=1
	s_or_b64 exec, exec, s[20:21]
	v_add_u32_e32 v89, 1, v87
	v_add_u32_e32 v88, 1, v86
	v_cndmask_b32_e64 v87, v89, v87, s[18:19]
	v_cndmask_b32_e64 v86, v86, v88, s[18:19]
	v_cmp_ge_i32_e64 s[22:23], v87, v48
	s_waitcnt lgkmcnt(0)
	v_cmp_lt_i32_e64 s[24:25], v85, v84
	v_cmp_lt_i32_e64 s[20:21], v86, v49
	s_or_b64 s[22:23], s[22:23], s[24:25]
	s_and_b64 s[20:21], s[20:21], s[22:23]
	s_xor_b64 s[22:23], s[20:21], -1
                                        ; implicit-def: $vgpr88
	s_and_saveexec_b64 s[24:25], s[22:23]
	s_xor_b64 s[22:23], exec, s[24:25]
	s_cbranch_execz .LBB36_128
; %bb.127:                              ;   in Loop: Header=BB36_2 Depth=1
	v_lshlrev_b32_e32 v88, 2, v87
	ds_read_b32 v88, v88 offset:4
.LBB36_128:                             ;   in Loop: Header=BB36_2 Depth=1
	s_or_saveexec_b64 s[22:23], s[22:23]
	v_mov_b32_e32 v89, v85
	s_xor_b64 exec, exec, s[22:23]
	s_cbranch_execz .LBB36_130
; %bb.129:                              ;   in Loop: Header=BB36_2 Depth=1
	s_waitcnt lgkmcnt(0)
	v_lshlrev_b32_e32 v88, 2, v86
	ds_read_b32 v89, v88 offset:4
	v_mov_b32_e32 v88, v84
.LBB36_130:                             ;   in Loop: Header=BB36_2 Depth=1
	s_or_b64 exec, exec, s[22:23]
	v_cndmask_b32_e64 v84, v84, v85, s[20:21]
	v_add_u32_e32 v85, 1, v86
	v_add_u32_e32 v90, 1, v87
	v_cndmask_b32_e64 v85, v86, v85, s[20:21]
	v_cndmask_b32_e64 v86, v90, v87, s[20:21]
	;; [unrolled: 1-line block ×3, first 2 shown]
	v_cmp_ge_i32_e64 s[18:19], v86, v48
	s_waitcnt lgkmcnt(0)
	v_cmp_lt_i32_e64 s[20:21], v89, v88
	v_cndmask_b32_e64 v80, v80, v81, s[16:17]
	v_cmp_lt_i32_e64 s[16:17], v85, v49
	s_or_b64 s[18:19], s[18:19], s[20:21]
	s_and_b64 s[16:17], s[16:17], s[18:19]
	v_mov_b32_e32 v83, v52
	v_cndmask_b32_e64 v81, v88, v89, s[16:17]
	s_barrier
	ds_write2_b32 v1, v80, v82 offset1:1
	ds_write2_b32 v1, v84, v81 offset0:2 offset1:3
	s_waitcnt lgkmcnt(0)
	s_barrier
	s_and_saveexec_b64 s[18:19], s[14:15]
	s_cbranch_execz .LBB36_134
; %bb.131:                              ;   in Loop: Header=BB36_2 Depth=1
	s_mov_b64 s[20:21], 0
	v_mov_b32_e32 v83, v52
	v_mov_b32_e32 v80, v53
.LBB36_132:                             ;   Parent Loop BB36_2 Depth=1
                                        ; =>  This Inner Loop Header: Depth=2
	v_sub_u32_e32 v81, v80, v83
	v_lshrrev_b32_e32 v82, 31, v81
	v_add_u32_e32 v81, v81, v82
	v_ashrrev_i32_e32 v81, 1, v81
	v_add_u32_e32 v81, v81, v83
	v_xad_u32 v84, v81, -1, v2
	v_lshlrev_b32_e32 v82, 2, v81
	v_lshl_add_u32 v84, v84, 2, v78
	ds_read_b32 v82, v82
	ds_read_b32 v84, v84
	v_add_u32_e32 v85, 1, v81
	s_waitcnt lgkmcnt(0)
	v_cmp_lt_i32_e64 s[16:17], v84, v82
	s_nop 1
	v_cndmask_b32_e64 v80, v80, v81, s[16:17]
	v_cndmask_b32_e64 v83, v85, v83, s[16:17]
	v_cmp_ge_i32_e64 s[16:17], v83, v80
	s_or_b64 s[20:21], s[16:17], s[20:21]
	s_andn2_b64 exec, exec, s[20:21]
	s_cbranch_execnz .LBB36_132
; %bb.133:                              ;   in Loop: Header=BB36_2 Depth=1
	s_or_b64 exec, exec, s[20:21]
.LBB36_134:                             ;   in Loop: Header=BB36_2 Depth=1
	s_or_b64 exec, exec, s[18:19]
	v_sub_u32_e32 v85, v79, v83
	v_lshlrev_b32_e32 v87, 2, v83
	v_lshlrev_b32_e32 v86, 2, v85
	ds_read_b32 v80, v87
	ds_read_b32 v81, v86
	v_cmp_le_i32_e64 s[18:19], v45, v83
	v_cmp_gt_i32_e64 s[16:17], s28, v85
                                        ; implicit-def: $vgpr82
                                        ; implicit-def: $vgpr84
	s_waitcnt lgkmcnt(0)
	v_cmp_lt_i32_e64 s[20:21], v81, v80
	s_or_b64 s[18:19], s[18:19], s[20:21]
	s_and_b64 s[16:17], s[16:17], s[18:19]
	s_xor_b64 s[18:19], s[16:17], -1
	s_and_saveexec_b64 s[20:21], s[18:19]
	s_xor_b64 s[18:19], exec, s[20:21]
	s_cbranch_execz .LBB36_136
; %bb.135:                              ;   in Loop: Header=BB36_2 Depth=1
	ds_read_b32 v84, v87 offset:4
	v_mov_b32_e32 v82, v81
                                        ; implicit-def: $vgpr86
.LBB36_136:                             ;   in Loop: Header=BB36_2 Depth=1
	s_andn2_saveexec_b64 s[18:19], s[18:19]
	s_cbranch_execz .LBB36_138
; %bb.137:                              ;   in Loop: Header=BB36_2 Depth=1
	ds_read_b32 v82, v86 offset:4
	s_waitcnt lgkmcnt(1)
	v_mov_b32_e32 v84, v80
.LBB36_138:                             ;   in Loop: Header=BB36_2 Depth=1
	s_or_b64 exec, exec, s[18:19]
	v_add_u32_e32 v88, 1, v83
	v_add_u32_e32 v86, 1, v85
	v_cndmask_b32_e64 v83, v88, v83, s[16:17]
	v_cndmask_b32_e64 v87, v85, v86, s[16:17]
	v_cmp_ge_i32_e64 s[20:21], v83, v45
	s_waitcnt lgkmcnt(0)
	v_cmp_lt_i32_e64 s[22:23], v82, v84
	v_cmp_gt_i32_e64 s[18:19], s28, v87
	s_or_b64 s[20:21], s[20:21], s[22:23]
	s_and_b64 s[18:19], s[18:19], s[20:21]
	s_xor_b64 s[20:21], s[18:19], -1
                                        ; implicit-def: $vgpr85
	s_and_saveexec_b64 s[22:23], s[20:21]
	s_xor_b64 s[20:21], exec, s[22:23]
	s_cbranch_execz .LBB36_140
; %bb.139:                              ;   in Loop: Header=BB36_2 Depth=1
	v_lshlrev_b32_e32 v85, 2, v83
	ds_read_b32 v85, v85 offset:4
.LBB36_140:                             ;   in Loop: Header=BB36_2 Depth=1
	s_or_saveexec_b64 s[20:21], s[20:21]
	v_mov_b32_e32 v86, v82
	s_xor_b64 exec, exec, s[20:21]
	s_cbranch_execz .LBB36_142
; %bb.141:                              ;   in Loop: Header=BB36_2 Depth=1
	s_waitcnt lgkmcnt(0)
	v_lshlrev_b32_e32 v85, 2, v87
	ds_read_b32 v86, v85 offset:4
	v_mov_b32_e32 v85, v84
.LBB36_142:                             ;   in Loop: Header=BB36_2 Depth=1
	s_or_b64 exec, exec, s[20:21]
	v_add_u32_e32 v89, 1, v83
	v_add_u32_e32 v88, 1, v87
	v_cndmask_b32_e64 v83, v89, v83, s[18:19]
	v_cndmask_b32_e64 v87, v87, v88, s[18:19]
	v_cmp_ge_i32_e64 s[22:23], v83, v45
	s_waitcnt lgkmcnt(0)
	v_cmp_lt_i32_e64 s[24:25], v86, v85
	v_cmp_gt_i32_e64 s[20:21], s28, v87
	s_or_b64 s[22:23], s[22:23], s[24:25]
	s_and_b64 s[20:21], s[20:21], s[22:23]
	s_xor_b64 s[22:23], s[20:21], -1
                                        ; implicit-def: $vgpr88
                                        ; implicit-def: $vgpr89
	s_and_saveexec_b64 s[24:25], s[22:23]
	s_xor_b64 s[22:23], exec, s[24:25]
	s_cbranch_execz .LBB36_144
; %bb.143:                              ;   in Loop: Header=BB36_2 Depth=1
	v_lshlrev_b32_e32 v88, 2, v83
	ds_read_b32 v88, v88 offset:4
	v_add_u32_e32 v89, 1, v83
                                        ; implicit-def: $vgpr83
.LBB36_144:                             ;   in Loop: Header=BB36_2 Depth=1
	s_or_saveexec_b64 s[22:23], s[22:23]
	v_mov_b32_e32 v90, v86
	s_xor_b64 exec, exec, s[22:23]
	s_cbranch_execz .LBB36_1
; %bb.145:                              ;   in Loop: Header=BB36_2 Depth=1
	s_waitcnt lgkmcnt(0)
	v_lshlrev_b32_e32 v88, 2, v87
	ds_read_b32 v90, v88 offset:4
	v_add_u32_e32 v87, 1, v87
	v_mov_b32_e32 v89, v83
	v_mov_b32_e32 v88, v85
	s_branch .LBB36_1
.LBB36_146:
	s_add_u32 s0, s26, s30
	s_addc_u32 s1, s27, s31
	v_lshlrev_b32_e32 v0, 2, v0
	v_mov_b32_e32 v1, 0
	v_lshl_add_u64 v[2:3], s[0:1], 0, v[0:1]
	global_store_dword v0, v83, s[0:1]
	global_store_dword v0, v81, s[0:1] offset:2048
	v_add_co_u32_e32 v0, vcc, 0x1000, v2
	s_nop 1
	v_addc_co_u32_e32 v1, vcc, 0, v3, vcc
	global_store_dword v[0:1], v80, off
	global_store_dword v[0:1], v82, off offset:2048
	s_endpgm
	.section	.rodata,"a",@progbits
	.p2align	6, 0x0
	.amdhsa_kernel _Z16sort_keys_kernelIiLj512ELj4EN10test_utils4lessELj10EEvPKT_PS2_T2_
		.amdhsa_group_segment_fixed_size 8196
		.amdhsa_private_segment_fixed_size 0
		.amdhsa_kernarg_size 20
		.amdhsa_user_sgpr_count 2
		.amdhsa_user_sgpr_dispatch_ptr 0
		.amdhsa_user_sgpr_queue_ptr 0
		.amdhsa_user_sgpr_kernarg_segment_ptr 1
		.amdhsa_user_sgpr_dispatch_id 0
		.amdhsa_user_sgpr_kernarg_preload_length 0
		.amdhsa_user_sgpr_kernarg_preload_offset 0
		.amdhsa_user_sgpr_private_segment_size 0
		.amdhsa_uses_dynamic_stack 0
		.amdhsa_enable_private_segment 0
		.amdhsa_system_sgpr_workgroup_id_x 1
		.amdhsa_system_sgpr_workgroup_id_y 0
		.amdhsa_system_sgpr_workgroup_id_z 0
		.amdhsa_system_sgpr_workgroup_info 0
		.amdhsa_system_vgpr_workitem_id 0
		.amdhsa_next_free_vgpr 91
		.amdhsa_next_free_sgpr 32
		.amdhsa_accum_offset 92
		.amdhsa_reserve_vcc 1
		.amdhsa_float_round_mode_32 0
		.amdhsa_float_round_mode_16_64 0
		.amdhsa_float_denorm_mode_32 3
		.amdhsa_float_denorm_mode_16_64 3
		.amdhsa_dx10_clamp 1
		.amdhsa_ieee_mode 1
		.amdhsa_fp16_overflow 0
		.amdhsa_tg_split 0
		.amdhsa_exception_fp_ieee_invalid_op 0
		.amdhsa_exception_fp_denorm_src 0
		.amdhsa_exception_fp_ieee_div_zero 0
		.amdhsa_exception_fp_ieee_overflow 0
		.amdhsa_exception_fp_ieee_underflow 0
		.amdhsa_exception_fp_ieee_inexact 0
		.amdhsa_exception_int_div_zero 0
	.end_amdhsa_kernel
	.section	.text._Z16sort_keys_kernelIiLj512ELj4EN10test_utils4lessELj10EEvPKT_PS2_T2_,"axG",@progbits,_Z16sort_keys_kernelIiLj512ELj4EN10test_utils4lessELj10EEvPKT_PS2_T2_,comdat
.Lfunc_end36:
	.size	_Z16sort_keys_kernelIiLj512ELj4EN10test_utils4lessELj10EEvPKT_PS2_T2_, .Lfunc_end36-_Z16sort_keys_kernelIiLj512ELj4EN10test_utils4lessELj10EEvPKT_PS2_T2_
                                        ; -- End function
	.section	.AMDGPU.csdata,"",@progbits
; Kernel info:
; codeLenInByte = 6908
; NumSgprs: 38
; NumVgprs: 91
; NumAgprs: 0
; TotalNumVgprs: 91
; ScratchSize: 0
; MemoryBound: 0
; FloatMode: 240
; IeeeMode: 1
; LDSByteSize: 8196 bytes/workgroup (compile time only)
; SGPRBlocks: 4
; VGPRBlocks: 11
; NumSGPRsForWavesPerEU: 38
; NumVGPRsForWavesPerEU: 91
; AccumOffset: 92
; Occupancy: 5
; WaveLimiterHint : 1
; COMPUTE_PGM_RSRC2:SCRATCH_EN: 0
; COMPUTE_PGM_RSRC2:USER_SGPR: 2
; COMPUTE_PGM_RSRC2:TRAP_HANDLER: 0
; COMPUTE_PGM_RSRC2:TGID_X_EN: 1
; COMPUTE_PGM_RSRC2:TGID_Y_EN: 0
; COMPUTE_PGM_RSRC2:TGID_Z_EN: 0
; COMPUTE_PGM_RSRC2:TIDIG_COMP_CNT: 0
; COMPUTE_PGM_RSRC3_GFX90A:ACCUM_OFFSET: 22
; COMPUTE_PGM_RSRC3_GFX90A:TG_SPLIT: 0
	.section	.text._Z17sort_pairs_kernelIiLj512ELj4EN10test_utils4lessELj10EEvPKT_PS2_T2_,"axG",@progbits,_Z17sort_pairs_kernelIiLj512ELj4EN10test_utils4lessELj10EEvPKT_PS2_T2_,comdat
	.protected	_Z17sort_pairs_kernelIiLj512ELj4EN10test_utils4lessELj10EEvPKT_PS2_T2_ ; -- Begin function _Z17sort_pairs_kernelIiLj512ELj4EN10test_utils4lessELj10EEvPKT_PS2_T2_
	.globl	_Z17sort_pairs_kernelIiLj512ELj4EN10test_utils4lessELj10EEvPKT_PS2_T2_
	.p2align	8
	.type	_Z17sort_pairs_kernelIiLj512ELj4EN10test_utils4lessELj10EEvPKT_PS2_T2_,@function
_Z17sort_pairs_kernelIiLj512ELj4EN10test_utils4lessELj10EEvPKT_PS2_T2_: ; @_Z17sort_pairs_kernelIiLj512ELj4EN10test_utils4lessELj10EEvPKT_PS2_T2_
; %bb.0:
	s_load_dwordx4 s[40:43], s[0:1], 0x0
	s_lshl_b32 s46, s2, 11
	s_mov_b32 s47, 0
	s_lshl_b64 s[44:45], s[46:47], 2
	v_lshlrev_b32_e32 v2, 2, v0
	s_waitcnt lgkmcnt(0)
	s_add_u32 s0, s40, s44
	s_addc_u32 s1, s41, s45
	v_mov_b32_e32 v3, 0
	s_movk_i32 s2, 0x1000
	v_lshl_add_u64 v[20:21], s[0:1], 0, v[2:3]
	v_add_co_u32_e32 v20, vcc, s2, v20
	global_load_dword v83, v2, s[0:1]
	global_load_dword v85, v2, s[0:1] offset:2048
	v_addc_co_u32_e32 v21, vcc, 0, v21, vcc
	global_load_dword v86, v[20:21], off
	global_load_dword v84, v[20:21], off offset:2048
	v_and_b32_e32 v1, 0x7f8, v2
	v_and_b32_e32 v5, 0x7f0, v2
	v_or_b32_e32 v16, 4, v1
	v_add_u32_e32 v17, 8, v1
	v_and_b32_e32 v4, 4, v2
	v_and_b32_e32 v7, 0x7e0, v2
	v_or_b32_e32 v18, 8, v5
	v_add_u32_e32 v19, 16, v5
	v_sub_u32_e32 v33, v17, v16
	v_and_b32_e32 v6, 12, v2
	v_and_b32_e32 v9, 0x7c0, v2
	v_or_b32_e32 v3, 16, v7
	v_add_u32_e32 v20, 32, v7
	v_sub_u32_e32 v34, v19, v18
	v_sub_u32_e32 v39, v4, v33
	v_cmp_ge_i32_e32 vcc, v4, v33
	v_and_b32_e32 v8, 28, v2
	v_and_b32_e32 v11, 0x780, v2
	v_or_b32_e32 v21, 32, v9
	v_add_u32_e32 v22, 64, v9
	v_sub_u32_e32 v35, v20, v3
	v_sub_u32_e32 v40, v6, v34
	v_cndmask_b32_e32 v33, 0, v39, vcc
	v_cmp_ge_i32_e32 vcc, v6, v34
	v_and_b32_e32 v10, 60, v2
	v_and_b32_e32 v13, 0x700, v2
	v_or_b32_e32 v23, 64, v11
	v_add_u32_e32 v24, 0x80, v11
	v_sub_u32_e32 v36, v22, v21
	v_sub_u32_e32 v41, v8, v35
	v_cndmask_b32_e32 v34, 0, v40, vcc
	;; [unrolled: 8-line block ×3, first 2 shown]
	v_cmp_ge_i32_e32 vcc, v10, v36
	v_and_b32_e32 v14, 0xfc, v2
	v_sub_u32_e32 v38, v26, v25
	v_sub_u32_e32 v43, v12, v37
	v_cndmask_b32_e32 v36, 0, v42, vcc
	v_cmp_ge_i32_e32 vcc, v12, v37
	v_or_b32_e32 v40, 0x100, v15
	v_add_u32_e32 v41, 0x200, v15
	v_and_b32_e32 v45, 0x400, v2
	v_sub_u32_e32 v44, v14, v38
	v_cndmask_b32_e32 v37, 0, v43, vcc
	v_cmp_ge_i32_e32 vcc, v14, v38
	v_and_b32_e32 v39, 0x1fc, v2
	v_sub_u32_e32 v42, v41, v40
	v_or_b32_e32 v47, 0x200, v45
	v_add_u32_e32 v48, 0x400, v45
	v_cndmask_b32_e32 v38, 0, v44, vcc
	v_sub_u32_e32 v44, v39, v42
	v_cmp_ge_i32_e64 s[10:11], v39, v42
	v_and_b32_e32 v46, 0x3fc, v2
	v_sub_u32_e32 v49, v48, v47
	v_sub_u32_e32 v27, v16, v1
	;; [unrolled: 1-line block ×8, first 2 shown]
	v_cndmask_b32_e64 v42, 0, v44, s[10:11]
	v_mov_b32_e32 v44, 0x400
	v_sub_u32_e32 v50, v47, v45
	v_sub_u32_e32 v51, v46, v49
	v_cmp_ge_i32_e64 s[12:13], v46, v49
	v_min_i32_e32 v27, v4, v27
	v_min_i32_e32 v28, v6, v28
	;; [unrolled: 1-line block ×7, first 2 shown]
	v_cndmask_b32_e64 v49, 0, v51, s[12:13]
	v_min_i32_e32 v50, v46, v50
	v_sub_u32_e64 v51, v2, v44 clamp
	v_min_i32_e32 v52, 0x400, v2
	v_cmp_lt_i32_e32 vcc, v33, v27
	v_cmp_lt_i32_e64 s[0:1], v34, v28
	v_cmp_lt_i32_e64 s[2:3], v35, v29
	;; [unrolled: 1-line block ×5, first 2 shown]
	s_waitcnt vmcnt(3)
	v_add_u32_e32 v79, 1, v83
	v_cmp_lt_i32_e64 s[10:11], v42, v43
	v_cmp_lt_i32_e64 s[12:13], v49, v50
	;; [unrolled: 1-line block ×3, first 2 shown]
	s_movk_i32 s33, 0x800
	s_waitcnt vmcnt(2)
	v_add_u32_e32 v81, 1, v85
	s_waitcnt vmcnt(1)
	v_add_u32_e32 v80, 1, v86
	;; [unrolled: 2-line block ×3, first 2 shown]
	v_lshlrev_b32_e32 v53, 4, v0
	v_lshlrev_b32_e32 v54, 2, v1
	;; [unrolled: 1-line block ×3, first 2 shown]
	v_add_u32_e32 v56, v16, v4
	v_lshlrev_b32_e32 v57, 2, v5
	v_lshlrev_b32_e32 v58, 2, v18
	v_add_u32_e32 v59, v18, v6
	v_lshlrev_b32_e32 v60, 2, v7
	v_lshlrev_b32_e32 v61, 2, v3
	;; [unrolled: 3-line block ×7, first 2 shown]
	v_add_u32_e32 v77, v47, v46
	v_add_u32_e32 v78, 0x400, v2
	s_branch .LBB37_2
.LBB37_1:                               ;   in Loop: Header=BB37_2 Depth=1
	s_or_b64 exec, exec, s[22:23]
	v_cmp_ge_i32_e64 s[22:23], v94, v44
	s_waitcnt lgkmcnt(0)
	v_cmp_lt_i32_e64 s[24:25], v98, v95
	v_cndmask_b32_e64 v83, v83, v88, s[16:17]
	v_cndmask_b32_e64 v87, v84, v87, s[16:17]
	v_cmp_gt_i32_e64 s[16:17], s33, v93
	s_or_b64 s[22:23], s[22:23], s[24:25]
	v_cndmask_b32_e64 v88, v92, v91, s[18:19]
	s_and_b64 s[16:17], s[16:17], s[22:23]
	v_cndmask_b32_e64 v91, v94, v93, s[16:17]
	s_barrier
	ds_write2_b32 v53, v79, v80 offset1:1
	ds_write2_b32 v53, v81, v82 offset0:2 offset1:3
	v_lshlrev_b32_e32 v79, 2, v87
	v_lshlrev_b32_e32 v80, 2, v88
	;; [unrolled: 1-line block ×3, first 2 shown]
	s_waitcnt lgkmcnt(0)
	s_barrier
	v_lshlrev_b32_e32 v87, 2, v91
	ds_read_b32 v79, v79
	ds_read_b32 v81, v80
	;; [unrolled: 1-line block ×4, first 2 shown]
	s_add_i32 s47, s47, 1
	v_cndmask_b32_e64 v84, v95, v98, s[16:17]
	v_cndmask_b32_e64 v85, v86, v85, s[18:19]
	s_cmp_eq_u32 s47, 10
	v_cndmask_b32_e64 v86, v89, v90, s[20:21]
	s_cbranch_scc1 .LBB37_146
.LBB37_2:                               ; =>This Loop Header: Depth=1
                                        ;     Child Loop BB37_4 Depth 2
                                        ;     Child Loop BB37_20 Depth 2
	;; [unrolled: 1-line block ×9, first 2 shown]
	v_cmp_lt_i32_e64 s[16:17], v85, v83
	v_cmp_lt_i32_e64 s[18:19], v84, v86
	s_nop 0
	v_cndmask_b32_e64 v87, v83, v85, s[16:17]
	v_cndmask_b32_e64 v83, v85, v83, s[16:17]
	v_cndmask_b32_e64 v85, v84, v86, s[18:19]
	v_cndmask_b32_e64 v88, v86, v84, s[18:19]
	v_min_i32_e32 v84, v84, v86
	v_cmp_lt_i32_e64 s[20:21], v84, v83
	s_barrier
	s_nop 0
	v_cndmask_b32_e64 v86, v88, v83, s[20:21]
	v_cndmask_b32_e64 v88, v83, v84, s[20:21]
	v_min_i32_e32 v83, v84, v83
	v_cmp_lt_i32_e64 s[22:23], v83, v87
	v_cmp_lt_i32_e64 s[24:25], v85, v86
	s_nop 0
	v_cndmask_b32_e64 v83, v87, v83, s[22:23]
	v_cndmask_b32_e64 v84, v88, v87, s[22:23]
	;; [unrolled: 1-line block ×4, first 2 shown]
	v_min_i32_e32 v85, v85, v86
	v_cmp_lt_i32_e64 s[26:27], v85, v84
	s_nop 1
	v_cndmask_b32_e64 v86, v88, v84, s[26:27]
	v_cndmask_b32_e64 v84, v84, v85, s[26:27]
	v_mov_b32_e32 v85, v33
	ds_write2_b32 v53, v83, v84 offset1:1
	ds_write2_b32 v53, v86, v87 offset0:2 offset1:3
	s_waitcnt lgkmcnt(0)
	s_barrier
	s_and_saveexec_b64 s[30:31], vcc
	s_cbranch_execz .LBB37_6
; %bb.3:                                ;   in Loop: Header=BB37_2 Depth=1
	s_mov_b64 s[34:35], 0
	v_mov_b32_e32 v85, v33
	v_mov_b32_e32 v83, v27
.LBB37_4:                               ;   Parent Loop BB37_2 Depth=1
                                        ; =>  This Inner Loop Header: Depth=2
	v_sub_u32_e32 v84, v83, v85
	v_lshrrev_b32_e32 v86, 31, v84
	v_add_u32_e32 v84, v84, v86
	v_ashrrev_i32_e32 v84, 1, v84
	v_add_u32_e32 v84, v84, v85
	v_xad_u32 v87, v84, -1, v4
	v_lshl_add_u32 v86, v84, 2, v54
	v_lshl_add_u32 v87, v87, 2, v55
	ds_read_b32 v86, v86
	ds_read_b32 v87, v87
	v_add_u32_e32 v88, 1, v84
	s_waitcnt lgkmcnt(0)
	v_cmp_lt_i32_e64 s[28:29], v87, v86
	s_nop 1
	v_cndmask_b32_e64 v83, v83, v84, s[28:29]
	v_cndmask_b32_e64 v85, v88, v85, s[28:29]
	v_cmp_ge_i32_e64 s[28:29], v85, v83
	s_or_b64 s[34:35], s[28:29], s[34:35]
	s_andn2_b64 exec, exec, s[34:35]
	s_cbranch_execnz .LBB37_4
; %bb.5:                                ;   in Loop: Header=BB37_2 Depth=1
	s_or_b64 exec, exec, s[34:35]
.LBB37_6:                               ;   in Loop: Header=BB37_2 Depth=1
	s_or_b64 exec, exec, s[30:31]
	v_sub_u32_e32 v83, v56, v85
	v_lshl_add_u32 v90, v85, 2, v54
	v_lshlrev_b32_e32 v89, 2, v83
	ds_read_b32 v84, v90
	ds_read_b32 v86, v89
	v_add_u32_e32 v85, v85, v1
	v_cmp_le_i32_e64 s[30:31], v16, v85
	v_cmp_gt_i32_e64 s[28:29], v17, v83
                                        ; implicit-def: $vgpr87
                                        ; implicit-def: $vgpr88
	s_waitcnt lgkmcnt(0)
	v_cmp_lt_i32_e64 s[34:35], v86, v84
	s_or_b64 s[30:31], s[30:31], s[34:35]
	s_and_b64 s[28:29], s[28:29], s[30:31]
	s_xor_b64 s[30:31], s[28:29], -1
	s_and_saveexec_b64 s[34:35], s[30:31]
	s_xor_b64 s[30:31], exec, s[34:35]
	s_cbranch_execz .LBB37_8
; %bb.7:                                ;   in Loop: Header=BB37_2 Depth=1
	ds_read_b32 v88, v90 offset:4
	v_mov_b32_e32 v87, v86
                                        ; implicit-def: $vgpr89
.LBB37_8:                               ;   in Loop: Header=BB37_2 Depth=1
	s_andn2_saveexec_b64 s[30:31], s[30:31]
	s_cbranch_execz .LBB37_10
; %bb.9:                                ;   in Loop: Header=BB37_2 Depth=1
	ds_read_b32 v87, v89 offset:4
	s_waitcnt lgkmcnt(1)
	v_mov_b32_e32 v88, v84
.LBB37_10:                              ;   in Loop: Header=BB37_2 Depth=1
	s_or_b64 exec, exec, s[30:31]
	v_add_u32_e32 v90, 1, v85
	v_add_u32_e32 v89, 1, v83
	v_cndmask_b32_e64 v90, v90, v85, s[28:29]
	v_cndmask_b32_e64 v89, v83, v89, s[28:29]
	v_cmp_ge_i32_e64 s[34:35], v90, v16
	s_waitcnt lgkmcnt(0)
	v_cmp_lt_i32_e64 s[36:37], v87, v88
	v_cmp_lt_i32_e64 s[30:31], v89, v17
	s_or_b64 s[34:35], s[34:35], s[36:37]
	s_and_b64 s[30:31], s[30:31], s[34:35]
	s_xor_b64 s[34:35], s[30:31], -1
                                        ; implicit-def: $vgpr91
	s_and_saveexec_b64 s[36:37], s[34:35]
	s_xor_b64 s[34:35], exec, s[36:37]
	s_cbranch_execz .LBB37_12
; %bb.11:                               ;   in Loop: Header=BB37_2 Depth=1
	v_lshlrev_b32_e32 v91, 2, v90
	ds_read_b32 v91, v91 offset:4
.LBB37_12:                              ;   in Loop: Header=BB37_2 Depth=1
	s_or_saveexec_b64 s[34:35], s[34:35]
	v_mov_b32_e32 v92, v87
	s_xor_b64 exec, exec, s[34:35]
	s_cbranch_execz .LBB37_14
; %bb.13:                               ;   in Loop: Header=BB37_2 Depth=1
	s_waitcnt lgkmcnt(0)
	v_lshlrev_b32_e32 v91, 2, v89
	ds_read_b32 v92, v91 offset:4
	v_mov_b32_e32 v91, v88
.LBB37_14:                              ;   in Loop: Header=BB37_2 Depth=1
	s_or_b64 exec, exec, s[34:35]
	v_add_u32_e32 v95, 1, v90
	v_add_u32_e32 v93, 1, v89
	v_cndmask_b32_e64 v95, v95, v90, s[30:31]
	v_cndmask_b32_e64 v94, v89, v93, s[30:31]
	v_cmp_ge_i32_e64 s[36:37], v95, v16
	s_waitcnt lgkmcnt(0)
	v_cmp_lt_i32_e64 s[38:39], v92, v91
	v_cmp_lt_i32_e64 s[34:35], v94, v17
	s_or_b64 s[36:37], s[36:37], s[38:39]
	s_and_b64 s[34:35], s[34:35], s[36:37]
	s_xor_b64 s[36:37], s[34:35], -1
                                        ; implicit-def: $vgpr93
	s_and_saveexec_b64 s[38:39], s[36:37]
	s_xor_b64 s[36:37], exec, s[38:39]
	s_cbranch_execz .LBB37_16
; %bb.15:                               ;   in Loop: Header=BB37_2 Depth=1
	v_lshlrev_b32_e32 v93, 2, v95
	ds_read_b32 v93, v93 offset:4
.LBB37_16:                              ;   in Loop: Header=BB37_2 Depth=1
	s_or_saveexec_b64 s[36:37], s[36:37]
	v_mov_b32_e32 v96, v92
	s_xor_b64 exec, exec, s[36:37]
	s_cbranch_execz .LBB37_18
; %bb.17:                               ;   in Loop: Header=BB37_2 Depth=1
	s_waitcnt lgkmcnt(0)
	v_lshlrev_b32_e32 v93, 2, v94
	ds_read_b32 v96, v93 offset:4
	v_mov_b32_e32 v93, v91
.LBB37_18:                              ;   in Loop: Header=BB37_2 Depth=1
	s_or_b64 exec, exec, s[36:37]
	v_add_u32_e32 v97, 1, v95
	v_cndmask_b32_e64 v91, v91, v92, s[34:35]
	v_add_u32_e32 v92, 1, v94
	v_cndmask_b32_e64 v97, v97, v95, s[34:35]
	v_cndmask_b32_e64 v83, v85, v83, s[28:29]
	;; [unrolled: 1-line block ×9, first 2 shown]
	v_cmp_ge_i32_e64 s[18:19], v97, v16
	s_waitcnt lgkmcnt(0)
	v_cmp_lt_i32_e64 s[20:21], v96, v93
	v_cndmask_b32_e64 v80, v85, v79, s[22:23]
	v_cndmask_b32_e64 v79, v79, v85, s[22:23]
	;; [unrolled: 1-line block ×4, first 2 shown]
	v_cmp_lt_i32_e64 s[16:17], v92, v17
	s_or_b64 s[18:19], s[18:19], s[20:21]
	v_cndmask_b32_e64 v94, v95, v94, s[34:35]
	v_cndmask_b32_e64 v87, v88, v87, s[30:31]
	;; [unrolled: 1-line block ×5, first 2 shown]
	s_and_b64 s[16:17], s[16:17], s[18:19]
	v_cndmask_b32_e64 v81, v97, v92, s[16:17]
	s_barrier
	ds_write2_b32 v53, v80, v79 offset1:1
	ds_write2_b32 v53, v82, v85 offset0:2 offset1:3
	v_lshlrev_b32_e32 v79, 2, v83
	v_lshlrev_b32_e32 v80, 2, v88
	;; [unrolled: 1-line block ×3, first 2 shown]
	s_waitcnt lgkmcnt(0)
	s_barrier
	v_lshlrev_b32_e32 v83, 2, v81
	ds_read_b32 v79, v79
	ds_read_b32 v80, v80
	;; [unrolled: 1-line block ×4, first 2 shown]
	v_cndmask_b32_e64 v84, v84, v86, s[28:29]
	v_mov_b32_e32 v85, v34
	v_cndmask_b32_e64 v86, v93, v96, s[16:17]
	s_waitcnt lgkmcnt(0)
	s_barrier
	ds_write2_b32 v53, v84, v87 offset1:1
	ds_write2_b32 v53, v91, v86 offset0:2 offset1:3
	s_waitcnt lgkmcnt(0)
	s_barrier
	s_and_saveexec_b64 s[18:19], s[0:1]
	s_cbranch_execz .LBB37_22
; %bb.19:                               ;   in Loop: Header=BB37_2 Depth=1
	s_mov_b64 s[20:21], 0
	v_mov_b32_e32 v85, v34
	v_mov_b32_e32 v83, v28
.LBB37_20:                              ;   Parent Loop BB37_2 Depth=1
                                        ; =>  This Inner Loop Header: Depth=2
	v_sub_u32_e32 v84, v83, v85
	v_lshrrev_b32_e32 v86, 31, v84
	v_add_u32_e32 v84, v84, v86
	v_ashrrev_i32_e32 v84, 1, v84
	v_add_u32_e32 v84, v84, v85
	v_xad_u32 v87, v84, -1, v6
	v_lshl_add_u32 v86, v84, 2, v57
	v_lshl_add_u32 v87, v87, 2, v58
	ds_read_b32 v86, v86
	ds_read_b32 v87, v87
	v_add_u32_e32 v88, 1, v84
	s_waitcnt lgkmcnt(0)
	v_cmp_lt_i32_e64 s[16:17], v87, v86
	s_nop 1
	v_cndmask_b32_e64 v83, v83, v84, s[16:17]
	v_cndmask_b32_e64 v85, v88, v85, s[16:17]
	v_cmp_ge_i32_e64 s[16:17], v85, v83
	s_or_b64 s[20:21], s[16:17], s[20:21]
	s_andn2_b64 exec, exec, s[20:21]
	s_cbranch_execnz .LBB37_20
; %bb.21:                               ;   in Loop: Header=BB37_2 Depth=1
	s_or_b64 exec, exec, s[20:21]
.LBB37_22:                              ;   in Loop: Header=BB37_2 Depth=1
	s_or_b64 exec, exec, s[18:19]
	v_sub_u32_e32 v83, v59, v85
	v_lshl_add_u32 v90, v85, 2, v57
	v_lshlrev_b32_e32 v89, 2, v83
	ds_read_b32 v84, v90
	ds_read_b32 v86, v89
	v_add_u32_e32 v85, v85, v5
	v_cmp_le_i32_e64 s[18:19], v18, v85
	v_cmp_gt_i32_e64 s[16:17], v19, v83
                                        ; implicit-def: $vgpr87
                                        ; implicit-def: $vgpr88
	s_waitcnt lgkmcnt(0)
	v_cmp_lt_i32_e64 s[20:21], v86, v84
	s_or_b64 s[18:19], s[18:19], s[20:21]
	s_and_b64 s[16:17], s[16:17], s[18:19]
	s_xor_b64 s[18:19], s[16:17], -1
	s_and_saveexec_b64 s[20:21], s[18:19]
	s_xor_b64 s[18:19], exec, s[20:21]
	s_cbranch_execz .LBB37_24
; %bb.23:                               ;   in Loop: Header=BB37_2 Depth=1
	ds_read_b32 v88, v90 offset:4
	v_mov_b32_e32 v87, v86
                                        ; implicit-def: $vgpr89
.LBB37_24:                              ;   in Loop: Header=BB37_2 Depth=1
	s_andn2_saveexec_b64 s[18:19], s[18:19]
	s_cbranch_execz .LBB37_26
; %bb.25:                               ;   in Loop: Header=BB37_2 Depth=1
	ds_read_b32 v87, v89 offset:4
	s_waitcnt lgkmcnt(1)
	v_mov_b32_e32 v88, v84
.LBB37_26:                              ;   in Loop: Header=BB37_2 Depth=1
	s_or_b64 exec, exec, s[18:19]
	v_add_u32_e32 v90, 1, v85
	v_add_u32_e32 v89, 1, v83
	v_cndmask_b32_e64 v90, v90, v85, s[16:17]
	v_cndmask_b32_e64 v89, v83, v89, s[16:17]
	v_cmp_ge_i32_e64 s[20:21], v90, v18
	s_waitcnt lgkmcnt(0)
	v_cmp_lt_i32_e64 s[22:23], v87, v88
	v_cmp_lt_i32_e64 s[18:19], v89, v19
	s_or_b64 s[20:21], s[20:21], s[22:23]
	s_and_b64 s[18:19], s[18:19], s[20:21]
	s_xor_b64 s[20:21], s[18:19], -1
                                        ; implicit-def: $vgpr91
	s_and_saveexec_b64 s[22:23], s[20:21]
	s_xor_b64 s[20:21], exec, s[22:23]
	s_cbranch_execz .LBB37_28
; %bb.27:                               ;   in Loop: Header=BB37_2 Depth=1
	v_lshlrev_b32_e32 v91, 2, v90
	ds_read_b32 v91, v91 offset:4
.LBB37_28:                              ;   in Loop: Header=BB37_2 Depth=1
	s_or_saveexec_b64 s[20:21], s[20:21]
	v_mov_b32_e32 v92, v87
	s_xor_b64 exec, exec, s[20:21]
	s_cbranch_execz .LBB37_30
; %bb.29:                               ;   in Loop: Header=BB37_2 Depth=1
	s_waitcnt lgkmcnt(0)
	v_lshlrev_b32_e32 v91, 2, v89
	ds_read_b32 v92, v91 offset:4
	v_mov_b32_e32 v91, v88
.LBB37_30:                              ;   in Loop: Header=BB37_2 Depth=1
	s_or_b64 exec, exec, s[20:21]
	v_add_u32_e32 v94, 1, v90
	v_add_u32_e32 v93, 1, v89
	v_cndmask_b32_e64 v94, v94, v90, s[18:19]
	v_cndmask_b32_e64 v93, v89, v93, s[18:19]
	v_cmp_ge_i32_e64 s[22:23], v94, v18
	s_waitcnt lgkmcnt(0)
	v_cmp_lt_i32_e64 s[24:25], v92, v91
	v_cmp_lt_i32_e64 s[20:21], v93, v19
	s_or_b64 s[22:23], s[22:23], s[24:25]
	s_and_b64 s[20:21], s[20:21], s[22:23]
	s_xor_b64 s[22:23], s[20:21], -1
                                        ; implicit-def: $vgpr95
	s_and_saveexec_b64 s[24:25], s[22:23]
	s_xor_b64 s[22:23], exec, s[24:25]
	s_cbranch_execz .LBB37_32
; %bb.31:                               ;   in Loop: Header=BB37_2 Depth=1
	v_lshlrev_b32_e32 v95, 2, v94
	ds_read_b32 v95, v95 offset:4
.LBB37_32:                              ;   in Loop: Header=BB37_2 Depth=1
	s_or_saveexec_b64 s[22:23], s[22:23]
	v_mov_b32_e32 v96, v92
	s_xor_b64 exec, exec, s[22:23]
	s_cbranch_execz .LBB37_34
; %bb.33:                               ;   in Loop: Header=BB37_2 Depth=1
	s_waitcnt lgkmcnt(0)
	v_lshlrev_b32_e32 v95, 2, v93
	ds_read_b32 v96, v95 offset:4
	v_mov_b32_e32 v95, v91
.LBB37_34:                              ;   in Loop: Header=BB37_2 Depth=1
	s_or_b64 exec, exec, s[22:23]
	v_add_u32_e32 v97, 1, v94
	v_cndmask_b32_e64 v91, v91, v92, s[20:21]
	v_add_u32_e32 v92, 1, v93
	v_cndmask_b32_e64 v97, v97, v94, s[20:21]
	v_cndmask_b32_e64 v92, v93, v92, s[20:21]
	;; [unrolled: 1-line block ×5, first 2 shown]
	v_cmp_ge_i32_e64 s[18:19], v97, v18
	s_waitcnt lgkmcnt(0)
	v_cmp_lt_i32_e64 s[20:21], v96, v95
	v_cndmask_b32_e64 v84, v84, v86, s[16:17]
	v_cndmask_b32_e64 v83, v85, v83, s[16:17]
	v_cmp_lt_i32_e64 s[16:17], v92, v19
	s_or_b64 s[18:19], s[18:19], s[20:21]
	s_and_b64 s[16:17], s[16:17], s[18:19]
	v_cndmask_b32_e64 v86, v97, v92, s[16:17]
	s_barrier
	ds_write2_b32 v53, v79, v80 offset1:1
	ds_write2_b32 v53, v81, v82 offset0:2 offset1:3
	v_lshlrev_b32_e32 v79, 2, v83
	v_lshlrev_b32_e32 v80, 2, v88
	;; [unrolled: 1-line block ×4, first 2 shown]
	s_waitcnt lgkmcnt(0)
	s_barrier
	ds_read_b32 v79, v79
	ds_read_b32 v80, v80
	;; [unrolled: 1-line block ×4, first 2 shown]
	v_cndmask_b32_e64 v85, v95, v96, s[16:17]
	s_waitcnt lgkmcnt(0)
	s_barrier
	ds_write2_b32 v53, v84, v87 offset1:1
	ds_write2_b32 v53, v91, v85 offset0:2 offset1:3
	v_mov_b32_e32 v85, v35
	s_waitcnt lgkmcnt(0)
	s_barrier
	s_and_saveexec_b64 s[18:19], s[2:3]
	s_cbranch_execz .LBB37_38
; %bb.35:                               ;   in Loop: Header=BB37_2 Depth=1
	s_mov_b64 s[20:21], 0
	v_mov_b32_e32 v85, v35
	v_mov_b32_e32 v83, v29
.LBB37_36:                              ;   Parent Loop BB37_2 Depth=1
                                        ; =>  This Inner Loop Header: Depth=2
	v_sub_u32_e32 v84, v83, v85
	v_lshrrev_b32_e32 v86, 31, v84
	v_add_u32_e32 v84, v84, v86
	v_ashrrev_i32_e32 v84, 1, v84
	v_add_u32_e32 v84, v84, v85
	v_xad_u32 v87, v84, -1, v8
	v_lshl_add_u32 v86, v84, 2, v60
	v_lshl_add_u32 v87, v87, 2, v61
	ds_read_b32 v86, v86
	ds_read_b32 v87, v87
	v_add_u32_e32 v88, 1, v84
	s_waitcnt lgkmcnt(0)
	v_cmp_lt_i32_e64 s[16:17], v87, v86
	s_nop 1
	v_cndmask_b32_e64 v83, v83, v84, s[16:17]
	v_cndmask_b32_e64 v85, v88, v85, s[16:17]
	v_cmp_ge_i32_e64 s[16:17], v85, v83
	s_or_b64 s[20:21], s[16:17], s[20:21]
	s_andn2_b64 exec, exec, s[20:21]
	s_cbranch_execnz .LBB37_36
; %bb.37:                               ;   in Loop: Header=BB37_2 Depth=1
	s_or_b64 exec, exec, s[20:21]
.LBB37_38:                              ;   in Loop: Header=BB37_2 Depth=1
	s_or_b64 exec, exec, s[18:19]
	v_sub_u32_e32 v83, v62, v85
	v_lshl_add_u32 v90, v85, 2, v60
	v_lshlrev_b32_e32 v89, 2, v83
	ds_read_b32 v84, v90
	ds_read_b32 v86, v89
	v_add_u32_e32 v85, v85, v7
	v_cmp_le_i32_e64 s[18:19], v3, v85
	v_cmp_gt_i32_e64 s[16:17], v20, v83
                                        ; implicit-def: $vgpr87
                                        ; implicit-def: $vgpr88
	s_waitcnt lgkmcnt(0)
	v_cmp_lt_i32_e64 s[20:21], v86, v84
	s_or_b64 s[18:19], s[18:19], s[20:21]
	s_and_b64 s[16:17], s[16:17], s[18:19]
	s_xor_b64 s[18:19], s[16:17], -1
	s_and_saveexec_b64 s[20:21], s[18:19]
	s_xor_b64 s[18:19], exec, s[20:21]
	s_cbranch_execz .LBB37_40
; %bb.39:                               ;   in Loop: Header=BB37_2 Depth=1
	ds_read_b32 v88, v90 offset:4
	v_mov_b32_e32 v87, v86
                                        ; implicit-def: $vgpr89
.LBB37_40:                              ;   in Loop: Header=BB37_2 Depth=1
	s_andn2_saveexec_b64 s[18:19], s[18:19]
	s_cbranch_execz .LBB37_42
; %bb.41:                               ;   in Loop: Header=BB37_2 Depth=1
	ds_read_b32 v87, v89 offset:4
	s_waitcnt lgkmcnt(1)
	v_mov_b32_e32 v88, v84
.LBB37_42:                              ;   in Loop: Header=BB37_2 Depth=1
	s_or_b64 exec, exec, s[18:19]
	v_add_u32_e32 v90, 1, v85
	v_add_u32_e32 v89, 1, v83
	v_cndmask_b32_e64 v90, v90, v85, s[16:17]
	v_cndmask_b32_e64 v89, v83, v89, s[16:17]
	v_cmp_ge_i32_e64 s[20:21], v90, v3
	s_waitcnt lgkmcnt(0)
	v_cmp_lt_i32_e64 s[22:23], v87, v88
	v_cmp_lt_i32_e64 s[18:19], v89, v20
	s_or_b64 s[20:21], s[20:21], s[22:23]
	s_and_b64 s[18:19], s[18:19], s[20:21]
	s_xor_b64 s[20:21], s[18:19], -1
                                        ; implicit-def: $vgpr91
	s_and_saveexec_b64 s[22:23], s[20:21]
	s_xor_b64 s[20:21], exec, s[22:23]
	s_cbranch_execz .LBB37_44
; %bb.43:                               ;   in Loop: Header=BB37_2 Depth=1
	v_lshlrev_b32_e32 v91, 2, v90
	ds_read_b32 v91, v91 offset:4
.LBB37_44:                              ;   in Loop: Header=BB37_2 Depth=1
	s_or_saveexec_b64 s[20:21], s[20:21]
	v_mov_b32_e32 v92, v87
	s_xor_b64 exec, exec, s[20:21]
	s_cbranch_execz .LBB37_46
; %bb.45:                               ;   in Loop: Header=BB37_2 Depth=1
	s_waitcnt lgkmcnt(0)
	v_lshlrev_b32_e32 v91, 2, v89
	ds_read_b32 v92, v91 offset:4
	v_mov_b32_e32 v91, v88
.LBB37_46:                              ;   in Loop: Header=BB37_2 Depth=1
	s_or_b64 exec, exec, s[20:21]
	v_add_u32_e32 v94, 1, v90
	v_add_u32_e32 v93, 1, v89
	v_cndmask_b32_e64 v94, v94, v90, s[18:19]
	v_cndmask_b32_e64 v93, v89, v93, s[18:19]
	v_cmp_ge_i32_e64 s[22:23], v94, v3
	s_waitcnt lgkmcnt(0)
	v_cmp_lt_i32_e64 s[24:25], v92, v91
	v_cmp_lt_i32_e64 s[20:21], v93, v20
	s_or_b64 s[22:23], s[22:23], s[24:25]
	s_and_b64 s[20:21], s[20:21], s[22:23]
	s_xor_b64 s[22:23], s[20:21], -1
                                        ; implicit-def: $vgpr95
	s_and_saveexec_b64 s[24:25], s[22:23]
	s_xor_b64 s[22:23], exec, s[24:25]
	s_cbranch_execz .LBB37_48
; %bb.47:                               ;   in Loop: Header=BB37_2 Depth=1
	v_lshlrev_b32_e32 v95, 2, v94
	ds_read_b32 v95, v95 offset:4
.LBB37_48:                              ;   in Loop: Header=BB37_2 Depth=1
	s_or_saveexec_b64 s[22:23], s[22:23]
	v_mov_b32_e32 v96, v92
	s_xor_b64 exec, exec, s[22:23]
	s_cbranch_execz .LBB37_50
; %bb.49:                               ;   in Loop: Header=BB37_2 Depth=1
	s_waitcnt lgkmcnt(0)
	v_lshlrev_b32_e32 v95, 2, v93
	ds_read_b32 v96, v95 offset:4
	v_mov_b32_e32 v95, v91
.LBB37_50:                              ;   in Loop: Header=BB37_2 Depth=1
	s_or_b64 exec, exec, s[22:23]
	v_add_u32_e32 v97, 1, v94
	v_cndmask_b32_e64 v91, v91, v92, s[20:21]
	v_add_u32_e32 v92, 1, v93
	v_cndmask_b32_e64 v97, v97, v94, s[20:21]
	v_cndmask_b32_e64 v92, v93, v92, s[20:21]
	;; [unrolled: 1-line block ×5, first 2 shown]
	v_cmp_ge_i32_e64 s[18:19], v97, v3
	s_waitcnt lgkmcnt(0)
	v_cmp_lt_i32_e64 s[20:21], v96, v95
	v_cndmask_b32_e64 v84, v84, v86, s[16:17]
	v_cndmask_b32_e64 v83, v85, v83, s[16:17]
	v_cmp_lt_i32_e64 s[16:17], v92, v20
	s_or_b64 s[18:19], s[18:19], s[20:21]
	s_and_b64 s[16:17], s[16:17], s[18:19]
	v_cndmask_b32_e64 v86, v97, v92, s[16:17]
	s_barrier
	ds_write2_b32 v53, v79, v80 offset1:1
	ds_write2_b32 v53, v81, v82 offset0:2 offset1:3
	v_lshlrev_b32_e32 v79, 2, v83
	v_lshlrev_b32_e32 v80, 2, v88
	;; [unrolled: 1-line block ×4, first 2 shown]
	s_waitcnt lgkmcnt(0)
	s_barrier
	ds_read_b32 v79, v79
	ds_read_b32 v80, v80
	;; [unrolled: 1-line block ×4, first 2 shown]
	v_cndmask_b32_e64 v85, v95, v96, s[16:17]
	s_waitcnt lgkmcnt(0)
	s_barrier
	ds_write2_b32 v53, v84, v87 offset1:1
	ds_write2_b32 v53, v91, v85 offset0:2 offset1:3
	v_mov_b32_e32 v85, v36
	s_waitcnt lgkmcnt(0)
	s_barrier
	s_and_saveexec_b64 s[18:19], s[4:5]
	s_cbranch_execz .LBB37_54
; %bb.51:                               ;   in Loop: Header=BB37_2 Depth=1
	s_mov_b64 s[20:21], 0
	v_mov_b32_e32 v85, v36
	v_mov_b32_e32 v83, v30
.LBB37_52:                              ;   Parent Loop BB37_2 Depth=1
                                        ; =>  This Inner Loop Header: Depth=2
	v_sub_u32_e32 v84, v83, v85
	v_lshrrev_b32_e32 v86, 31, v84
	v_add_u32_e32 v84, v84, v86
	v_ashrrev_i32_e32 v84, 1, v84
	v_add_u32_e32 v84, v84, v85
	v_xad_u32 v87, v84, -1, v10
	v_lshl_add_u32 v86, v84, 2, v63
	v_lshl_add_u32 v87, v87, 2, v64
	ds_read_b32 v86, v86
	ds_read_b32 v87, v87
	v_add_u32_e32 v88, 1, v84
	s_waitcnt lgkmcnt(0)
	v_cmp_lt_i32_e64 s[16:17], v87, v86
	s_nop 1
	v_cndmask_b32_e64 v83, v83, v84, s[16:17]
	v_cndmask_b32_e64 v85, v88, v85, s[16:17]
	v_cmp_ge_i32_e64 s[16:17], v85, v83
	s_or_b64 s[20:21], s[16:17], s[20:21]
	s_andn2_b64 exec, exec, s[20:21]
	s_cbranch_execnz .LBB37_52
; %bb.53:                               ;   in Loop: Header=BB37_2 Depth=1
	s_or_b64 exec, exec, s[20:21]
.LBB37_54:                              ;   in Loop: Header=BB37_2 Depth=1
	s_or_b64 exec, exec, s[18:19]
	v_sub_u32_e32 v83, v65, v85
	v_lshl_add_u32 v90, v85, 2, v63
	v_lshlrev_b32_e32 v89, 2, v83
	ds_read_b32 v84, v90
	ds_read_b32 v86, v89
	v_add_u32_e32 v85, v85, v9
	v_cmp_le_i32_e64 s[18:19], v21, v85
	v_cmp_gt_i32_e64 s[16:17], v22, v83
                                        ; implicit-def: $vgpr87
                                        ; implicit-def: $vgpr88
	s_waitcnt lgkmcnt(0)
	v_cmp_lt_i32_e64 s[20:21], v86, v84
	s_or_b64 s[18:19], s[18:19], s[20:21]
	s_and_b64 s[16:17], s[16:17], s[18:19]
	s_xor_b64 s[18:19], s[16:17], -1
	s_and_saveexec_b64 s[20:21], s[18:19]
	s_xor_b64 s[18:19], exec, s[20:21]
	s_cbranch_execz .LBB37_56
; %bb.55:                               ;   in Loop: Header=BB37_2 Depth=1
	ds_read_b32 v88, v90 offset:4
	v_mov_b32_e32 v87, v86
                                        ; implicit-def: $vgpr89
.LBB37_56:                              ;   in Loop: Header=BB37_2 Depth=1
	s_andn2_saveexec_b64 s[18:19], s[18:19]
	s_cbranch_execz .LBB37_58
; %bb.57:                               ;   in Loop: Header=BB37_2 Depth=1
	ds_read_b32 v87, v89 offset:4
	s_waitcnt lgkmcnt(1)
	v_mov_b32_e32 v88, v84
.LBB37_58:                              ;   in Loop: Header=BB37_2 Depth=1
	s_or_b64 exec, exec, s[18:19]
	v_add_u32_e32 v90, 1, v85
	v_add_u32_e32 v89, 1, v83
	v_cndmask_b32_e64 v90, v90, v85, s[16:17]
	v_cndmask_b32_e64 v89, v83, v89, s[16:17]
	v_cmp_ge_i32_e64 s[20:21], v90, v21
	s_waitcnt lgkmcnt(0)
	v_cmp_lt_i32_e64 s[22:23], v87, v88
	v_cmp_lt_i32_e64 s[18:19], v89, v22
	s_or_b64 s[20:21], s[20:21], s[22:23]
	s_and_b64 s[18:19], s[18:19], s[20:21]
	s_xor_b64 s[20:21], s[18:19], -1
                                        ; implicit-def: $vgpr91
	s_and_saveexec_b64 s[22:23], s[20:21]
	s_xor_b64 s[20:21], exec, s[22:23]
	s_cbranch_execz .LBB37_60
; %bb.59:                               ;   in Loop: Header=BB37_2 Depth=1
	v_lshlrev_b32_e32 v91, 2, v90
	ds_read_b32 v91, v91 offset:4
.LBB37_60:                              ;   in Loop: Header=BB37_2 Depth=1
	s_or_saveexec_b64 s[20:21], s[20:21]
	v_mov_b32_e32 v92, v87
	s_xor_b64 exec, exec, s[20:21]
	s_cbranch_execz .LBB37_62
; %bb.61:                               ;   in Loop: Header=BB37_2 Depth=1
	s_waitcnt lgkmcnt(0)
	v_lshlrev_b32_e32 v91, 2, v89
	ds_read_b32 v92, v91 offset:4
	v_mov_b32_e32 v91, v88
.LBB37_62:                              ;   in Loop: Header=BB37_2 Depth=1
	s_or_b64 exec, exec, s[20:21]
	v_add_u32_e32 v94, 1, v90
	v_add_u32_e32 v93, 1, v89
	v_cndmask_b32_e64 v94, v94, v90, s[18:19]
	v_cndmask_b32_e64 v93, v89, v93, s[18:19]
	v_cmp_ge_i32_e64 s[22:23], v94, v21
	s_waitcnt lgkmcnt(0)
	v_cmp_lt_i32_e64 s[24:25], v92, v91
	v_cmp_lt_i32_e64 s[20:21], v93, v22
	s_or_b64 s[22:23], s[22:23], s[24:25]
	s_and_b64 s[20:21], s[20:21], s[22:23]
	s_xor_b64 s[22:23], s[20:21], -1
                                        ; implicit-def: $vgpr95
	s_and_saveexec_b64 s[24:25], s[22:23]
	s_xor_b64 s[22:23], exec, s[24:25]
	s_cbranch_execz .LBB37_64
; %bb.63:                               ;   in Loop: Header=BB37_2 Depth=1
	v_lshlrev_b32_e32 v95, 2, v94
	ds_read_b32 v95, v95 offset:4
.LBB37_64:                              ;   in Loop: Header=BB37_2 Depth=1
	s_or_saveexec_b64 s[22:23], s[22:23]
	v_mov_b32_e32 v96, v92
	s_xor_b64 exec, exec, s[22:23]
	s_cbranch_execz .LBB37_66
; %bb.65:                               ;   in Loop: Header=BB37_2 Depth=1
	s_waitcnt lgkmcnt(0)
	v_lshlrev_b32_e32 v95, 2, v93
	ds_read_b32 v96, v95 offset:4
	v_mov_b32_e32 v95, v91
.LBB37_66:                              ;   in Loop: Header=BB37_2 Depth=1
	s_or_b64 exec, exec, s[22:23]
	v_add_u32_e32 v97, 1, v94
	v_cndmask_b32_e64 v91, v91, v92, s[20:21]
	v_add_u32_e32 v92, 1, v93
	v_cndmask_b32_e64 v97, v97, v94, s[20:21]
	v_cndmask_b32_e64 v92, v93, v92, s[20:21]
	;; [unrolled: 1-line block ×5, first 2 shown]
	v_cmp_ge_i32_e64 s[18:19], v97, v21
	s_waitcnt lgkmcnt(0)
	v_cmp_lt_i32_e64 s[20:21], v96, v95
	v_cndmask_b32_e64 v84, v84, v86, s[16:17]
	v_cndmask_b32_e64 v83, v85, v83, s[16:17]
	v_cmp_lt_i32_e64 s[16:17], v92, v22
	s_or_b64 s[18:19], s[18:19], s[20:21]
	s_and_b64 s[16:17], s[16:17], s[18:19]
	v_cndmask_b32_e64 v86, v97, v92, s[16:17]
	s_barrier
	ds_write2_b32 v53, v79, v80 offset1:1
	ds_write2_b32 v53, v81, v82 offset0:2 offset1:3
	v_lshlrev_b32_e32 v79, 2, v83
	v_lshlrev_b32_e32 v80, 2, v88
	;; [unrolled: 1-line block ×4, first 2 shown]
	s_waitcnt lgkmcnt(0)
	s_barrier
	ds_read_b32 v79, v79
	ds_read_b32 v80, v80
	;; [unrolled: 1-line block ×4, first 2 shown]
	v_cndmask_b32_e64 v85, v95, v96, s[16:17]
	s_waitcnt lgkmcnt(0)
	s_barrier
	ds_write2_b32 v53, v84, v87 offset1:1
	ds_write2_b32 v53, v91, v85 offset0:2 offset1:3
	v_mov_b32_e32 v85, v37
	s_waitcnt lgkmcnt(0)
	s_barrier
	s_and_saveexec_b64 s[18:19], s[6:7]
	s_cbranch_execz .LBB37_70
; %bb.67:                               ;   in Loop: Header=BB37_2 Depth=1
	s_mov_b64 s[20:21], 0
	v_mov_b32_e32 v85, v37
	v_mov_b32_e32 v83, v31
.LBB37_68:                              ;   Parent Loop BB37_2 Depth=1
                                        ; =>  This Inner Loop Header: Depth=2
	v_sub_u32_e32 v84, v83, v85
	v_lshrrev_b32_e32 v86, 31, v84
	v_add_u32_e32 v84, v84, v86
	v_ashrrev_i32_e32 v84, 1, v84
	v_add_u32_e32 v84, v84, v85
	v_xad_u32 v87, v84, -1, v12
	v_lshl_add_u32 v86, v84, 2, v66
	v_lshl_add_u32 v87, v87, 2, v67
	ds_read_b32 v86, v86
	ds_read_b32 v87, v87
	v_add_u32_e32 v88, 1, v84
	s_waitcnt lgkmcnt(0)
	v_cmp_lt_i32_e64 s[16:17], v87, v86
	s_nop 1
	v_cndmask_b32_e64 v83, v83, v84, s[16:17]
	v_cndmask_b32_e64 v85, v88, v85, s[16:17]
	v_cmp_ge_i32_e64 s[16:17], v85, v83
	s_or_b64 s[20:21], s[16:17], s[20:21]
	s_andn2_b64 exec, exec, s[20:21]
	s_cbranch_execnz .LBB37_68
; %bb.69:                               ;   in Loop: Header=BB37_2 Depth=1
	s_or_b64 exec, exec, s[20:21]
.LBB37_70:                              ;   in Loop: Header=BB37_2 Depth=1
	s_or_b64 exec, exec, s[18:19]
	v_sub_u32_e32 v83, v68, v85
	v_lshl_add_u32 v90, v85, 2, v66
	v_lshlrev_b32_e32 v89, 2, v83
	ds_read_b32 v84, v90
	ds_read_b32 v86, v89
	v_add_u32_e32 v85, v85, v11
	v_cmp_le_i32_e64 s[18:19], v23, v85
	v_cmp_gt_i32_e64 s[16:17], v24, v83
                                        ; implicit-def: $vgpr87
                                        ; implicit-def: $vgpr88
	s_waitcnt lgkmcnt(0)
	v_cmp_lt_i32_e64 s[20:21], v86, v84
	s_or_b64 s[18:19], s[18:19], s[20:21]
	s_and_b64 s[16:17], s[16:17], s[18:19]
	s_xor_b64 s[18:19], s[16:17], -1
	s_and_saveexec_b64 s[20:21], s[18:19]
	s_xor_b64 s[18:19], exec, s[20:21]
	s_cbranch_execz .LBB37_72
; %bb.71:                               ;   in Loop: Header=BB37_2 Depth=1
	ds_read_b32 v88, v90 offset:4
	v_mov_b32_e32 v87, v86
                                        ; implicit-def: $vgpr89
.LBB37_72:                              ;   in Loop: Header=BB37_2 Depth=1
	s_andn2_saveexec_b64 s[18:19], s[18:19]
	s_cbranch_execz .LBB37_74
; %bb.73:                               ;   in Loop: Header=BB37_2 Depth=1
	ds_read_b32 v87, v89 offset:4
	s_waitcnt lgkmcnt(1)
	v_mov_b32_e32 v88, v84
.LBB37_74:                              ;   in Loop: Header=BB37_2 Depth=1
	s_or_b64 exec, exec, s[18:19]
	v_add_u32_e32 v90, 1, v85
	v_add_u32_e32 v89, 1, v83
	v_cndmask_b32_e64 v90, v90, v85, s[16:17]
	v_cndmask_b32_e64 v89, v83, v89, s[16:17]
	v_cmp_ge_i32_e64 s[20:21], v90, v23
	s_waitcnt lgkmcnt(0)
	v_cmp_lt_i32_e64 s[22:23], v87, v88
	v_cmp_lt_i32_e64 s[18:19], v89, v24
	s_or_b64 s[20:21], s[20:21], s[22:23]
	s_and_b64 s[18:19], s[18:19], s[20:21]
	s_xor_b64 s[20:21], s[18:19], -1
                                        ; implicit-def: $vgpr91
	s_and_saveexec_b64 s[22:23], s[20:21]
	s_xor_b64 s[20:21], exec, s[22:23]
	s_cbranch_execz .LBB37_76
; %bb.75:                               ;   in Loop: Header=BB37_2 Depth=1
	v_lshlrev_b32_e32 v91, 2, v90
	ds_read_b32 v91, v91 offset:4
.LBB37_76:                              ;   in Loop: Header=BB37_2 Depth=1
	s_or_saveexec_b64 s[20:21], s[20:21]
	v_mov_b32_e32 v92, v87
	s_xor_b64 exec, exec, s[20:21]
	s_cbranch_execz .LBB37_78
; %bb.77:                               ;   in Loop: Header=BB37_2 Depth=1
	s_waitcnt lgkmcnt(0)
	v_lshlrev_b32_e32 v91, 2, v89
	ds_read_b32 v92, v91 offset:4
	v_mov_b32_e32 v91, v88
.LBB37_78:                              ;   in Loop: Header=BB37_2 Depth=1
	s_or_b64 exec, exec, s[20:21]
	v_add_u32_e32 v94, 1, v90
	v_add_u32_e32 v93, 1, v89
	v_cndmask_b32_e64 v94, v94, v90, s[18:19]
	v_cndmask_b32_e64 v93, v89, v93, s[18:19]
	v_cmp_ge_i32_e64 s[22:23], v94, v23
	s_waitcnt lgkmcnt(0)
	v_cmp_lt_i32_e64 s[24:25], v92, v91
	v_cmp_lt_i32_e64 s[20:21], v93, v24
	s_or_b64 s[22:23], s[22:23], s[24:25]
	s_and_b64 s[20:21], s[20:21], s[22:23]
	s_xor_b64 s[22:23], s[20:21], -1
                                        ; implicit-def: $vgpr95
	s_and_saveexec_b64 s[24:25], s[22:23]
	s_xor_b64 s[22:23], exec, s[24:25]
	s_cbranch_execz .LBB37_80
; %bb.79:                               ;   in Loop: Header=BB37_2 Depth=1
	v_lshlrev_b32_e32 v95, 2, v94
	ds_read_b32 v95, v95 offset:4
.LBB37_80:                              ;   in Loop: Header=BB37_2 Depth=1
	s_or_saveexec_b64 s[22:23], s[22:23]
	v_mov_b32_e32 v96, v92
	s_xor_b64 exec, exec, s[22:23]
	s_cbranch_execz .LBB37_82
; %bb.81:                               ;   in Loop: Header=BB37_2 Depth=1
	s_waitcnt lgkmcnt(0)
	v_lshlrev_b32_e32 v95, 2, v93
	ds_read_b32 v96, v95 offset:4
	v_mov_b32_e32 v95, v91
.LBB37_82:                              ;   in Loop: Header=BB37_2 Depth=1
	s_or_b64 exec, exec, s[22:23]
	v_add_u32_e32 v97, 1, v94
	v_cndmask_b32_e64 v91, v91, v92, s[20:21]
	v_add_u32_e32 v92, 1, v93
	v_cndmask_b32_e64 v97, v97, v94, s[20:21]
	v_cndmask_b32_e64 v92, v93, v92, s[20:21]
	;; [unrolled: 1-line block ×5, first 2 shown]
	v_cmp_ge_i32_e64 s[18:19], v97, v23
	s_waitcnt lgkmcnt(0)
	v_cmp_lt_i32_e64 s[20:21], v96, v95
	v_cndmask_b32_e64 v84, v84, v86, s[16:17]
	v_cndmask_b32_e64 v83, v85, v83, s[16:17]
	v_cmp_lt_i32_e64 s[16:17], v92, v24
	s_or_b64 s[18:19], s[18:19], s[20:21]
	s_and_b64 s[16:17], s[16:17], s[18:19]
	v_cndmask_b32_e64 v86, v97, v92, s[16:17]
	s_barrier
	ds_write2_b32 v53, v79, v80 offset1:1
	ds_write2_b32 v53, v81, v82 offset0:2 offset1:3
	v_lshlrev_b32_e32 v79, 2, v83
	v_lshlrev_b32_e32 v80, 2, v88
	;; [unrolled: 1-line block ×4, first 2 shown]
	s_waitcnt lgkmcnt(0)
	s_barrier
	ds_read_b32 v79, v79
	ds_read_b32 v80, v80
	;; [unrolled: 1-line block ×4, first 2 shown]
	v_cndmask_b32_e64 v85, v95, v96, s[16:17]
	s_waitcnt lgkmcnt(0)
	s_barrier
	ds_write2_b32 v53, v84, v87 offset1:1
	ds_write2_b32 v53, v91, v85 offset0:2 offset1:3
	v_mov_b32_e32 v85, v38
	s_waitcnt lgkmcnt(0)
	s_barrier
	s_and_saveexec_b64 s[18:19], s[8:9]
	s_cbranch_execz .LBB37_86
; %bb.83:                               ;   in Loop: Header=BB37_2 Depth=1
	s_mov_b64 s[20:21], 0
	v_mov_b32_e32 v85, v38
	v_mov_b32_e32 v83, v32
.LBB37_84:                              ;   Parent Loop BB37_2 Depth=1
                                        ; =>  This Inner Loop Header: Depth=2
	v_sub_u32_e32 v84, v83, v85
	v_lshrrev_b32_e32 v86, 31, v84
	v_add_u32_e32 v84, v84, v86
	v_ashrrev_i32_e32 v84, 1, v84
	v_add_u32_e32 v84, v84, v85
	v_xad_u32 v87, v84, -1, v14
	v_lshl_add_u32 v86, v84, 2, v69
	v_lshl_add_u32 v87, v87, 2, v70
	ds_read_b32 v86, v86
	ds_read_b32 v87, v87
	v_add_u32_e32 v88, 1, v84
	s_waitcnt lgkmcnt(0)
	v_cmp_lt_i32_e64 s[16:17], v87, v86
	s_nop 1
	v_cndmask_b32_e64 v83, v83, v84, s[16:17]
	v_cndmask_b32_e64 v85, v88, v85, s[16:17]
	v_cmp_ge_i32_e64 s[16:17], v85, v83
	s_or_b64 s[20:21], s[16:17], s[20:21]
	s_andn2_b64 exec, exec, s[20:21]
	s_cbranch_execnz .LBB37_84
; %bb.85:                               ;   in Loop: Header=BB37_2 Depth=1
	s_or_b64 exec, exec, s[20:21]
.LBB37_86:                              ;   in Loop: Header=BB37_2 Depth=1
	s_or_b64 exec, exec, s[18:19]
	v_sub_u32_e32 v83, v71, v85
	v_lshl_add_u32 v90, v85, 2, v69
	v_lshlrev_b32_e32 v89, 2, v83
	ds_read_b32 v84, v90
	ds_read_b32 v86, v89
	v_add_u32_e32 v85, v85, v13
	v_cmp_le_i32_e64 s[18:19], v25, v85
	v_cmp_gt_i32_e64 s[16:17], v26, v83
                                        ; implicit-def: $vgpr87
                                        ; implicit-def: $vgpr88
	s_waitcnt lgkmcnt(0)
	v_cmp_lt_i32_e64 s[20:21], v86, v84
	s_or_b64 s[18:19], s[18:19], s[20:21]
	s_and_b64 s[16:17], s[16:17], s[18:19]
	s_xor_b64 s[18:19], s[16:17], -1
	s_and_saveexec_b64 s[20:21], s[18:19]
	s_xor_b64 s[18:19], exec, s[20:21]
	s_cbranch_execz .LBB37_88
; %bb.87:                               ;   in Loop: Header=BB37_2 Depth=1
	ds_read_b32 v88, v90 offset:4
	v_mov_b32_e32 v87, v86
                                        ; implicit-def: $vgpr89
.LBB37_88:                              ;   in Loop: Header=BB37_2 Depth=1
	s_andn2_saveexec_b64 s[18:19], s[18:19]
	s_cbranch_execz .LBB37_90
; %bb.89:                               ;   in Loop: Header=BB37_2 Depth=1
	ds_read_b32 v87, v89 offset:4
	s_waitcnt lgkmcnt(1)
	v_mov_b32_e32 v88, v84
.LBB37_90:                              ;   in Loop: Header=BB37_2 Depth=1
	s_or_b64 exec, exec, s[18:19]
	v_add_u32_e32 v90, 1, v85
	v_add_u32_e32 v89, 1, v83
	v_cndmask_b32_e64 v90, v90, v85, s[16:17]
	v_cndmask_b32_e64 v89, v83, v89, s[16:17]
	v_cmp_ge_i32_e64 s[20:21], v90, v25
	s_waitcnt lgkmcnt(0)
	v_cmp_lt_i32_e64 s[22:23], v87, v88
	v_cmp_lt_i32_e64 s[18:19], v89, v26
	s_or_b64 s[20:21], s[20:21], s[22:23]
	s_and_b64 s[18:19], s[18:19], s[20:21]
	s_xor_b64 s[20:21], s[18:19], -1
                                        ; implicit-def: $vgpr91
	s_and_saveexec_b64 s[22:23], s[20:21]
	s_xor_b64 s[20:21], exec, s[22:23]
	s_cbranch_execz .LBB37_92
; %bb.91:                               ;   in Loop: Header=BB37_2 Depth=1
	v_lshlrev_b32_e32 v91, 2, v90
	ds_read_b32 v91, v91 offset:4
.LBB37_92:                              ;   in Loop: Header=BB37_2 Depth=1
	s_or_saveexec_b64 s[20:21], s[20:21]
	v_mov_b32_e32 v92, v87
	s_xor_b64 exec, exec, s[20:21]
	s_cbranch_execz .LBB37_94
; %bb.93:                               ;   in Loop: Header=BB37_2 Depth=1
	s_waitcnt lgkmcnt(0)
	v_lshlrev_b32_e32 v91, 2, v89
	ds_read_b32 v92, v91 offset:4
	v_mov_b32_e32 v91, v88
.LBB37_94:                              ;   in Loop: Header=BB37_2 Depth=1
	s_or_b64 exec, exec, s[20:21]
	v_add_u32_e32 v94, 1, v90
	v_add_u32_e32 v93, 1, v89
	v_cndmask_b32_e64 v94, v94, v90, s[18:19]
	v_cndmask_b32_e64 v93, v89, v93, s[18:19]
	v_cmp_ge_i32_e64 s[22:23], v94, v25
	s_waitcnt lgkmcnt(0)
	v_cmp_lt_i32_e64 s[24:25], v92, v91
	v_cmp_lt_i32_e64 s[20:21], v93, v26
	s_or_b64 s[22:23], s[22:23], s[24:25]
	s_and_b64 s[20:21], s[20:21], s[22:23]
	s_xor_b64 s[22:23], s[20:21], -1
                                        ; implicit-def: $vgpr95
	s_and_saveexec_b64 s[24:25], s[22:23]
	s_xor_b64 s[22:23], exec, s[24:25]
	s_cbranch_execz .LBB37_96
; %bb.95:                               ;   in Loop: Header=BB37_2 Depth=1
	v_lshlrev_b32_e32 v95, 2, v94
	ds_read_b32 v95, v95 offset:4
.LBB37_96:                              ;   in Loop: Header=BB37_2 Depth=1
	s_or_saveexec_b64 s[22:23], s[22:23]
	v_mov_b32_e32 v96, v92
	s_xor_b64 exec, exec, s[22:23]
	s_cbranch_execz .LBB37_98
; %bb.97:                               ;   in Loop: Header=BB37_2 Depth=1
	s_waitcnt lgkmcnt(0)
	v_lshlrev_b32_e32 v95, 2, v93
	ds_read_b32 v96, v95 offset:4
	v_mov_b32_e32 v95, v91
.LBB37_98:                              ;   in Loop: Header=BB37_2 Depth=1
	s_or_b64 exec, exec, s[22:23]
	v_add_u32_e32 v97, 1, v94
	v_cndmask_b32_e64 v91, v91, v92, s[20:21]
	v_add_u32_e32 v92, 1, v93
	v_cndmask_b32_e64 v97, v97, v94, s[20:21]
	v_cndmask_b32_e64 v92, v93, v92, s[20:21]
	v_cndmask_b32_e64 v93, v94, v93, s[20:21]
	v_cndmask_b32_e64 v87, v88, v87, s[18:19]
	v_cndmask_b32_e64 v88, v90, v89, s[18:19]
	v_cmp_ge_i32_e64 s[18:19], v97, v25
	s_waitcnt lgkmcnt(0)
	v_cmp_lt_i32_e64 s[20:21], v96, v95
	v_cndmask_b32_e64 v84, v84, v86, s[16:17]
	v_cndmask_b32_e64 v83, v85, v83, s[16:17]
	v_cmp_lt_i32_e64 s[16:17], v92, v26
	s_or_b64 s[18:19], s[18:19], s[20:21]
	s_and_b64 s[16:17], s[16:17], s[18:19]
	v_cndmask_b32_e64 v86, v97, v92, s[16:17]
	s_barrier
	ds_write2_b32 v53, v79, v80 offset1:1
	ds_write2_b32 v53, v81, v82 offset0:2 offset1:3
	v_lshlrev_b32_e32 v79, 2, v83
	v_lshlrev_b32_e32 v80, 2, v88
	;; [unrolled: 1-line block ×4, first 2 shown]
	s_waitcnt lgkmcnt(0)
	s_barrier
	ds_read_b32 v79, v79
	ds_read_b32 v80, v80
	;; [unrolled: 1-line block ×4, first 2 shown]
	v_cndmask_b32_e64 v85, v95, v96, s[16:17]
	s_waitcnt lgkmcnt(0)
	s_barrier
	ds_write2_b32 v53, v84, v87 offset1:1
	ds_write2_b32 v53, v91, v85 offset0:2 offset1:3
	v_mov_b32_e32 v85, v42
	s_waitcnt lgkmcnt(0)
	s_barrier
	s_and_saveexec_b64 s[18:19], s[10:11]
	s_cbranch_execz .LBB37_102
; %bb.99:                               ;   in Loop: Header=BB37_2 Depth=1
	s_mov_b64 s[20:21], 0
	v_mov_b32_e32 v85, v42
	v_mov_b32_e32 v83, v43
.LBB37_100:                             ;   Parent Loop BB37_2 Depth=1
                                        ; =>  This Inner Loop Header: Depth=2
	v_sub_u32_e32 v84, v83, v85
	v_lshrrev_b32_e32 v86, 31, v84
	v_add_u32_e32 v84, v84, v86
	v_ashrrev_i32_e32 v84, 1, v84
	v_add_u32_e32 v84, v84, v85
	v_xad_u32 v87, v84, -1, v39
	v_lshl_add_u32 v86, v84, 2, v72
	v_lshl_add_u32 v87, v87, 2, v73
	ds_read_b32 v86, v86
	ds_read_b32 v87, v87
	v_add_u32_e32 v88, 1, v84
	s_waitcnt lgkmcnt(0)
	v_cmp_lt_i32_e64 s[16:17], v87, v86
	s_nop 1
	v_cndmask_b32_e64 v83, v83, v84, s[16:17]
	v_cndmask_b32_e64 v85, v88, v85, s[16:17]
	v_cmp_ge_i32_e64 s[16:17], v85, v83
	s_or_b64 s[20:21], s[16:17], s[20:21]
	s_andn2_b64 exec, exec, s[20:21]
	s_cbranch_execnz .LBB37_100
; %bb.101:                              ;   in Loop: Header=BB37_2 Depth=1
	s_or_b64 exec, exec, s[20:21]
.LBB37_102:                             ;   in Loop: Header=BB37_2 Depth=1
	s_or_b64 exec, exec, s[18:19]
	v_sub_u32_e32 v83, v74, v85
	v_lshl_add_u32 v90, v85, 2, v72
	v_lshlrev_b32_e32 v89, 2, v83
	ds_read_b32 v84, v90
	ds_read_b32 v86, v89
	v_add_u32_e32 v85, v85, v15
	v_cmp_le_i32_e64 s[18:19], v40, v85
	v_cmp_gt_i32_e64 s[16:17], v41, v83
                                        ; implicit-def: $vgpr87
                                        ; implicit-def: $vgpr88
	s_waitcnt lgkmcnt(0)
	v_cmp_lt_i32_e64 s[20:21], v86, v84
	s_or_b64 s[18:19], s[18:19], s[20:21]
	s_and_b64 s[16:17], s[16:17], s[18:19]
	s_xor_b64 s[18:19], s[16:17], -1
	s_and_saveexec_b64 s[20:21], s[18:19]
	s_xor_b64 s[18:19], exec, s[20:21]
	s_cbranch_execz .LBB37_104
; %bb.103:                              ;   in Loop: Header=BB37_2 Depth=1
	ds_read_b32 v88, v90 offset:4
	v_mov_b32_e32 v87, v86
                                        ; implicit-def: $vgpr89
.LBB37_104:                             ;   in Loop: Header=BB37_2 Depth=1
	s_andn2_saveexec_b64 s[18:19], s[18:19]
	s_cbranch_execz .LBB37_106
; %bb.105:                              ;   in Loop: Header=BB37_2 Depth=1
	ds_read_b32 v87, v89 offset:4
	s_waitcnt lgkmcnt(1)
	v_mov_b32_e32 v88, v84
.LBB37_106:                             ;   in Loop: Header=BB37_2 Depth=1
	s_or_b64 exec, exec, s[18:19]
	v_add_u32_e32 v90, 1, v85
	v_add_u32_e32 v89, 1, v83
	v_cndmask_b32_e64 v90, v90, v85, s[16:17]
	v_cndmask_b32_e64 v89, v83, v89, s[16:17]
	v_cmp_ge_i32_e64 s[20:21], v90, v40
	s_waitcnt lgkmcnt(0)
	v_cmp_lt_i32_e64 s[22:23], v87, v88
	v_cmp_lt_i32_e64 s[18:19], v89, v41
	s_or_b64 s[20:21], s[20:21], s[22:23]
	s_and_b64 s[18:19], s[18:19], s[20:21]
	s_xor_b64 s[20:21], s[18:19], -1
                                        ; implicit-def: $vgpr91
	s_and_saveexec_b64 s[22:23], s[20:21]
	s_xor_b64 s[20:21], exec, s[22:23]
	s_cbranch_execz .LBB37_108
; %bb.107:                              ;   in Loop: Header=BB37_2 Depth=1
	v_lshlrev_b32_e32 v91, 2, v90
	ds_read_b32 v91, v91 offset:4
.LBB37_108:                             ;   in Loop: Header=BB37_2 Depth=1
	s_or_saveexec_b64 s[20:21], s[20:21]
	v_mov_b32_e32 v92, v87
	s_xor_b64 exec, exec, s[20:21]
	s_cbranch_execz .LBB37_110
; %bb.109:                              ;   in Loop: Header=BB37_2 Depth=1
	s_waitcnt lgkmcnt(0)
	v_lshlrev_b32_e32 v91, 2, v89
	ds_read_b32 v92, v91 offset:4
	v_mov_b32_e32 v91, v88
.LBB37_110:                             ;   in Loop: Header=BB37_2 Depth=1
	s_or_b64 exec, exec, s[20:21]
	v_add_u32_e32 v94, 1, v90
	v_add_u32_e32 v93, 1, v89
	v_cndmask_b32_e64 v94, v94, v90, s[18:19]
	v_cndmask_b32_e64 v93, v89, v93, s[18:19]
	v_cmp_ge_i32_e64 s[22:23], v94, v40
	s_waitcnt lgkmcnt(0)
	v_cmp_lt_i32_e64 s[24:25], v92, v91
	v_cmp_lt_i32_e64 s[20:21], v93, v41
	s_or_b64 s[22:23], s[22:23], s[24:25]
	s_and_b64 s[20:21], s[20:21], s[22:23]
	s_xor_b64 s[22:23], s[20:21], -1
                                        ; implicit-def: $vgpr95
	s_and_saveexec_b64 s[24:25], s[22:23]
	s_xor_b64 s[22:23], exec, s[24:25]
	s_cbranch_execz .LBB37_112
; %bb.111:                              ;   in Loop: Header=BB37_2 Depth=1
	v_lshlrev_b32_e32 v95, 2, v94
	ds_read_b32 v95, v95 offset:4
.LBB37_112:                             ;   in Loop: Header=BB37_2 Depth=1
	s_or_saveexec_b64 s[22:23], s[22:23]
	v_mov_b32_e32 v96, v92
	s_xor_b64 exec, exec, s[22:23]
	s_cbranch_execz .LBB37_114
; %bb.113:                              ;   in Loop: Header=BB37_2 Depth=1
	s_waitcnt lgkmcnt(0)
	v_lshlrev_b32_e32 v95, 2, v93
	ds_read_b32 v96, v95 offset:4
	v_mov_b32_e32 v95, v91
.LBB37_114:                             ;   in Loop: Header=BB37_2 Depth=1
	s_or_b64 exec, exec, s[22:23]
	v_add_u32_e32 v97, 1, v94
	v_cndmask_b32_e64 v91, v91, v92, s[20:21]
	v_add_u32_e32 v92, 1, v93
	v_cndmask_b32_e64 v97, v97, v94, s[20:21]
	v_cndmask_b32_e64 v92, v93, v92, s[20:21]
	;; [unrolled: 1-line block ×5, first 2 shown]
	v_cmp_ge_i32_e64 s[18:19], v97, v40
	s_waitcnt lgkmcnt(0)
	v_cmp_lt_i32_e64 s[20:21], v96, v95
	v_cndmask_b32_e64 v84, v84, v86, s[16:17]
	v_cndmask_b32_e64 v83, v85, v83, s[16:17]
	v_cmp_lt_i32_e64 s[16:17], v92, v41
	s_or_b64 s[18:19], s[18:19], s[20:21]
	s_and_b64 s[16:17], s[16:17], s[18:19]
	v_cndmask_b32_e64 v86, v97, v92, s[16:17]
	s_barrier
	ds_write2_b32 v53, v79, v80 offset1:1
	ds_write2_b32 v53, v81, v82 offset0:2 offset1:3
	v_lshlrev_b32_e32 v79, 2, v83
	v_lshlrev_b32_e32 v80, 2, v88
	;; [unrolled: 1-line block ×4, first 2 shown]
	s_waitcnt lgkmcnt(0)
	s_barrier
	ds_read_b32 v79, v79
	ds_read_b32 v80, v80
	;; [unrolled: 1-line block ×4, first 2 shown]
	v_cndmask_b32_e64 v85, v95, v96, s[16:17]
	s_waitcnt lgkmcnt(0)
	s_barrier
	ds_write2_b32 v53, v84, v87 offset1:1
	ds_write2_b32 v53, v91, v85 offset0:2 offset1:3
	v_mov_b32_e32 v85, v49
	s_waitcnt lgkmcnt(0)
	s_barrier
	s_and_saveexec_b64 s[18:19], s[12:13]
	s_cbranch_execz .LBB37_118
; %bb.115:                              ;   in Loop: Header=BB37_2 Depth=1
	s_mov_b64 s[20:21], 0
	v_mov_b32_e32 v85, v49
	v_mov_b32_e32 v83, v50
.LBB37_116:                             ;   Parent Loop BB37_2 Depth=1
                                        ; =>  This Inner Loop Header: Depth=2
	v_sub_u32_e32 v84, v83, v85
	v_lshrrev_b32_e32 v86, 31, v84
	v_add_u32_e32 v84, v84, v86
	v_ashrrev_i32_e32 v84, 1, v84
	v_add_u32_e32 v84, v84, v85
	v_xad_u32 v87, v84, -1, v46
	v_lshl_add_u32 v86, v84, 2, v75
	v_lshl_add_u32 v87, v87, 2, v76
	ds_read_b32 v86, v86
	ds_read_b32 v87, v87
	v_add_u32_e32 v88, 1, v84
	s_waitcnt lgkmcnt(0)
	v_cmp_lt_i32_e64 s[16:17], v87, v86
	s_nop 1
	v_cndmask_b32_e64 v83, v83, v84, s[16:17]
	v_cndmask_b32_e64 v85, v88, v85, s[16:17]
	v_cmp_ge_i32_e64 s[16:17], v85, v83
	s_or_b64 s[20:21], s[16:17], s[20:21]
	s_andn2_b64 exec, exec, s[20:21]
	s_cbranch_execnz .LBB37_116
; %bb.117:                              ;   in Loop: Header=BB37_2 Depth=1
	s_or_b64 exec, exec, s[20:21]
.LBB37_118:                             ;   in Loop: Header=BB37_2 Depth=1
	s_or_b64 exec, exec, s[18:19]
	v_sub_u32_e32 v83, v77, v85
	v_lshl_add_u32 v90, v85, 2, v75
	v_lshlrev_b32_e32 v89, 2, v83
	ds_read_b32 v84, v90
	ds_read_b32 v86, v89
	v_add_u32_e32 v85, v85, v45
	v_cmp_le_i32_e64 s[18:19], v47, v85
	v_cmp_gt_i32_e64 s[16:17], v48, v83
                                        ; implicit-def: $vgpr87
                                        ; implicit-def: $vgpr88
	s_waitcnt lgkmcnt(0)
	v_cmp_lt_i32_e64 s[20:21], v86, v84
	s_or_b64 s[18:19], s[18:19], s[20:21]
	s_and_b64 s[16:17], s[16:17], s[18:19]
	s_xor_b64 s[18:19], s[16:17], -1
	s_and_saveexec_b64 s[20:21], s[18:19]
	s_xor_b64 s[18:19], exec, s[20:21]
	s_cbranch_execz .LBB37_120
; %bb.119:                              ;   in Loop: Header=BB37_2 Depth=1
	ds_read_b32 v88, v90 offset:4
	v_mov_b32_e32 v87, v86
                                        ; implicit-def: $vgpr89
.LBB37_120:                             ;   in Loop: Header=BB37_2 Depth=1
	s_andn2_saveexec_b64 s[18:19], s[18:19]
	s_cbranch_execz .LBB37_122
; %bb.121:                              ;   in Loop: Header=BB37_2 Depth=1
	ds_read_b32 v87, v89 offset:4
	s_waitcnt lgkmcnt(1)
	v_mov_b32_e32 v88, v84
.LBB37_122:                             ;   in Loop: Header=BB37_2 Depth=1
	s_or_b64 exec, exec, s[18:19]
	v_add_u32_e32 v90, 1, v85
	v_add_u32_e32 v89, 1, v83
	v_cndmask_b32_e64 v90, v90, v85, s[16:17]
	v_cndmask_b32_e64 v89, v83, v89, s[16:17]
	v_cmp_ge_i32_e64 s[20:21], v90, v47
	s_waitcnt lgkmcnt(0)
	v_cmp_lt_i32_e64 s[22:23], v87, v88
	v_cmp_lt_i32_e64 s[18:19], v89, v48
	s_or_b64 s[20:21], s[20:21], s[22:23]
	s_and_b64 s[18:19], s[18:19], s[20:21]
	s_xor_b64 s[20:21], s[18:19], -1
                                        ; implicit-def: $vgpr91
	s_and_saveexec_b64 s[22:23], s[20:21]
	s_xor_b64 s[20:21], exec, s[22:23]
	s_cbranch_execz .LBB37_124
; %bb.123:                              ;   in Loop: Header=BB37_2 Depth=1
	v_lshlrev_b32_e32 v91, 2, v90
	ds_read_b32 v91, v91 offset:4
.LBB37_124:                             ;   in Loop: Header=BB37_2 Depth=1
	s_or_saveexec_b64 s[20:21], s[20:21]
	v_mov_b32_e32 v92, v87
	s_xor_b64 exec, exec, s[20:21]
	s_cbranch_execz .LBB37_126
; %bb.125:                              ;   in Loop: Header=BB37_2 Depth=1
	s_waitcnt lgkmcnt(0)
	v_lshlrev_b32_e32 v91, 2, v89
	ds_read_b32 v92, v91 offset:4
	v_mov_b32_e32 v91, v88
.LBB37_126:                             ;   in Loop: Header=BB37_2 Depth=1
	s_or_b64 exec, exec, s[20:21]
	v_add_u32_e32 v94, 1, v90
	v_add_u32_e32 v93, 1, v89
	v_cndmask_b32_e64 v94, v94, v90, s[18:19]
	v_cndmask_b32_e64 v93, v89, v93, s[18:19]
	v_cmp_ge_i32_e64 s[22:23], v94, v47
	s_waitcnt lgkmcnt(0)
	v_cmp_lt_i32_e64 s[24:25], v92, v91
	v_cmp_lt_i32_e64 s[20:21], v93, v48
	s_or_b64 s[22:23], s[22:23], s[24:25]
	s_and_b64 s[20:21], s[20:21], s[22:23]
	s_xor_b64 s[22:23], s[20:21], -1
                                        ; implicit-def: $vgpr95
	s_and_saveexec_b64 s[24:25], s[22:23]
	s_xor_b64 s[22:23], exec, s[24:25]
	s_cbranch_execz .LBB37_128
; %bb.127:                              ;   in Loop: Header=BB37_2 Depth=1
	v_lshlrev_b32_e32 v95, 2, v94
	ds_read_b32 v95, v95 offset:4
.LBB37_128:                             ;   in Loop: Header=BB37_2 Depth=1
	s_or_saveexec_b64 s[22:23], s[22:23]
	v_mov_b32_e32 v96, v92
	s_xor_b64 exec, exec, s[22:23]
	s_cbranch_execz .LBB37_130
; %bb.129:                              ;   in Loop: Header=BB37_2 Depth=1
	s_waitcnt lgkmcnt(0)
	v_lshlrev_b32_e32 v95, 2, v93
	ds_read_b32 v96, v95 offset:4
	v_mov_b32_e32 v95, v91
.LBB37_130:                             ;   in Loop: Header=BB37_2 Depth=1
	s_or_b64 exec, exec, s[22:23]
	v_add_u32_e32 v97, 1, v94
	v_cndmask_b32_e64 v91, v91, v92, s[20:21]
	v_add_u32_e32 v92, 1, v93
	v_cndmask_b32_e64 v97, v97, v94, s[20:21]
	v_cndmask_b32_e64 v92, v93, v92, s[20:21]
	;; [unrolled: 1-line block ×5, first 2 shown]
	v_cmp_ge_i32_e64 s[18:19], v97, v47
	s_waitcnt lgkmcnt(0)
	v_cmp_lt_i32_e64 s[20:21], v96, v95
	v_cndmask_b32_e64 v84, v84, v86, s[16:17]
	v_cndmask_b32_e64 v83, v85, v83, s[16:17]
	v_cmp_lt_i32_e64 s[16:17], v92, v48
	s_or_b64 s[18:19], s[18:19], s[20:21]
	s_and_b64 s[16:17], s[16:17], s[18:19]
	v_cndmask_b32_e64 v86, v97, v92, s[16:17]
	s_barrier
	ds_write2_b32 v53, v79, v80 offset1:1
	ds_write2_b32 v53, v81, v82 offset0:2 offset1:3
	v_lshlrev_b32_e32 v79, 2, v83
	v_lshlrev_b32_e32 v80, 2, v88
	;; [unrolled: 1-line block ×4, first 2 shown]
	s_waitcnt lgkmcnt(0)
	s_barrier
	ds_read_b32 v79, v79
	ds_read_b32 v80, v80
	;; [unrolled: 1-line block ×4, first 2 shown]
	v_cndmask_b32_e64 v85, v95, v96, s[16:17]
	s_waitcnt lgkmcnt(0)
	s_barrier
	ds_write2_b32 v53, v84, v87 offset1:1
	ds_write2_b32 v53, v91, v85 offset0:2 offset1:3
	v_mov_b32_e32 v84, v51
	s_waitcnt lgkmcnt(0)
	s_barrier
	s_and_saveexec_b64 s[18:19], s[14:15]
	s_cbranch_execz .LBB37_134
; %bb.131:                              ;   in Loop: Header=BB37_2 Depth=1
	s_mov_b64 s[20:21], 0
	v_mov_b32_e32 v84, v51
	v_mov_b32_e32 v83, v52
.LBB37_132:                             ;   Parent Loop BB37_2 Depth=1
                                        ; =>  This Inner Loop Header: Depth=2
	v_sub_u32_e32 v85, v83, v84
	v_lshrrev_b32_e32 v86, 31, v85
	v_add_u32_e32 v85, v85, v86
	v_ashrrev_i32_e32 v85, 1, v85
	v_add_u32_e32 v85, v85, v84
	v_xad_u32 v87, v85, -1, v2
	v_mov_b32_e32 v88, 0x1000
	v_lshlrev_b32_e32 v86, 2, v85
	v_lshl_add_u32 v87, v87, 2, v88
	ds_read_b32 v86, v86
	ds_read_b32 v87, v87
	v_add_u32_e32 v88, 1, v85
	s_waitcnt lgkmcnt(0)
	v_cmp_lt_i32_e64 s[16:17], v87, v86
	s_nop 1
	v_cndmask_b32_e64 v83, v83, v85, s[16:17]
	v_cndmask_b32_e64 v84, v88, v84, s[16:17]
	v_cmp_ge_i32_e64 s[16:17], v84, v83
	s_or_b64 s[20:21], s[16:17], s[20:21]
	s_andn2_b64 exec, exec, s[20:21]
	s_cbranch_execnz .LBB37_132
; %bb.133:                              ;   in Loop: Header=BB37_2 Depth=1
	s_or_b64 exec, exec, s[20:21]
.LBB37_134:                             ;   in Loop: Header=BB37_2 Depth=1
	s_or_b64 exec, exec, s[18:19]
	v_sub_u32_e32 v87, v78, v84
	v_lshlrev_b32_e32 v90, 2, v84
	v_lshlrev_b32_e32 v89, 2, v87
	ds_read_b32 v83, v90
	ds_read_b32 v88, v89
	v_cmp_le_i32_e64 s[18:19], v44, v84
	v_cmp_gt_i32_e64 s[16:17], s33, v87
                                        ; implicit-def: $vgpr85
                                        ; implicit-def: $vgpr86
	s_waitcnt lgkmcnt(0)
	v_cmp_lt_i32_e64 s[20:21], v88, v83
	s_or_b64 s[18:19], s[18:19], s[20:21]
	s_and_b64 s[16:17], s[16:17], s[18:19]
	s_xor_b64 s[18:19], s[16:17], -1
	s_and_saveexec_b64 s[20:21], s[18:19]
	s_xor_b64 s[18:19], exec, s[20:21]
	s_cbranch_execz .LBB37_136
; %bb.135:                              ;   in Loop: Header=BB37_2 Depth=1
	ds_read_b32 v86, v90 offset:4
	v_mov_b32_e32 v85, v88
                                        ; implicit-def: $vgpr89
.LBB37_136:                             ;   in Loop: Header=BB37_2 Depth=1
	s_andn2_saveexec_b64 s[18:19], s[18:19]
	s_cbranch_execz .LBB37_138
; %bb.137:                              ;   in Loop: Header=BB37_2 Depth=1
	ds_read_b32 v85, v89 offset:4
	s_waitcnt lgkmcnt(1)
	v_mov_b32_e32 v86, v83
.LBB37_138:                             ;   in Loop: Header=BB37_2 Depth=1
	s_or_b64 exec, exec, s[18:19]
	v_add_u32_e32 v90, 1, v84
	v_add_u32_e32 v89, 1, v87
	v_cndmask_b32_e64 v92, v90, v84, s[16:17]
	v_cndmask_b32_e64 v91, v87, v89, s[16:17]
	v_cmp_ge_i32_e64 s[20:21], v92, v44
	s_waitcnt lgkmcnt(0)
	v_cmp_lt_i32_e64 s[22:23], v85, v86
	v_cmp_gt_i32_e64 s[18:19], s33, v91
	s_or_b64 s[20:21], s[20:21], s[22:23]
	s_and_b64 s[18:19], s[18:19], s[20:21]
	s_xor_b64 s[20:21], s[18:19], -1
                                        ; implicit-def: $vgpr89
	s_and_saveexec_b64 s[22:23], s[20:21]
	s_xor_b64 s[20:21], exec, s[22:23]
	s_cbranch_execz .LBB37_140
; %bb.139:                              ;   in Loop: Header=BB37_2 Depth=1
	v_lshlrev_b32_e32 v89, 2, v92
	ds_read_b32 v89, v89 offset:4
.LBB37_140:                             ;   in Loop: Header=BB37_2 Depth=1
	s_or_saveexec_b64 s[20:21], s[20:21]
	v_mov_b32_e32 v90, v85
	s_xor_b64 exec, exec, s[20:21]
	s_cbranch_execz .LBB37_142
; %bb.141:                              ;   in Loop: Header=BB37_2 Depth=1
	s_waitcnt lgkmcnt(0)
	v_lshlrev_b32_e32 v89, 2, v91
	ds_read_b32 v90, v89 offset:4
	v_mov_b32_e32 v89, v86
.LBB37_142:                             ;   in Loop: Header=BB37_2 Depth=1
	s_or_b64 exec, exec, s[20:21]
	v_add_u32_e32 v94, 1, v92
	v_add_u32_e32 v93, 1, v91
	v_cndmask_b32_e64 v96, v94, v92, s[18:19]
	v_cndmask_b32_e64 v93, v91, v93, s[18:19]
	v_cmp_ge_i32_e64 s[22:23], v96, v44
	s_waitcnt lgkmcnt(0)
	v_cmp_lt_i32_e64 s[24:25], v90, v89
	v_cmp_gt_i32_e64 s[20:21], s33, v93
	s_or_b64 s[22:23], s[22:23], s[24:25]
	s_and_b64 s[20:21], s[20:21], s[22:23]
	s_xor_b64 s[22:23], s[20:21], -1
                                        ; implicit-def: $vgpr95
                                        ; implicit-def: $vgpr94
	s_and_saveexec_b64 s[24:25], s[22:23]
	s_xor_b64 s[22:23], exec, s[24:25]
	s_cbranch_execz .LBB37_144
; %bb.143:                              ;   in Loop: Header=BB37_2 Depth=1
	v_lshlrev_b32_e32 v94, 2, v96
	ds_read_b32 v95, v94 offset:4
	v_add_u32_e32 v94, 1, v96
.LBB37_144:                             ;   in Loop: Header=BB37_2 Depth=1
	s_or_saveexec_b64 s[22:23], s[22:23]
	v_mov_b32_e32 v97, v96
	v_mov_b32_e32 v98, v90
	s_xor_b64 exec, exec, s[22:23]
	s_cbranch_execz .LBB37_1
; %bb.145:                              ;   in Loop: Header=BB37_2 Depth=1
	v_lshlrev_b32_e32 v94, 2, v93
	ds_read_b32 v98, v94 offset:4
	s_waitcnt lgkmcnt(1)
	v_add_u32_e32 v95, 1, v93
	v_mov_b32_e32 v97, v93
	v_mov_b32_e32 v94, v96
	;; [unrolled: 1-line block ×4, first 2 shown]
	s_branch .LBB37_1
.LBB37_146:
	s_add_u32 s0, s42, s44
	s_addc_u32 s1, s43, s45
	v_lshlrev_b32_e32 v0, 2, v0
	v_mov_b32_e32 v1, 0
	s_waitcnt lgkmcnt(3)
	v_add_u32_e32 v4, v83, v79
	v_lshl_add_u64 v[2:3], s[0:1], 0, v[0:1]
	s_waitcnt lgkmcnt(2)
	v_add_u32_e32 v5, v85, v81
	global_store_dword v0, v4, s[0:1]
	global_store_dword v0, v5, s[0:1] offset:2048
	v_add_co_u32_e32 v0, vcc, 0x1000, v2
	s_waitcnt lgkmcnt(1)
	v_add_u32_e32 v6, v86, v80
	v_addc_co_u32_e32 v1, vcc, 0, v3, vcc
	s_waitcnt lgkmcnt(0)
	v_add_u32_e32 v7, v84, v82
	global_store_dword v[0:1], v6, off
	global_store_dword v[0:1], v7, off offset:2048
	s_endpgm
	.section	.rodata,"a",@progbits
	.p2align	6, 0x0
	.amdhsa_kernel _Z17sort_pairs_kernelIiLj512ELj4EN10test_utils4lessELj10EEvPKT_PS2_T2_
		.amdhsa_group_segment_fixed_size 8196
		.amdhsa_private_segment_fixed_size 0
		.amdhsa_kernarg_size 20
		.amdhsa_user_sgpr_count 2
		.amdhsa_user_sgpr_dispatch_ptr 0
		.amdhsa_user_sgpr_queue_ptr 0
		.amdhsa_user_sgpr_kernarg_segment_ptr 1
		.amdhsa_user_sgpr_dispatch_id 0
		.amdhsa_user_sgpr_kernarg_preload_length 0
		.amdhsa_user_sgpr_kernarg_preload_offset 0
		.amdhsa_user_sgpr_private_segment_size 0
		.amdhsa_uses_dynamic_stack 0
		.amdhsa_enable_private_segment 0
		.amdhsa_system_sgpr_workgroup_id_x 1
		.amdhsa_system_sgpr_workgroup_id_y 0
		.amdhsa_system_sgpr_workgroup_id_z 0
		.amdhsa_system_sgpr_workgroup_info 0
		.amdhsa_system_vgpr_workitem_id 0
		.amdhsa_next_free_vgpr 99
		.amdhsa_next_free_sgpr 48
		.amdhsa_accum_offset 100
		.amdhsa_reserve_vcc 1
		.amdhsa_float_round_mode_32 0
		.amdhsa_float_round_mode_16_64 0
		.amdhsa_float_denorm_mode_32 3
		.amdhsa_float_denorm_mode_16_64 3
		.amdhsa_dx10_clamp 1
		.amdhsa_ieee_mode 1
		.amdhsa_fp16_overflow 0
		.amdhsa_tg_split 0
		.amdhsa_exception_fp_ieee_invalid_op 0
		.amdhsa_exception_fp_denorm_src 0
		.amdhsa_exception_fp_ieee_div_zero 0
		.amdhsa_exception_fp_ieee_overflow 0
		.amdhsa_exception_fp_ieee_underflow 0
		.amdhsa_exception_fp_ieee_inexact 0
		.amdhsa_exception_int_div_zero 0
	.end_amdhsa_kernel
	.section	.text._Z17sort_pairs_kernelIiLj512ELj4EN10test_utils4lessELj10EEvPKT_PS2_T2_,"axG",@progbits,_Z17sort_pairs_kernelIiLj512ELj4EN10test_utils4lessELj10EEvPKT_PS2_T2_,comdat
.Lfunc_end37:
	.size	_Z17sort_pairs_kernelIiLj512ELj4EN10test_utils4lessELj10EEvPKT_PS2_T2_, .Lfunc_end37-_Z17sort_pairs_kernelIiLj512ELj4EN10test_utils4lessELj10EEvPKT_PS2_T2_
                                        ; -- End function
	.section	.AMDGPU.csdata,"",@progbits
; Kernel info:
; codeLenInByte = 7992
; NumSgprs: 54
; NumVgprs: 99
; NumAgprs: 0
; TotalNumVgprs: 99
; ScratchSize: 0
; MemoryBound: 0
; FloatMode: 240
; IeeeMode: 1
; LDSByteSize: 8196 bytes/workgroup (compile time only)
; SGPRBlocks: 6
; VGPRBlocks: 12
; NumSGPRsForWavesPerEU: 54
; NumVGPRsForWavesPerEU: 99
; AccumOffset: 100
; Occupancy: 4
; WaveLimiterHint : 1
; COMPUTE_PGM_RSRC2:SCRATCH_EN: 0
; COMPUTE_PGM_RSRC2:USER_SGPR: 2
; COMPUTE_PGM_RSRC2:TRAP_HANDLER: 0
; COMPUTE_PGM_RSRC2:TGID_X_EN: 1
; COMPUTE_PGM_RSRC2:TGID_Y_EN: 0
; COMPUTE_PGM_RSRC2:TGID_Z_EN: 0
; COMPUTE_PGM_RSRC2:TIDIG_COMP_CNT: 0
; COMPUTE_PGM_RSRC3_GFX90A:ACCUM_OFFSET: 24
; COMPUTE_PGM_RSRC3_GFX90A:TG_SPLIT: 0
	.section	.text._Z16sort_keys_kernelIiLj512ELj8EN10test_utils4lessELj10EEvPKT_PS2_T2_,"axG",@progbits,_Z16sort_keys_kernelIiLj512ELj8EN10test_utils4lessELj10EEvPKT_PS2_T2_,comdat
	.protected	_Z16sort_keys_kernelIiLj512ELj8EN10test_utils4lessELj10EEvPKT_PS2_T2_ ; -- Begin function _Z16sort_keys_kernelIiLj512ELj8EN10test_utils4lessELj10EEvPKT_PS2_T2_
	.globl	_Z16sort_keys_kernelIiLj512ELj8EN10test_utils4lessELj10EEvPKT_PS2_T2_
	.p2align	8
	.type	_Z16sort_keys_kernelIiLj512ELj8EN10test_utils4lessELj10EEvPKT_PS2_T2_,@function
_Z16sort_keys_kernelIiLj512ELj8EN10test_utils4lessELj10EEvPKT_PS2_T2_: ; @_Z16sort_keys_kernelIiLj512ELj8EN10test_utils4lessELj10EEvPKT_PS2_T2_
; %bb.0:
	s_load_dwordx4 s[36:39], s[0:1], 0x0
	s_lshl_b32 s40, s2, 12
	s_mov_b32 s41, 0
	s_lshl_b64 s[42:43], s[40:41], 2
	v_mov_b32_e32 v3, 0
	s_waitcnt lgkmcnt(0)
	s_add_u32 s0, s36, s42
	s_addc_u32 s1, s37, s43
	v_lshlrev_b32_e32 v2, 2, v0
	v_lshl_add_u64 v[4:5], s[0:1], 0, v[2:3]
	s_movk_i32 s33, 0x1000
	v_add_co_u32_e32 v6, vcc, s33, v4
	s_movk_i32 s2, 0x2000
	s_nop 0
	v_addc_co_u32_e32 v7, vcc, 0, v5, vcc
	v_add_co_u32_e32 v8, vcc, s2, v4
	s_movk_i32 s2, 0x3000
	s_nop 0
	v_addc_co_u32_e32 v9, vcc, 0, v5, vcc
	v_add_co_u32_e32 v4, vcc, s2, v4
	global_load_dword v83, v[8:9], off offset:-4096
	global_load_dword v81, v[8:9], off
	global_load_dword v82, v[8:9], off offset:2048
	v_addc_co_u32_e32 v5, vcc, 0, v5, vcc
	global_load_dword v85, v[6:7], off offset:2048
	global_load_dword v80, v[4:5], off
	global_load_dword v88, v2, s[0:1] offset:2048
	global_load_dword v89, v2, s[0:1]
	global_load_dword v84, v[4:5], off offset:2048
	v_lshlrev_b32_e32 v1, 3, v0
	v_and_b32_e32 v39, 0xf00, v1
	v_or_b32_e32 v41, 0x80, v39
	v_add_u32_e32 v42, 0x100, v39
	v_and_b32_e32 v40, 0xf8, v1
	v_sub_u32_e32 v44, v42, v41
	v_sub_u32_e32 v46, v40, v44
	v_cmp_ge_i32_e64 s[6:7], v40, v44
	v_and_b32_e32 v47, 0x1f8, v1
	v_and_b32_e32 v3, 0xff0, v1
	v_cndmask_b32_e64 v44, 0, v46, s[6:7]
	v_and_b32_e32 v46, 0xe00, v1
	v_or_b32_e32 v48, 0x100, v46
	v_add_u32_e32 v49, 0x200, v46
	v_sub_u32_e32 v50, v49, v48
	v_sub_u32_e32 v52, v47, v50
	v_cmp_ge_i32_e64 s[8:9], v47, v50
	v_and_b32_e32 v12, 0xfe0, v1
	v_and_b32_e32 v21, 0xfc0, v1
	v_cndmask_b32_e64 v50, 0, v52, s[8:9]
	v_and_b32_e32 v52, 0xc00, v1
	v_and_b32_e32 v30, 0xf80, v1
	v_or_b32_e32 v54, 0x200, v52
	v_add_u32_e32 v55, 0x400, v52
	v_and_b32_e32 v59, 0x800, v1
	v_or_b32_e32 v5, 8, v3
	v_add_u32_e32 v6, 16, v3
	v_or_b32_e32 v14, 16, v12
	v_add_u32_e32 v15, 32, v12
	;; [unrolled: 2-line block ×4, first 2 shown]
	v_and_b32_e32 v53, 0x3f8, v1
	v_sub_u32_e32 v56, v55, v54
	v_or_b32_e32 v61, 0x400, v59
	v_add_u32_e32 v62, 0x800, v59
	v_and_b32_e32 v4, 8, v1
	v_sub_u32_e32 v9, v6, v5
	v_and_b32_e32 v13, 24, v1
	v_sub_u32_e32 v18, v15, v14
	;; [unrolled: 2-line block ×4, first 2 shown]
	v_sub_u32_e32 v58, v53, v56
	v_cmp_ge_i32_e64 s[10:11], v53, v56
	v_and_b32_e32 v60, 0x7f8, v1
	v_sub_u32_e32 v63, v62, v61
	v_sub_u32_e32 v10, v5, v3
	;; [unrolled: 1-line block ×3, first 2 shown]
	v_cmp_ge_i32_e32 vcc, v4, v9
	v_sub_u32_e32 v19, v14, v12
	v_sub_u32_e32 v20, v13, v18
	v_cmp_ge_i32_e64 s[0:1], v13, v18
	v_sub_u32_e32 v28, v23, v21
	v_sub_u32_e32 v29, v22, v27
	v_cmp_ge_i32_e64 s[2:3], v22, v27
	v_sub_u32_e32 v37, v32, v30
	v_sub_u32_e32 v38, v31, v36
	v_cmp_ge_i32_e64 s[4:5], v31, v36
	v_sub_u32_e32 v45, v41, v39
	v_sub_u32_e32 v51, v48, v46
	v_sub_u32_e32 v57, v54, v52
	v_cndmask_b32_e64 v56, 0, v58, s[10:11]
	v_mov_b32_e32 v58, 0x800
	v_sub_u32_e32 v64, v61, v59
	v_sub_u32_e32 v65, v60, v63
	v_cmp_ge_i32_e64 s[12:13], v60, v63
	v_cndmask_b32_e32 v9, 0, v11, vcc
	v_min_i32_e32 v10, v4, v10
	v_cndmask_b32_e64 v18, 0, v20, s[0:1]
	v_min_i32_e32 v19, v13, v19
	v_cndmask_b32_e64 v27, 0, v29, s[2:3]
	;; [unrolled: 2-line block ×3, first 2 shown]
	v_min_i32_e32 v37, v31, v37
	v_min_i32_e32 v45, v40, v45
	v_min_i32_e32 v51, v47, v51
	v_min_i32_e32 v57, v53, v57
	v_cndmask_b32_e64 v63, 0, v65, s[12:13]
	v_min_i32_e32 v64, v60, v64
	v_sub_u32_e64 v65, v1, v58 clamp
	v_min_i32_e32 v66, 0x800, v1
	v_lshlrev_b32_e32 v2, 5, v0
	v_lshlrev_b32_e32 v7, 2, v3
	;; [unrolled: 1-line block ×3, first 2 shown]
	v_cmp_lt_i32_e32 vcc, v9, v10
	v_add_u32_e32 v11, v5, v4
	v_lshlrev_b32_e32 v16, 2, v12
	v_lshlrev_b32_e32 v17, 2, v14
	v_cmp_lt_i32_e64 s[0:1], v18, v19
	v_add_u32_e32 v20, v14, v13
	v_lshlrev_b32_e32 v25, 2, v21
	v_lshlrev_b32_e32 v26, 2, v23
	v_cmp_lt_i32_e64 s[2:3], v27, v28
	;; [unrolled: 4-line block ×3, first 2 shown]
	v_add_u32_e32 v38, v32, v31
	v_lshlrev_b32_e32 v43, 2, v39
	v_cmp_lt_i32_e64 s[6:7], v44, v45
	v_cmp_lt_i32_e64 s[8:9], v50, v51
	;; [unrolled: 1-line block ×5, first 2 shown]
	v_lshlrev_b32_e32 v67, 2, v41
	v_add_u32_e32 v68, v41, v40
	v_lshlrev_b32_e32 v69, 2, v46
	v_lshlrev_b32_e32 v70, 2, v48
	v_add_u32_e32 v71, v48, v47
	v_lshlrev_b32_e32 v72, 2, v52
	;; [unrolled: 3-line block ×3, first 2 shown]
	v_lshlrev_b32_e32 v76, 2, v61
	v_add_u32_e32 v77, v61, v60
	v_mov_b32_e32 v78, 0x2000
	v_add_u32_e32 v79, 0x800, v1
	s_branch .LBB38_2
.LBB38_1:                               ;   in Loop: Header=BB38_2 Depth=1
	s_or_b64 exec, exec, s[30:31]
	v_cndmask_b32_e64 v88, v83, v82, s[18:19]
	v_cndmask_b32_e64 v83, v84, v85, s[20:21]
	v_cmp_ge_i32_e64 s[18:19], v98, v58
	s_waitcnt lgkmcnt(0)
	v_cmp_lt_i32_e64 s[20:21], v99, v97
	v_cndmask_b32_e64 v89, v80, v81, s[16:17]
	v_cmp_gt_i32_e64 s[16:17], s33, v96
	s_or_b64 s[18:19], s[18:19], s[20:21]
	s_add_i32 s41, s41, 1
	s_and_b64 s[16:17], s[16:17], s[18:19]
	v_cndmask_b32_e64 v85, v86, v87, s[22:23]
	v_cndmask_b32_e64 v81, v90, v91, s[24:25]
	;; [unrolled: 1-line block ×4, first 2 shown]
	s_cmp_eq_u32 s41, 10
	v_cndmask_b32_e64 v84, v97, v99, s[16:17]
	s_cbranch_scc1 .LBB38_290
.LBB38_2:                               ; =>This Loop Header: Depth=1
                                        ;     Child Loop BB38_4 Depth 2
                                        ;     Child Loop BB38_36 Depth 2
	;; [unrolled: 1-line block ×9, first 2 shown]
	s_waitcnt vmcnt(1)
	v_cmp_lt_i32_e64 s[16:17], v88, v89
	v_min_i32_e32 v90, v88, v89
	v_max_i32_e32 v92, v85, v83
	v_cndmask_b32_e64 v86, v89, v88, s[16:17]
	v_cndmask_b32_e64 v87, v88, v89, s[16:17]
	v_cmp_lt_i32_e64 s[16:17], v85, v83
	v_max_i32_e32 v88, v88, v89
	v_max_i32_e32 v94, v82, v81
	v_cndmask_b32_e64 v89, v85, v83, s[16:17]
	v_cndmask_b32_e64 v91, v83, v85, s[16:17]
	v_cmp_lt_i32_e64 s[16:17], v82, v81
	v_min_i32_e32 v83, v85, v83
	s_waitcnt vmcnt(0)
	v_max_i32_e32 v96, v84, v80
	v_cndmask_b32_e64 v85, v82, v81, s[16:17]
	v_cndmask_b32_e64 v93, v81, v82, s[16:17]
	v_cmp_lt_i32_e64 s[16:17], v84, v80
	v_min_i32_e32 v81, v82, v81
	v_max_i32_e32 v97, v81, v92
	v_cndmask_b32_e64 v82, v84, v80, s[16:17]
	v_cndmask_b32_e64 v95, v80, v84, s[16:17]
	v_cmp_lt_i32_e64 s[16:17], v83, v88
	v_min_i32_e32 v80, v84, v80
	s_nop 0
	v_cndmask_b32_e64 v84, v91, v88, s[16:17]
	v_cndmask_b32_e64 v87, v87, v83, s[16:17]
	v_cmp_lt_i32_e64 s[16:17], v81, v92
	v_max_i32_e32 v91, v83, v88
	v_min_i32_e32 v88, v83, v88
	v_cndmask_b32_e64 v93, v93, v92, s[16:17]
	v_cndmask_b32_e64 v89, v89, v81, s[16:17]
	v_cmp_lt_i32_e64 s[16:17], v80, v94
	v_min_i32_e32 v81, v81, v92
	s_barrier
	v_cndmask_b32_e64 v92, v95, v94, s[16:17]
	v_cndmask_b32_e64 v85, v85, v80, s[16:17]
	v_cmp_lt_i32_e64 s[16:17], v83, v90
	v_max_i32_e32 v95, v80, v94
	v_min_i32_e32 v80, v80, v94
	v_cndmask_b32_e64 v83, v86, v88, s[16:17]
	v_cndmask_b32_e64 v86, v87, v90, s[16:17]
	;; [unrolled: 1-line block ×4, first 2 shown]
	v_cmp_lt_i32_e64 s[16:17], v81, v91
	v_max_i32_e32 v90, v81, v91
	s_nop 0
	v_cndmask_b32_e64 v89, v89, v91, s[16:17]
	v_cndmask_b32_e64 v84, v84, v81, s[16:17]
	v_cmp_lt_i32_e64 s[16:17], v80, v97
	v_min_i32_e32 v81, v81, v91
	s_nop 0
	v_cndmask_b32_e64 v85, v85, v97, s[16:17]
	v_cndmask_b32_e64 v91, v93, v80, s[16:17]
	v_cmp_gt_i32_e64 s[16:17], v94, v96
	v_max_i32_e32 v93, v80, v97
	v_min_i32_e32 v80, v80, v97
	v_cndmask_b32_e64 v82, v82, v95, s[16:17]
	v_cndmask_b32_e64 v92, v92, v96, s[16:17]
	;; [unrolled: 1-line block ×4, first 2 shown]
	v_cmp_lt_i32_e64 s[16:17], v81, v88
	v_max_i32_e32 v96, v81, v88
	s_nop 0
	v_cndmask_b32_e64 v84, v84, v88, s[16:17]
	v_cndmask_b32_e64 v86, v86, v81, s[16:17]
	v_cmp_lt_i32_e64 s[16:17], v80, v90
	v_min_i32_e32 v81, v81, v88
	s_nop 0
	v_cndmask_b32_e64 v88, v91, v90, s[16:17]
	v_cndmask_b32_e64 v89, v89, v80, s[16:17]
	v_cmp_lt_i32_e64 s[16:17], v95, v93
	v_max_i32_e32 v91, v80, v90
	v_min_i32_e32 v80, v80, v90
	v_cndmask_b32_e64 v90, v92, v93, s[16:17]
	v_cndmask_b32_e64 v85, v85, v95, s[16:17]
	v_cmp_lt_i32_e64 s[16:17], v81, v87
	v_max_i32_e32 v92, v95, v93
	v_min_i32_e32 v93, v95, v93
	v_cndmask_b32_e64 v83, v83, v81, s[16:17]
	v_cndmask_b32_e64 v86, v86, v87, s[16:17]
	v_cmp_lt_i32_e64 s[16:17], v80, v96
	v_min_i32_e32 v95, v81, v87
	v_max_i32_e32 v81, v81, v87
	v_cndmask_b32_e64 v87, v89, v96, s[16:17]
	v_cndmask_b32_e64 v84, v84, v80, s[16:17]
	v_cmp_lt_i32_e64 s[16:17], v93, v91
	v_max_i32_e32 v89, v80, v96
	v_min_i32_e32 v80, v80, v96
	v_cndmask_b32_e64 v85, v85, v91, s[16:17]
	v_cndmask_b32_e64 v88, v88, v93, s[16:17]
	v_cmp_lt_i32_e64 s[16:17], v94, v92
	v_max_i32_e32 v96, v93, v91
	v_min_i32_e32 v91, v93, v91
	;; [unrolled: 5-line block ×6, first 2 shown]
	v_cndmask_b32_e64 v80, v83, v81, s[16:17]
	v_cndmask_b32_e64 v83, v86, v95, s[16:17]
	v_cndmask_b32_e64 v81, v81, v95, s[16:17]
	v_cmp_lt_i32_e64 s[16:17], v89, v94
	s_nop 1
	v_cndmask_b32_e64 v84, v84, v89, s[16:17]
	v_cndmask_b32_e64 v86, v87, v94, s[16:17]
	v_cmp_lt_i32_e64 s[16:17], v92, v97
	v_max_i32_e32 v87, v89, v94
	v_min_i32_e32 v89, v89, v94
	v_cndmask_b32_e64 v85, v85, v97, s[16:17]
	v_cndmask_b32_e64 v88, v88, v92, s[16:17]
	v_cmp_gt_i32_e64 s[16:17], v96, v93
	v_max_i32_e32 v94, v92, v97
	v_min_i32_e32 v92, v92, v97
	v_cndmask_b32_e64 v82, v82, v91, s[16:17]
	v_cndmask_b32_e64 v90, v90, v93, s[16:17]
	;; [unrolled: 1-line block ×3, first 2 shown]
	v_cmp_lt_i32_e64 s[16:17], v89, v81
	s_nop 1
	v_cndmask_b32_e64 v81, v84, v81, s[16:17]
	v_cndmask_b32_e64 v83, v83, v89, s[16:17]
	v_cmp_lt_i32_e64 s[16:17], v92, v87
	s_nop 1
	v_cndmask_b32_e64 v84, v88, v87, s[16:17]
	v_cndmask_b32_e64 v86, v86, v92, s[16:17]
	v_cmp_lt_i32_e64 s[16:17], v91, v94
	s_nop 1
	v_cndmask_b32_e64 v87, v90, v94, s[16:17]
	v_cndmask_b32_e64 v85, v85, v91, s[16:17]
	ds_write2_b32 v2, v80, v83 offset1:1
	ds_write2_b32 v2, v81, v86 offset0:2 offset1:3
	ds_write2_b32 v2, v84, v85 offset0:4 offset1:5
	;; [unrolled: 1-line block ×3, first 2 shown]
	v_mov_b32_e32 v82, v9
	s_waitcnt lgkmcnt(0)
	s_barrier
	s_and_saveexec_b64 s[18:19], vcc
	s_cbranch_execz .LBB38_6
; %bb.3:                                ;   in Loop: Header=BB38_2 Depth=1
	s_mov_b64 s[20:21], 0
	v_mov_b32_e32 v82, v9
	v_mov_b32_e32 v80, v10
.LBB38_4:                               ;   Parent Loop BB38_2 Depth=1
                                        ; =>  This Inner Loop Header: Depth=2
	v_sub_u32_e32 v81, v80, v82
	v_lshrrev_b32_e32 v83, 31, v81
	v_add_u32_e32 v81, v81, v83
	v_ashrrev_i32_e32 v81, 1, v81
	v_add_u32_e32 v81, v81, v82
	v_xad_u32 v84, v81, -1, v4
	v_lshl_add_u32 v83, v81, 2, v7
	v_lshl_add_u32 v84, v84, 2, v8
	ds_read_b32 v83, v83
	ds_read_b32 v84, v84
	v_add_u32_e32 v85, 1, v81
	s_waitcnt lgkmcnt(0)
	v_cmp_lt_i32_e64 s[16:17], v84, v83
	s_nop 1
	v_cndmask_b32_e64 v80, v80, v81, s[16:17]
	v_cndmask_b32_e64 v82, v85, v82, s[16:17]
	v_cmp_ge_i32_e64 s[16:17], v82, v80
	s_or_b64 s[20:21], s[16:17], s[20:21]
	s_andn2_b64 exec, exec, s[20:21]
	s_cbranch_execnz .LBB38_4
; %bb.5:                                ;   in Loop: Header=BB38_2 Depth=1
	s_or_b64 exec, exec, s[20:21]
.LBB38_6:                               ;   in Loop: Header=BB38_2 Depth=1
	s_or_b64 exec, exec, s[18:19]
	v_sub_u32_e32 v84, v11, v82
	v_lshl_add_u32 v87, v82, 2, v7
	v_lshlrev_b32_e32 v86, 2, v84
	ds_read_b32 v80, v87
	ds_read_b32 v81, v86
	v_add_u32_e32 v85, v82, v3
	v_cmp_le_i32_e64 s[18:19], v5, v85
	v_cmp_gt_i32_e64 s[16:17], v6, v84
                                        ; implicit-def: $vgpr82
                                        ; implicit-def: $vgpr83
	s_waitcnt lgkmcnt(0)
	v_cmp_lt_i32_e64 s[20:21], v81, v80
	s_or_b64 s[18:19], s[18:19], s[20:21]
	s_and_b64 s[16:17], s[16:17], s[18:19]
	s_xor_b64 s[18:19], s[16:17], -1
	s_and_saveexec_b64 s[20:21], s[18:19]
	s_xor_b64 s[18:19], exec, s[20:21]
	s_cbranch_execz .LBB38_8
; %bb.7:                                ;   in Loop: Header=BB38_2 Depth=1
	ds_read_b32 v83, v87 offset:4
	v_mov_b32_e32 v82, v81
                                        ; implicit-def: $vgpr86
.LBB38_8:                               ;   in Loop: Header=BB38_2 Depth=1
	s_andn2_saveexec_b64 s[18:19], s[18:19]
	s_cbranch_execz .LBB38_10
; %bb.9:                                ;   in Loop: Header=BB38_2 Depth=1
	ds_read_b32 v82, v86 offset:4
	s_waitcnt lgkmcnt(1)
	v_mov_b32_e32 v83, v80
.LBB38_10:                              ;   in Loop: Header=BB38_2 Depth=1
	s_or_b64 exec, exec, s[18:19]
	v_add_u32_e32 v87, 1, v85
	v_add_u32_e32 v86, 1, v84
	v_cndmask_b32_e64 v87, v87, v85, s[16:17]
	v_cndmask_b32_e64 v86, v84, v86, s[16:17]
	v_cmp_ge_i32_e64 s[20:21], v87, v5
	s_waitcnt lgkmcnt(0)
	v_cmp_lt_i32_e64 s[22:23], v82, v83
	v_cmp_lt_i32_e64 s[18:19], v86, v6
	s_or_b64 s[20:21], s[20:21], s[22:23]
	s_and_b64 s[18:19], s[18:19], s[20:21]
	s_xor_b64 s[20:21], s[18:19], -1
                                        ; implicit-def: $vgpr84
	s_and_saveexec_b64 s[22:23], s[20:21]
	s_xor_b64 s[20:21], exec, s[22:23]
	s_cbranch_execz .LBB38_12
; %bb.11:                               ;   in Loop: Header=BB38_2 Depth=1
	v_lshlrev_b32_e32 v84, 2, v87
	ds_read_b32 v84, v84 offset:4
.LBB38_12:                              ;   in Loop: Header=BB38_2 Depth=1
	s_or_saveexec_b64 s[20:21], s[20:21]
	v_mov_b32_e32 v85, v82
	s_xor_b64 exec, exec, s[20:21]
	s_cbranch_execz .LBB38_14
; %bb.13:                               ;   in Loop: Header=BB38_2 Depth=1
	s_waitcnt lgkmcnt(0)
	v_lshlrev_b32_e32 v84, 2, v86
	ds_read_b32 v85, v84 offset:4
	v_mov_b32_e32 v84, v83
.LBB38_14:                              ;   in Loop: Header=BB38_2 Depth=1
	s_or_b64 exec, exec, s[20:21]
	v_add_u32_e32 v89, 1, v87
	v_add_u32_e32 v88, 1, v86
	v_cndmask_b32_e64 v89, v89, v87, s[18:19]
	v_cndmask_b32_e64 v88, v86, v88, s[18:19]
	v_cmp_ge_i32_e64 s[22:23], v89, v5
	s_waitcnt lgkmcnt(0)
	v_cmp_lt_i32_e64 s[24:25], v85, v84
	v_cmp_lt_i32_e64 s[20:21], v88, v6
	s_or_b64 s[22:23], s[22:23], s[24:25]
	s_and_b64 s[20:21], s[20:21], s[22:23]
	s_xor_b64 s[22:23], s[20:21], -1
                                        ; implicit-def: $vgpr86
	s_and_saveexec_b64 s[24:25], s[22:23]
	s_xor_b64 s[22:23], exec, s[24:25]
	s_cbranch_execz .LBB38_16
; %bb.15:                               ;   in Loop: Header=BB38_2 Depth=1
	v_lshlrev_b32_e32 v86, 2, v89
	ds_read_b32 v86, v86 offset:4
.LBB38_16:                              ;   in Loop: Header=BB38_2 Depth=1
	s_or_saveexec_b64 s[22:23], s[22:23]
	v_mov_b32_e32 v87, v85
	s_xor_b64 exec, exec, s[22:23]
	s_cbranch_execz .LBB38_18
; %bb.17:                               ;   in Loop: Header=BB38_2 Depth=1
	s_waitcnt lgkmcnt(0)
	v_lshlrev_b32_e32 v86, 2, v88
	ds_read_b32 v87, v86 offset:4
	v_mov_b32_e32 v86, v84
.LBB38_18:                              ;   in Loop: Header=BB38_2 Depth=1
	s_or_b64 exec, exec, s[22:23]
	v_add_u32_e32 v91, 1, v89
	v_add_u32_e32 v90, 1, v88
	v_cndmask_b32_e64 v91, v91, v89, s[20:21]
	v_cndmask_b32_e64 v90, v88, v90, s[20:21]
	v_cmp_ge_i32_e64 s[24:25], v91, v5
	s_waitcnt lgkmcnt(0)
	v_cmp_lt_i32_e64 s[26:27], v87, v86
	v_cmp_lt_i32_e64 s[22:23], v90, v6
	s_or_b64 s[24:25], s[24:25], s[26:27]
	s_and_b64 s[22:23], s[22:23], s[24:25]
	s_xor_b64 s[24:25], s[22:23], -1
                                        ; implicit-def: $vgpr88
	s_and_saveexec_b64 s[26:27], s[24:25]
	s_xor_b64 s[24:25], exec, s[26:27]
	s_cbranch_execz .LBB38_20
; %bb.19:                               ;   in Loop: Header=BB38_2 Depth=1
	v_lshlrev_b32_e32 v88, 2, v91
	ds_read_b32 v88, v88 offset:4
.LBB38_20:                              ;   in Loop: Header=BB38_2 Depth=1
	s_or_saveexec_b64 s[24:25], s[24:25]
	v_mov_b32_e32 v89, v87
	s_xor_b64 exec, exec, s[24:25]
	s_cbranch_execz .LBB38_22
; %bb.21:                               ;   in Loop: Header=BB38_2 Depth=1
	s_waitcnt lgkmcnt(0)
	v_lshlrev_b32_e32 v88, 2, v90
	ds_read_b32 v89, v88 offset:4
	v_mov_b32_e32 v88, v86
.LBB38_22:                              ;   in Loop: Header=BB38_2 Depth=1
	s_or_b64 exec, exec, s[24:25]
	v_add_u32_e32 v93, 1, v91
	v_add_u32_e32 v92, 1, v90
	v_cndmask_b32_e64 v93, v93, v91, s[22:23]
	v_cndmask_b32_e64 v92, v90, v92, s[22:23]
	v_cmp_ge_i32_e64 s[26:27], v93, v5
	s_waitcnt lgkmcnt(0)
	v_cmp_lt_i32_e64 s[28:29], v89, v88
	v_cmp_lt_i32_e64 s[24:25], v92, v6
	s_or_b64 s[26:27], s[26:27], s[28:29]
	s_and_b64 s[24:25], s[24:25], s[26:27]
	s_xor_b64 s[26:27], s[24:25], -1
                                        ; implicit-def: $vgpr90
	s_and_saveexec_b64 s[28:29], s[26:27]
	s_xor_b64 s[26:27], exec, s[28:29]
	s_cbranch_execz .LBB38_24
; %bb.23:                               ;   in Loop: Header=BB38_2 Depth=1
	v_lshlrev_b32_e32 v90, 2, v93
	ds_read_b32 v90, v90 offset:4
.LBB38_24:                              ;   in Loop: Header=BB38_2 Depth=1
	s_or_saveexec_b64 s[26:27], s[26:27]
	v_mov_b32_e32 v91, v89
	s_xor_b64 exec, exec, s[26:27]
	s_cbranch_execz .LBB38_26
; %bb.25:                               ;   in Loop: Header=BB38_2 Depth=1
	s_waitcnt lgkmcnt(0)
	v_lshlrev_b32_e32 v90, 2, v92
	ds_read_b32 v91, v90 offset:4
	v_mov_b32_e32 v90, v88
.LBB38_26:                              ;   in Loop: Header=BB38_2 Depth=1
	s_or_b64 exec, exec, s[26:27]
	v_add_u32_e32 v95, 1, v93
	v_add_u32_e32 v94, 1, v92
	v_cndmask_b32_e64 v95, v95, v93, s[24:25]
	v_cndmask_b32_e64 v94, v92, v94, s[24:25]
	v_cmp_ge_i32_e64 s[28:29], v95, v5
	s_waitcnt lgkmcnt(0)
	v_cmp_lt_i32_e64 s[30:31], v91, v90
	v_cmp_lt_i32_e64 s[26:27], v94, v6
	s_or_b64 s[28:29], s[28:29], s[30:31]
	s_and_b64 s[26:27], s[26:27], s[28:29]
	s_xor_b64 s[28:29], s[26:27], -1
                                        ; implicit-def: $vgpr92
	s_and_saveexec_b64 s[30:31], s[28:29]
	s_xor_b64 s[28:29], exec, s[30:31]
	s_cbranch_execz .LBB38_28
; %bb.27:                               ;   in Loop: Header=BB38_2 Depth=1
	v_lshlrev_b32_e32 v92, 2, v95
	ds_read_b32 v92, v92 offset:4
.LBB38_28:                              ;   in Loop: Header=BB38_2 Depth=1
	s_or_saveexec_b64 s[28:29], s[28:29]
	v_mov_b32_e32 v93, v91
	s_xor_b64 exec, exec, s[28:29]
	s_cbranch_execz .LBB38_30
; %bb.29:                               ;   in Loop: Header=BB38_2 Depth=1
	s_waitcnt lgkmcnt(0)
	v_lshlrev_b32_e32 v92, 2, v94
	ds_read_b32 v93, v92 offset:4
	v_mov_b32_e32 v92, v90
.LBB38_30:                              ;   in Loop: Header=BB38_2 Depth=1
	s_or_b64 exec, exec, s[28:29]
	v_add_u32_e32 v97, 1, v95
	v_add_u32_e32 v96, 1, v94
	v_cndmask_b32_e64 v95, v97, v95, s[26:27]
	v_cndmask_b32_e64 v94, v94, v96, s[26:27]
	v_cmp_ge_i32_e64 s[30:31], v95, v5
	s_waitcnt lgkmcnt(0)
	v_cmp_lt_i32_e64 s[34:35], v93, v92
	v_cmp_lt_i32_e64 s[28:29], v94, v6
	s_or_b64 s[30:31], s[30:31], s[34:35]
	s_and_b64 s[28:29], s[28:29], s[30:31]
	s_xor_b64 s[30:31], s[28:29], -1
                                        ; implicit-def: $vgpr96
	s_and_saveexec_b64 s[34:35], s[30:31]
	s_xor_b64 s[30:31], exec, s[34:35]
	s_cbranch_execz .LBB38_32
; %bb.31:                               ;   in Loop: Header=BB38_2 Depth=1
	v_lshlrev_b32_e32 v96, 2, v95
	ds_read_b32 v96, v96 offset:4
.LBB38_32:                              ;   in Loop: Header=BB38_2 Depth=1
	s_or_saveexec_b64 s[30:31], s[30:31]
	v_mov_b32_e32 v97, v93
	s_xor_b64 exec, exec, s[30:31]
	s_cbranch_execz .LBB38_34
; %bb.33:                               ;   in Loop: Header=BB38_2 Depth=1
	s_waitcnt lgkmcnt(0)
	v_lshlrev_b32_e32 v96, 2, v94
	ds_read_b32 v97, v96 offset:4
	v_mov_b32_e32 v96, v92
.LBB38_34:                              ;   in Loop: Header=BB38_2 Depth=1
	s_or_b64 exec, exec, s[30:31]
	v_cndmask_b32_e64 v92, v92, v93, s[28:29]
	v_add_u32_e32 v93, 1, v94
	v_add_u32_e32 v98, 1, v95
	v_cndmask_b32_e64 v93, v94, v93, s[28:29]
	v_cndmask_b32_e64 v94, v98, v95, s[28:29]
	;; [unrolled: 1-line block ×4, first 2 shown]
	v_cmp_ge_i32_e64 s[18:19], v94, v5
	s_waitcnt lgkmcnt(0)
	v_cmp_lt_i32_e64 s[20:21], v97, v96
	v_cndmask_b32_e64 v80, v80, v81, s[16:17]
	v_cmp_lt_i32_e64 s[16:17], v93, v6
	s_or_b64 s[18:19], s[18:19], s[20:21]
	s_and_b64 s[16:17], s[16:17], s[18:19]
	v_cndmask_b32_e64 v90, v90, v91, s[26:27]
	v_cndmask_b32_e64 v88, v88, v89, s[24:25]
	;; [unrolled: 1-line block ×4, first 2 shown]
	s_barrier
	ds_write2_b32 v2, v80, v82 offset1:1
	ds_write2_b32 v2, v84, v86 offset0:2 offset1:3
	ds_write2_b32 v2, v88, v90 offset0:4 offset1:5
	;; [unrolled: 1-line block ×3, first 2 shown]
	v_mov_b32_e32 v82, v18
	s_waitcnt lgkmcnt(0)
	s_barrier
	s_and_saveexec_b64 s[18:19], s[0:1]
	s_cbranch_execz .LBB38_38
; %bb.35:                               ;   in Loop: Header=BB38_2 Depth=1
	s_mov_b64 s[20:21], 0
	v_mov_b32_e32 v82, v18
	v_mov_b32_e32 v80, v19
.LBB38_36:                              ;   Parent Loop BB38_2 Depth=1
                                        ; =>  This Inner Loop Header: Depth=2
	v_sub_u32_e32 v81, v80, v82
	v_lshrrev_b32_e32 v83, 31, v81
	v_add_u32_e32 v81, v81, v83
	v_ashrrev_i32_e32 v81, 1, v81
	v_add_u32_e32 v81, v81, v82
	v_xad_u32 v84, v81, -1, v13
	v_lshl_add_u32 v83, v81, 2, v16
	v_lshl_add_u32 v84, v84, 2, v17
	ds_read_b32 v83, v83
	ds_read_b32 v84, v84
	v_add_u32_e32 v85, 1, v81
	s_waitcnt lgkmcnt(0)
	v_cmp_lt_i32_e64 s[16:17], v84, v83
	s_nop 1
	v_cndmask_b32_e64 v80, v80, v81, s[16:17]
	v_cndmask_b32_e64 v82, v85, v82, s[16:17]
	v_cmp_ge_i32_e64 s[16:17], v82, v80
	s_or_b64 s[20:21], s[16:17], s[20:21]
	s_andn2_b64 exec, exec, s[20:21]
	s_cbranch_execnz .LBB38_36
; %bb.37:                               ;   in Loop: Header=BB38_2 Depth=1
	s_or_b64 exec, exec, s[20:21]
.LBB38_38:                              ;   in Loop: Header=BB38_2 Depth=1
	s_or_b64 exec, exec, s[18:19]
	v_sub_u32_e32 v84, v20, v82
	v_lshl_add_u32 v87, v82, 2, v16
	v_lshlrev_b32_e32 v86, 2, v84
	ds_read_b32 v80, v87
	ds_read_b32 v81, v86
	v_add_u32_e32 v85, v82, v12
	v_cmp_le_i32_e64 s[18:19], v14, v85
	v_cmp_gt_i32_e64 s[16:17], v15, v84
                                        ; implicit-def: $vgpr82
                                        ; implicit-def: $vgpr83
	s_waitcnt lgkmcnt(0)
	v_cmp_lt_i32_e64 s[20:21], v81, v80
	s_or_b64 s[18:19], s[18:19], s[20:21]
	s_and_b64 s[16:17], s[16:17], s[18:19]
	s_xor_b64 s[18:19], s[16:17], -1
	s_and_saveexec_b64 s[20:21], s[18:19]
	s_xor_b64 s[18:19], exec, s[20:21]
	s_cbranch_execz .LBB38_40
; %bb.39:                               ;   in Loop: Header=BB38_2 Depth=1
	ds_read_b32 v83, v87 offset:4
	v_mov_b32_e32 v82, v81
                                        ; implicit-def: $vgpr86
.LBB38_40:                              ;   in Loop: Header=BB38_2 Depth=1
	s_andn2_saveexec_b64 s[18:19], s[18:19]
	s_cbranch_execz .LBB38_42
; %bb.41:                               ;   in Loop: Header=BB38_2 Depth=1
	ds_read_b32 v82, v86 offset:4
	s_waitcnt lgkmcnt(1)
	v_mov_b32_e32 v83, v80
.LBB38_42:                              ;   in Loop: Header=BB38_2 Depth=1
	s_or_b64 exec, exec, s[18:19]
	v_add_u32_e32 v87, 1, v85
	v_add_u32_e32 v86, 1, v84
	v_cndmask_b32_e64 v87, v87, v85, s[16:17]
	v_cndmask_b32_e64 v86, v84, v86, s[16:17]
	v_cmp_ge_i32_e64 s[20:21], v87, v14
	s_waitcnt lgkmcnt(0)
	v_cmp_lt_i32_e64 s[22:23], v82, v83
	v_cmp_lt_i32_e64 s[18:19], v86, v15
	s_or_b64 s[20:21], s[20:21], s[22:23]
	s_and_b64 s[18:19], s[18:19], s[20:21]
	s_xor_b64 s[20:21], s[18:19], -1
                                        ; implicit-def: $vgpr84
	s_and_saveexec_b64 s[22:23], s[20:21]
	s_xor_b64 s[20:21], exec, s[22:23]
	s_cbranch_execz .LBB38_44
; %bb.43:                               ;   in Loop: Header=BB38_2 Depth=1
	v_lshlrev_b32_e32 v84, 2, v87
	ds_read_b32 v84, v84 offset:4
.LBB38_44:                              ;   in Loop: Header=BB38_2 Depth=1
	s_or_saveexec_b64 s[20:21], s[20:21]
	v_mov_b32_e32 v85, v82
	s_xor_b64 exec, exec, s[20:21]
	s_cbranch_execz .LBB38_46
; %bb.45:                               ;   in Loop: Header=BB38_2 Depth=1
	s_waitcnt lgkmcnt(0)
	v_lshlrev_b32_e32 v84, 2, v86
	ds_read_b32 v85, v84 offset:4
	v_mov_b32_e32 v84, v83
.LBB38_46:                              ;   in Loop: Header=BB38_2 Depth=1
	s_or_b64 exec, exec, s[20:21]
	v_add_u32_e32 v89, 1, v87
	v_add_u32_e32 v88, 1, v86
	v_cndmask_b32_e64 v89, v89, v87, s[18:19]
	v_cndmask_b32_e64 v88, v86, v88, s[18:19]
	v_cmp_ge_i32_e64 s[22:23], v89, v14
	s_waitcnt lgkmcnt(0)
	v_cmp_lt_i32_e64 s[24:25], v85, v84
	v_cmp_lt_i32_e64 s[20:21], v88, v15
	s_or_b64 s[22:23], s[22:23], s[24:25]
	s_and_b64 s[20:21], s[20:21], s[22:23]
	s_xor_b64 s[22:23], s[20:21], -1
                                        ; implicit-def: $vgpr86
	s_and_saveexec_b64 s[24:25], s[22:23]
	s_xor_b64 s[22:23], exec, s[24:25]
	s_cbranch_execz .LBB38_48
; %bb.47:                               ;   in Loop: Header=BB38_2 Depth=1
	v_lshlrev_b32_e32 v86, 2, v89
	ds_read_b32 v86, v86 offset:4
.LBB38_48:                              ;   in Loop: Header=BB38_2 Depth=1
	s_or_saveexec_b64 s[22:23], s[22:23]
	v_mov_b32_e32 v87, v85
	s_xor_b64 exec, exec, s[22:23]
	s_cbranch_execz .LBB38_50
; %bb.49:                               ;   in Loop: Header=BB38_2 Depth=1
	s_waitcnt lgkmcnt(0)
	v_lshlrev_b32_e32 v86, 2, v88
	ds_read_b32 v87, v86 offset:4
	v_mov_b32_e32 v86, v84
.LBB38_50:                              ;   in Loop: Header=BB38_2 Depth=1
	s_or_b64 exec, exec, s[22:23]
	v_add_u32_e32 v91, 1, v89
	v_add_u32_e32 v90, 1, v88
	v_cndmask_b32_e64 v91, v91, v89, s[20:21]
	v_cndmask_b32_e64 v90, v88, v90, s[20:21]
	v_cmp_ge_i32_e64 s[24:25], v91, v14
	s_waitcnt lgkmcnt(0)
	v_cmp_lt_i32_e64 s[26:27], v87, v86
	v_cmp_lt_i32_e64 s[22:23], v90, v15
	s_or_b64 s[24:25], s[24:25], s[26:27]
	s_and_b64 s[22:23], s[22:23], s[24:25]
	s_xor_b64 s[24:25], s[22:23], -1
                                        ; implicit-def: $vgpr88
	s_and_saveexec_b64 s[26:27], s[24:25]
	s_xor_b64 s[24:25], exec, s[26:27]
	s_cbranch_execz .LBB38_52
; %bb.51:                               ;   in Loop: Header=BB38_2 Depth=1
	v_lshlrev_b32_e32 v88, 2, v91
	ds_read_b32 v88, v88 offset:4
.LBB38_52:                              ;   in Loop: Header=BB38_2 Depth=1
	s_or_saveexec_b64 s[24:25], s[24:25]
	v_mov_b32_e32 v89, v87
	s_xor_b64 exec, exec, s[24:25]
	s_cbranch_execz .LBB38_54
; %bb.53:                               ;   in Loop: Header=BB38_2 Depth=1
	s_waitcnt lgkmcnt(0)
	v_lshlrev_b32_e32 v88, 2, v90
	ds_read_b32 v89, v88 offset:4
	v_mov_b32_e32 v88, v86
.LBB38_54:                              ;   in Loop: Header=BB38_2 Depth=1
	s_or_b64 exec, exec, s[24:25]
	v_add_u32_e32 v93, 1, v91
	v_add_u32_e32 v92, 1, v90
	v_cndmask_b32_e64 v93, v93, v91, s[22:23]
	v_cndmask_b32_e64 v92, v90, v92, s[22:23]
	v_cmp_ge_i32_e64 s[26:27], v93, v14
	s_waitcnt lgkmcnt(0)
	v_cmp_lt_i32_e64 s[28:29], v89, v88
	v_cmp_lt_i32_e64 s[24:25], v92, v15
	s_or_b64 s[26:27], s[26:27], s[28:29]
	s_and_b64 s[24:25], s[24:25], s[26:27]
	s_xor_b64 s[26:27], s[24:25], -1
                                        ; implicit-def: $vgpr90
	s_and_saveexec_b64 s[28:29], s[26:27]
	s_xor_b64 s[26:27], exec, s[28:29]
	s_cbranch_execz .LBB38_56
; %bb.55:                               ;   in Loop: Header=BB38_2 Depth=1
	v_lshlrev_b32_e32 v90, 2, v93
	ds_read_b32 v90, v90 offset:4
.LBB38_56:                              ;   in Loop: Header=BB38_2 Depth=1
	s_or_saveexec_b64 s[26:27], s[26:27]
	v_mov_b32_e32 v91, v89
	s_xor_b64 exec, exec, s[26:27]
	s_cbranch_execz .LBB38_58
; %bb.57:                               ;   in Loop: Header=BB38_2 Depth=1
	s_waitcnt lgkmcnt(0)
	v_lshlrev_b32_e32 v90, 2, v92
	ds_read_b32 v91, v90 offset:4
	v_mov_b32_e32 v90, v88
.LBB38_58:                              ;   in Loop: Header=BB38_2 Depth=1
	s_or_b64 exec, exec, s[26:27]
	v_add_u32_e32 v95, 1, v93
	v_add_u32_e32 v94, 1, v92
	v_cndmask_b32_e64 v95, v95, v93, s[24:25]
	v_cndmask_b32_e64 v94, v92, v94, s[24:25]
	v_cmp_ge_i32_e64 s[28:29], v95, v14
	s_waitcnt lgkmcnt(0)
	v_cmp_lt_i32_e64 s[30:31], v91, v90
	v_cmp_lt_i32_e64 s[26:27], v94, v15
	s_or_b64 s[28:29], s[28:29], s[30:31]
	s_and_b64 s[26:27], s[26:27], s[28:29]
	s_xor_b64 s[28:29], s[26:27], -1
                                        ; implicit-def: $vgpr92
	s_and_saveexec_b64 s[30:31], s[28:29]
	s_xor_b64 s[28:29], exec, s[30:31]
	s_cbranch_execz .LBB38_60
; %bb.59:                               ;   in Loop: Header=BB38_2 Depth=1
	v_lshlrev_b32_e32 v92, 2, v95
	ds_read_b32 v92, v92 offset:4
.LBB38_60:                              ;   in Loop: Header=BB38_2 Depth=1
	s_or_saveexec_b64 s[28:29], s[28:29]
	v_mov_b32_e32 v93, v91
	s_xor_b64 exec, exec, s[28:29]
	s_cbranch_execz .LBB38_62
; %bb.61:                               ;   in Loop: Header=BB38_2 Depth=1
	s_waitcnt lgkmcnt(0)
	v_lshlrev_b32_e32 v92, 2, v94
	ds_read_b32 v93, v92 offset:4
	v_mov_b32_e32 v92, v90
.LBB38_62:                              ;   in Loop: Header=BB38_2 Depth=1
	s_or_b64 exec, exec, s[28:29]
	v_add_u32_e32 v97, 1, v95
	v_add_u32_e32 v96, 1, v94
	v_cndmask_b32_e64 v95, v97, v95, s[26:27]
	v_cndmask_b32_e64 v94, v94, v96, s[26:27]
	v_cmp_ge_i32_e64 s[30:31], v95, v14
	s_waitcnt lgkmcnt(0)
	v_cmp_lt_i32_e64 s[34:35], v93, v92
	v_cmp_lt_i32_e64 s[28:29], v94, v15
	s_or_b64 s[30:31], s[30:31], s[34:35]
	s_and_b64 s[28:29], s[28:29], s[30:31]
	s_xor_b64 s[30:31], s[28:29], -1
                                        ; implicit-def: $vgpr96
	s_and_saveexec_b64 s[34:35], s[30:31]
	s_xor_b64 s[30:31], exec, s[34:35]
	s_cbranch_execz .LBB38_64
; %bb.63:                               ;   in Loop: Header=BB38_2 Depth=1
	v_lshlrev_b32_e32 v96, 2, v95
	ds_read_b32 v96, v96 offset:4
.LBB38_64:                              ;   in Loop: Header=BB38_2 Depth=1
	s_or_saveexec_b64 s[30:31], s[30:31]
	v_mov_b32_e32 v97, v93
	s_xor_b64 exec, exec, s[30:31]
	s_cbranch_execz .LBB38_66
; %bb.65:                               ;   in Loop: Header=BB38_2 Depth=1
	s_waitcnt lgkmcnt(0)
	v_lshlrev_b32_e32 v96, 2, v94
	ds_read_b32 v97, v96 offset:4
	v_mov_b32_e32 v96, v92
.LBB38_66:                              ;   in Loop: Header=BB38_2 Depth=1
	s_or_b64 exec, exec, s[30:31]
	v_cndmask_b32_e64 v92, v92, v93, s[28:29]
	v_add_u32_e32 v93, 1, v94
	v_add_u32_e32 v98, 1, v95
	v_cndmask_b32_e64 v93, v94, v93, s[28:29]
	v_cndmask_b32_e64 v94, v98, v95, s[28:29]
	;; [unrolled: 1-line block ×4, first 2 shown]
	v_cmp_ge_i32_e64 s[18:19], v94, v14
	s_waitcnt lgkmcnt(0)
	v_cmp_lt_i32_e64 s[20:21], v97, v96
	v_cndmask_b32_e64 v80, v80, v81, s[16:17]
	v_cmp_lt_i32_e64 s[16:17], v93, v15
	s_or_b64 s[18:19], s[18:19], s[20:21]
	s_and_b64 s[16:17], s[16:17], s[18:19]
	v_cndmask_b32_e64 v90, v90, v91, s[26:27]
	v_cndmask_b32_e64 v88, v88, v89, s[24:25]
	;; [unrolled: 1-line block ×4, first 2 shown]
	s_barrier
	ds_write2_b32 v2, v80, v82 offset1:1
	ds_write2_b32 v2, v84, v86 offset0:2 offset1:3
	ds_write2_b32 v2, v88, v90 offset0:4 offset1:5
	;; [unrolled: 1-line block ×3, first 2 shown]
	v_mov_b32_e32 v82, v27
	s_waitcnt lgkmcnt(0)
	s_barrier
	s_and_saveexec_b64 s[18:19], s[2:3]
	s_cbranch_execz .LBB38_70
; %bb.67:                               ;   in Loop: Header=BB38_2 Depth=1
	s_mov_b64 s[20:21], 0
	v_mov_b32_e32 v82, v27
	v_mov_b32_e32 v80, v28
.LBB38_68:                              ;   Parent Loop BB38_2 Depth=1
                                        ; =>  This Inner Loop Header: Depth=2
	v_sub_u32_e32 v81, v80, v82
	v_lshrrev_b32_e32 v83, 31, v81
	v_add_u32_e32 v81, v81, v83
	v_ashrrev_i32_e32 v81, 1, v81
	v_add_u32_e32 v81, v81, v82
	v_xad_u32 v84, v81, -1, v22
	v_lshl_add_u32 v83, v81, 2, v25
	v_lshl_add_u32 v84, v84, 2, v26
	ds_read_b32 v83, v83
	ds_read_b32 v84, v84
	v_add_u32_e32 v85, 1, v81
	s_waitcnt lgkmcnt(0)
	v_cmp_lt_i32_e64 s[16:17], v84, v83
	s_nop 1
	v_cndmask_b32_e64 v80, v80, v81, s[16:17]
	v_cndmask_b32_e64 v82, v85, v82, s[16:17]
	v_cmp_ge_i32_e64 s[16:17], v82, v80
	s_or_b64 s[20:21], s[16:17], s[20:21]
	s_andn2_b64 exec, exec, s[20:21]
	s_cbranch_execnz .LBB38_68
; %bb.69:                               ;   in Loop: Header=BB38_2 Depth=1
	s_or_b64 exec, exec, s[20:21]
.LBB38_70:                              ;   in Loop: Header=BB38_2 Depth=1
	s_or_b64 exec, exec, s[18:19]
	v_sub_u32_e32 v84, v29, v82
	v_lshl_add_u32 v87, v82, 2, v25
	v_lshlrev_b32_e32 v86, 2, v84
	ds_read_b32 v80, v87
	ds_read_b32 v81, v86
	v_add_u32_e32 v85, v82, v21
	v_cmp_le_i32_e64 s[18:19], v23, v85
	v_cmp_gt_i32_e64 s[16:17], v24, v84
                                        ; implicit-def: $vgpr82
                                        ; implicit-def: $vgpr83
	s_waitcnt lgkmcnt(0)
	v_cmp_lt_i32_e64 s[20:21], v81, v80
	s_or_b64 s[18:19], s[18:19], s[20:21]
	s_and_b64 s[16:17], s[16:17], s[18:19]
	s_xor_b64 s[18:19], s[16:17], -1
	s_and_saveexec_b64 s[20:21], s[18:19]
	s_xor_b64 s[18:19], exec, s[20:21]
	s_cbranch_execz .LBB38_72
; %bb.71:                               ;   in Loop: Header=BB38_2 Depth=1
	ds_read_b32 v83, v87 offset:4
	v_mov_b32_e32 v82, v81
                                        ; implicit-def: $vgpr86
.LBB38_72:                              ;   in Loop: Header=BB38_2 Depth=1
	s_andn2_saveexec_b64 s[18:19], s[18:19]
	s_cbranch_execz .LBB38_74
; %bb.73:                               ;   in Loop: Header=BB38_2 Depth=1
	ds_read_b32 v82, v86 offset:4
	s_waitcnt lgkmcnt(1)
	v_mov_b32_e32 v83, v80
.LBB38_74:                              ;   in Loop: Header=BB38_2 Depth=1
	s_or_b64 exec, exec, s[18:19]
	v_add_u32_e32 v87, 1, v85
	v_add_u32_e32 v86, 1, v84
	v_cndmask_b32_e64 v87, v87, v85, s[16:17]
	v_cndmask_b32_e64 v86, v84, v86, s[16:17]
	v_cmp_ge_i32_e64 s[20:21], v87, v23
	s_waitcnt lgkmcnt(0)
	v_cmp_lt_i32_e64 s[22:23], v82, v83
	v_cmp_lt_i32_e64 s[18:19], v86, v24
	s_or_b64 s[20:21], s[20:21], s[22:23]
	s_and_b64 s[18:19], s[18:19], s[20:21]
	s_xor_b64 s[20:21], s[18:19], -1
                                        ; implicit-def: $vgpr84
	s_and_saveexec_b64 s[22:23], s[20:21]
	s_xor_b64 s[20:21], exec, s[22:23]
	s_cbranch_execz .LBB38_76
; %bb.75:                               ;   in Loop: Header=BB38_2 Depth=1
	v_lshlrev_b32_e32 v84, 2, v87
	ds_read_b32 v84, v84 offset:4
.LBB38_76:                              ;   in Loop: Header=BB38_2 Depth=1
	s_or_saveexec_b64 s[20:21], s[20:21]
	v_mov_b32_e32 v85, v82
	s_xor_b64 exec, exec, s[20:21]
	s_cbranch_execz .LBB38_78
; %bb.77:                               ;   in Loop: Header=BB38_2 Depth=1
	s_waitcnt lgkmcnt(0)
	v_lshlrev_b32_e32 v84, 2, v86
	ds_read_b32 v85, v84 offset:4
	v_mov_b32_e32 v84, v83
.LBB38_78:                              ;   in Loop: Header=BB38_2 Depth=1
	s_or_b64 exec, exec, s[20:21]
	v_add_u32_e32 v89, 1, v87
	v_add_u32_e32 v88, 1, v86
	v_cndmask_b32_e64 v89, v89, v87, s[18:19]
	v_cndmask_b32_e64 v88, v86, v88, s[18:19]
	v_cmp_ge_i32_e64 s[22:23], v89, v23
	s_waitcnt lgkmcnt(0)
	v_cmp_lt_i32_e64 s[24:25], v85, v84
	v_cmp_lt_i32_e64 s[20:21], v88, v24
	s_or_b64 s[22:23], s[22:23], s[24:25]
	s_and_b64 s[20:21], s[20:21], s[22:23]
	s_xor_b64 s[22:23], s[20:21], -1
                                        ; implicit-def: $vgpr86
	s_and_saveexec_b64 s[24:25], s[22:23]
	s_xor_b64 s[22:23], exec, s[24:25]
	s_cbranch_execz .LBB38_80
; %bb.79:                               ;   in Loop: Header=BB38_2 Depth=1
	v_lshlrev_b32_e32 v86, 2, v89
	ds_read_b32 v86, v86 offset:4
.LBB38_80:                              ;   in Loop: Header=BB38_2 Depth=1
	s_or_saveexec_b64 s[22:23], s[22:23]
	v_mov_b32_e32 v87, v85
	s_xor_b64 exec, exec, s[22:23]
	s_cbranch_execz .LBB38_82
; %bb.81:                               ;   in Loop: Header=BB38_2 Depth=1
	s_waitcnt lgkmcnt(0)
	v_lshlrev_b32_e32 v86, 2, v88
	ds_read_b32 v87, v86 offset:4
	v_mov_b32_e32 v86, v84
.LBB38_82:                              ;   in Loop: Header=BB38_2 Depth=1
	s_or_b64 exec, exec, s[22:23]
	v_add_u32_e32 v91, 1, v89
	v_add_u32_e32 v90, 1, v88
	v_cndmask_b32_e64 v91, v91, v89, s[20:21]
	v_cndmask_b32_e64 v90, v88, v90, s[20:21]
	v_cmp_ge_i32_e64 s[24:25], v91, v23
	s_waitcnt lgkmcnt(0)
	v_cmp_lt_i32_e64 s[26:27], v87, v86
	v_cmp_lt_i32_e64 s[22:23], v90, v24
	s_or_b64 s[24:25], s[24:25], s[26:27]
	s_and_b64 s[22:23], s[22:23], s[24:25]
	s_xor_b64 s[24:25], s[22:23], -1
                                        ; implicit-def: $vgpr88
	s_and_saveexec_b64 s[26:27], s[24:25]
	s_xor_b64 s[24:25], exec, s[26:27]
	s_cbranch_execz .LBB38_84
; %bb.83:                               ;   in Loop: Header=BB38_2 Depth=1
	v_lshlrev_b32_e32 v88, 2, v91
	ds_read_b32 v88, v88 offset:4
.LBB38_84:                              ;   in Loop: Header=BB38_2 Depth=1
	s_or_saveexec_b64 s[24:25], s[24:25]
	v_mov_b32_e32 v89, v87
	s_xor_b64 exec, exec, s[24:25]
	s_cbranch_execz .LBB38_86
; %bb.85:                               ;   in Loop: Header=BB38_2 Depth=1
	s_waitcnt lgkmcnt(0)
	v_lshlrev_b32_e32 v88, 2, v90
	ds_read_b32 v89, v88 offset:4
	v_mov_b32_e32 v88, v86
.LBB38_86:                              ;   in Loop: Header=BB38_2 Depth=1
	s_or_b64 exec, exec, s[24:25]
	v_add_u32_e32 v93, 1, v91
	v_add_u32_e32 v92, 1, v90
	v_cndmask_b32_e64 v93, v93, v91, s[22:23]
	v_cndmask_b32_e64 v92, v90, v92, s[22:23]
	v_cmp_ge_i32_e64 s[26:27], v93, v23
	s_waitcnt lgkmcnt(0)
	v_cmp_lt_i32_e64 s[28:29], v89, v88
	v_cmp_lt_i32_e64 s[24:25], v92, v24
	s_or_b64 s[26:27], s[26:27], s[28:29]
	s_and_b64 s[24:25], s[24:25], s[26:27]
	s_xor_b64 s[26:27], s[24:25], -1
                                        ; implicit-def: $vgpr90
	s_and_saveexec_b64 s[28:29], s[26:27]
	s_xor_b64 s[26:27], exec, s[28:29]
	s_cbranch_execz .LBB38_88
; %bb.87:                               ;   in Loop: Header=BB38_2 Depth=1
	v_lshlrev_b32_e32 v90, 2, v93
	ds_read_b32 v90, v90 offset:4
.LBB38_88:                              ;   in Loop: Header=BB38_2 Depth=1
	s_or_saveexec_b64 s[26:27], s[26:27]
	v_mov_b32_e32 v91, v89
	s_xor_b64 exec, exec, s[26:27]
	s_cbranch_execz .LBB38_90
; %bb.89:                               ;   in Loop: Header=BB38_2 Depth=1
	s_waitcnt lgkmcnt(0)
	v_lshlrev_b32_e32 v90, 2, v92
	ds_read_b32 v91, v90 offset:4
	v_mov_b32_e32 v90, v88
.LBB38_90:                              ;   in Loop: Header=BB38_2 Depth=1
	s_or_b64 exec, exec, s[26:27]
	v_add_u32_e32 v95, 1, v93
	v_add_u32_e32 v94, 1, v92
	v_cndmask_b32_e64 v95, v95, v93, s[24:25]
	v_cndmask_b32_e64 v94, v92, v94, s[24:25]
	v_cmp_ge_i32_e64 s[28:29], v95, v23
	s_waitcnt lgkmcnt(0)
	v_cmp_lt_i32_e64 s[30:31], v91, v90
	v_cmp_lt_i32_e64 s[26:27], v94, v24
	s_or_b64 s[28:29], s[28:29], s[30:31]
	s_and_b64 s[26:27], s[26:27], s[28:29]
	s_xor_b64 s[28:29], s[26:27], -1
                                        ; implicit-def: $vgpr92
	s_and_saveexec_b64 s[30:31], s[28:29]
	s_xor_b64 s[28:29], exec, s[30:31]
	s_cbranch_execz .LBB38_92
; %bb.91:                               ;   in Loop: Header=BB38_2 Depth=1
	v_lshlrev_b32_e32 v92, 2, v95
	ds_read_b32 v92, v92 offset:4
.LBB38_92:                              ;   in Loop: Header=BB38_2 Depth=1
	s_or_saveexec_b64 s[28:29], s[28:29]
	v_mov_b32_e32 v93, v91
	s_xor_b64 exec, exec, s[28:29]
	s_cbranch_execz .LBB38_94
; %bb.93:                               ;   in Loop: Header=BB38_2 Depth=1
	s_waitcnt lgkmcnt(0)
	v_lshlrev_b32_e32 v92, 2, v94
	ds_read_b32 v93, v92 offset:4
	v_mov_b32_e32 v92, v90
.LBB38_94:                              ;   in Loop: Header=BB38_2 Depth=1
	s_or_b64 exec, exec, s[28:29]
	v_add_u32_e32 v97, 1, v95
	v_add_u32_e32 v96, 1, v94
	v_cndmask_b32_e64 v95, v97, v95, s[26:27]
	v_cndmask_b32_e64 v94, v94, v96, s[26:27]
	v_cmp_ge_i32_e64 s[30:31], v95, v23
	s_waitcnt lgkmcnt(0)
	v_cmp_lt_i32_e64 s[34:35], v93, v92
	v_cmp_lt_i32_e64 s[28:29], v94, v24
	s_or_b64 s[30:31], s[30:31], s[34:35]
	s_and_b64 s[28:29], s[28:29], s[30:31]
	s_xor_b64 s[30:31], s[28:29], -1
                                        ; implicit-def: $vgpr96
	s_and_saveexec_b64 s[34:35], s[30:31]
	s_xor_b64 s[30:31], exec, s[34:35]
	s_cbranch_execz .LBB38_96
; %bb.95:                               ;   in Loop: Header=BB38_2 Depth=1
	v_lshlrev_b32_e32 v96, 2, v95
	ds_read_b32 v96, v96 offset:4
.LBB38_96:                              ;   in Loop: Header=BB38_2 Depth=1
	s_or_saveexec_b64 s[30:31], s[30:31]
	v_mov_b32_e32 v97, v93
	s_xor_b64 exec, exec, s[30:31]
	s_cbranch_execz .LBB38_98
; %bb.97:                               ;   in Loop: Header=BB38_2 Depth=1
	s_waitcnt lgkmcnt(0)
	v_lshlrev_b32_e32 v96, 2, v94
	ds_read_b32 v97, v96 offset:4
	v_mov_b32_e32 v96, v92
.LBB38_98:                              ;   in Loop: Header=BB38_2 Depth=1
	s_or_b64 exec, exec, s[30:31]
	v_cndmask_b32_e64 v92, v92, v93, s[28:29]
	v_add_u32_e32 v93, 1, v94
	v_add_u32_e32 v98, 1, v95
	v_cndmask_b32_e64 v93, v94, v93, s[28:29]
	v_cndmask_b32_e64 v94, v98, v95, s[28:29]
	;; [unrolled: 1-line block ×4, first 2 shown]
	v_cmp_ge_i32_e64 s[18:19], v94, v23
	s_waitcnt lgkmcnt(0)
	v_cmp_lt_i32_e64 s[20:21], v97, v96
	v_cndmask_b32_e64 v80, v80, v81, s[16:17]
	v_cmp_lt_i32_e64 s[16:17], v93, v24
	s_or_b64 s[18:19], s[18:19], s[20:21]
	s_and_b64 s[16:17], s[16:17], s[18:19]
	v_cndmask_b32_e64 v90, v90, v91, s[26:27]
	v_cndmask_b32_e64 v88, v88, v89, s[24:25]
	;; [unrolled: 1-line block ×4, first 2 shown]
	s_barrier
	ds_write2_b32 v2, v80, v82 offset1:1
	ds_write2_b32 v2, v84, v86 offset0:2 offset1:3
	ds_write2_b32 v2, v88, v90 offset0:4 offset1:5
	;; [unrolled: 1-line block ×3, first 2 shown]
	v_mov_b32_e32 v82, v36
	s_waitcnt lgkmcnt(0)
	s_barrier
	s_and_saveexec_b64 s[18:19], s[4:5]
	s_cbranch_execz .LBB38_102
; %bb.99:                               ;   in Loop: Header=BB38_2 Depth=1
	s_mov_b64 s[20:21], 0
	v_mov_b32_e32 v82, v36
	v_mov_b32_e32 v80, v37
.LBB38_100:                             ;   Parent Loop BB38_2 Depth=1
                                        ; =>  This Inner Loop Header: Depth=2
	v_sub_u32_e32 v81, v80, v82
	v_lshrrev_b32_e32 v83, 31, v81
	v_add_u32_e32 v81, v81, v83
	v_ashrrev_i32_e32 v81, 1, v81
	v_add_u32_e32 v81, v81, v82
	v_xad_u32 v84, v81, -1, v31
	v_lshl_add_u32 v83, v81, 2, v34
	v_lshl_add_u32 v84, v84, 2, v35
	ds_read_b32 v83, v83
	ds_read_b32 v84, v84
	v_add_u32_e32 v85, 1, v81
	s_waitcnt lgkmcnt(0)
	v_cmp_lt_i32_e64 s[16:17], v84, v83
	s_nop 1
	v_cndmask_b32_e64 v80, v80, v81, s[16:17]
	v_cndmask_b32_e64 v82, v85, v82, s[16:17]
	v_cmp_ge_i32_e64 s[16:17], v82, v80
	s_or_b64 s[20:21], s[16:17], s[20:21]
	s_andn2_b64 exec, exec, s[20:21]
	s_cbranch_execnz .LBB38_100
; %bb.101:                              ;   in Loop: Header=BB38_2 Depth=1
	s_or_b64 exec, exec, s[20:21]
.LBB38_102:                             ;   in Loop: Header=BB38_2 Depth=1
	s_or_b64 exec, exec, s[18:19]
	v_sub_u32_e32 v84, v38, v82
	v_lshl_add_u32 v87, v82, 2, v34
	v_lshlrev_b32_e32 v86, 2, v84
	ds_read_b32 v80, v87
	ds_read_b32 v81, v86
	v_add_u32_e32 v85, v82, v30
	v_cmp_le_i32_e64 s[18:19], v32, v85
	v_cmp_gt_i32_e64 s[16:17], v33, v84
                                        ; implicit-def: $vgpr82
                                        ; implicit-def: $vgpr83
	s_waitcnt lgkmcnt(0)
	v_cmp_lt_i32_e64 s[20:21], v81, v80
	s_or_b64 s[18:19], s[18:19], s[20:21]
	s_and_b64 s[16:17], s[16:17], s[18:19]
	s_xor_b64 s[18:19], s[16:17], -1
	s_and_saveexec_b64 s[20:21], s[18:19]
	s_xor_b64 s[18:19], exec, s[20:21]
	s_cbranch_execz .LBB38_104
; %bb.103:                              ;   in Loop: Header=BB38_2 Depth=1
	ds_read_b32 v83, v87 offset:4
	v_mov_b32_e32 v82, v81
                                        ; implicit-def: $vgpr86
.LBB38_104:                             ;   in Loop: Header=BB38_2 Depth=1
	s_andn2_saveexec_b64 s[18:19], s[18:19]
	s_cbranch_execz .LBB38_106
; %bb.105:                              ;   in Loop: Header=BB38_2 Depth=1
	ds_read_b32 v82, v86 offset:4
	s_waitcnt lgkmcnt(1)
	v_mov_b32_e32 v83, v80
.LBB38_106:                             ;   in Loop: Header=BB38_2 Depth=1
	s_or_b64 exec, exec, s[18:19]
	v_add_u32_e32 v87, 1, v85
	v_add_u32_e32 v86, 1, v84
	v_cndmask_b32_e64 v87, v87, v85, s[16:17]
	v_cndmask_b32_e64 v86, v84, v86, s[16:17]
	v_cmp_ge_i32_e64 s[20:21], v87, v32
	s_waitcnt lgkmcnt(0)
	v_cmp_lt_i32_e64 s[22:23], v82, v83
	v_cmp_lt_i32_e64 s[18:19], v86, v33
	s_or_b64 s[20:21], s[20:21], s[22:23]
	s_and_b64 s[18:19], s[18:19], s[20:21]
	s_xor_b64 s[20:21], s[18:19], -1
                                        ; implicit-def: $vgpr84
	s_and_saveexec_b64 s[22:23], s[20:21]
	s_xor_b64 s[20:21], exec, s[22:23]
	s_cbranch_execz .LBB38_108
; %bb.107:                              ;   in Loop: Header=BB38_2 Depth=1
	v_lshlrev_b32_e32 v84, 2, v87
	ds_read_b32 v84, v84 offset:4
.LBB38_108:                             ;   in Loop: Header=BB38_2 Depth=1
	s_or_saveexec_b64 s[20:21], s[20:21]
	v_mov_b32_e32 v85, v82
	s_xor_b64 exec, exec, s[20:21]
	s_cbranch_execz .LBB38_110
; %bb.109:                              ;   in Loop: Header=BB38_2 Depth=1
	s_waitcnt lgkmcnt(0)
	v_lshlrev_b32_e32 v84, 2, v86
	ds_read_b32 v85, v84 offset:4
	v_mov_b32_e32 v84, v83
.LBB38_110:                             ;   in Loop: Header=BB38_2 Depth=1
	s_or_b64 exec, exec, s[20:21]
	v_add_u32_e32 v89, 1, v87
	v_add_u32_e32 v88, 1, v86
	v_cndmask_b32_e64 v89, v89, v87, s[18:19]
	v_cndmask_b32_e64 v88, v86, v88, s[18:19]
	v_cmp_ge_i32_e64 s[22:23], v89, v32
	s_waitcnt lgkmcnt(0)
	v_cmp_lt_i32_e64 s[24:25], v85, v84
	v_cmp_lt_i32_e64 s[20:21], v88, v33
	s_or_b64 s[22:23], s[22:23], s[24:25]
	s_and_b64 s[20:21], s[20:21], s[22:23]
	s_xor_b64 s[22:23], s[20:21], -1
                                        ; implicit-def: $vgpr86
	s_and_saveexec_b64 s[24:25], s[22:23]
	s_xor_b64 s[22:23], exec, s[24:25]
	s_cbranch_execz .LBB38_112
; %bb.111:                              ;   in Loop: Header=BB38_2 Depth=1
	v_lshlrev_b32_e32 v86, 2, v89
	ds_read_b32 v86, v86 offset:4
.LBB38_112:                             ;   in Loop: Header=BB38_2 Depth=1
	s_or_saveexec_b64 s[22:23], s[22:23]
	v_mov_b32_e32 v87, v85
	s_xor_b64 exec, exec, s[22:23]
	s_cbranch_execz .LBB38_114
; %bb.113:                              ;   in Loop: Header=BB38_2 Depth=1
	s_waitcnt lgkmcnt(0)
	v_lshlrev_b32_e32 v86, 2, v88
	ds_read_b32 v87, v86 offset:4
	v_mov_b32_e32 v86, v84
.LBB38_114:                             ;   in Loop: Header=BB38_2 Depth=1
	s_or_b64 exec, exec, s[22:23]
	v_add_u32_e32 v91, 1, v89
	v_add_u32_e32 v90, 1, v88
	v_cndmask_b32_e64 v91, v91, v89, s[20:21]
	v_cndmask_b32_e64 v90, v88, v90, s[20:21]
	v_cmp_ge_i32_e64 s[24:25], v91, v32
	s_waitcnt lgkmcnt(0)
	v_cmp_lt_i32_e64 s[26:27], v87, v86
	v_cmp_lt_i32_e64 s[22:23], v90, v33
	s_or_b64 s[24:25], s[24:25], s[26:27]
	s_and_b64 s[22:23], s[22:23], s[24:25]
	s_xor_b64 s[24:25], s[22:23], -1
                                        ; implicit-def: $vgpr88
	s_and_saveexec_b64 s[26:27], s[24:25]
	s_xor_b64 s[24:25], exec, s[26:27]
	s_cbranch_execz .LBB38_116
; %bb.115:                              ;   in Loop: Header=BB38_2 Depth=1
	v_lshlrev_b32_e32 v88, 2, v91
	ds_read_b32 v88, v88 offset:4
.LBB38_116:                             ;   in Loop: Header=BB38_2 Depth=1
	s_or_saveexec_b64 s[24:25], s[24:25]
	v_mov_b32_e32 v89, v87
	s_xor_b64 exec, exec, s[24:25]
	s_cbranch_execz .LBB38_118
; %bb.117:                              ;   in Loop: Header=BB38_2 Depth=1
	s_waitcnt lgkmcnt(0)
	v_lshlrev_b32_e32 v88, 2, v90
	ds_read_b32 v89, v88 offset:4
	v_mov_b32_e32 v88, v86
.LBB38_118:                             ;   in Loop: Header=BB38_2 Depth=1
	s_or_b64 exec, exec, s[24:25]
	v_add_u32_e32 v93, 1, v91
	v_add_u32_e32 v92, 1, v90
	v_cndmask_b32_e64 v93, v93, v91, s[22:23]
	v_cndmask_b32_e64 v92, v90, v92, s[22:23]
	v_cmp_ge_i32_e64 s[26:27], v93, v32
	s_waitcnt lgkmcnt(0)
	v_cmp_lt_i32_e64 s[28:29], v89, v88
	v_cmp_lt_i32_e64 s[24:25], v92, v33
	s_or_b64 s[26:27], s[26:27], s[28:29]
	s_and_b64 s[24:25], s[24:25], s[26:27]
	s_xor_b64 s[26:27], s[24:25], -1
                                        ; implicit-def: $vgpr90
	s_and_saveexec_b64 s[28:29], s[26:27]
	s_xor_b64 s[26:27], exec, s[28:29]
	s_cbranch_execz .LBB38_120
; %bb.119:                              ;   in Loop: Header=BB38_2 Depth=1
	v_lshlrev_b32_e32 v90, 2, v93
	ds_read_b32 v90, v90 offset:4
.LBB38_120:                             ;   in Loop: Header=BB38_2 Depth=1
	s_or_saveexec_b64 s[26:27], s[26:27]
	v_mov_b32_e32 v91, v89
	s_xor_b64 exec, exec, s[26:27]
	s_cbranch_execz .LBB38_122
; %bb.121:                              ;   in Loop: Header=BB38_2 Depth=1
	s_waitcnt lgkmcnt(0)
	v_lshlrev_b32_e32 v90, 2, v92
	ds_read_b32 v91, v90 offset:4
	v_mov_b32_e32 v90, v88
.LBB38_122:                             ;   in Loop: Header=BB38_2 Depth=1
	s_or_b64 exec, exec, s[26:27]
	v_add_u32_e32 v95, 1, v93
	v_add_u32_e32 v94, 1, v92
	v_cndmask_b32_e64 v95, v95, v93, s[24:25]
	v_cndmask_b32_e64 v94, v92, v94, s[24:25]
	v_cmp_ge_i32_e64 s[28:29], v95, v32
	s_waitcnt lgkmcnt(0)
	v_cmp_lt_i32_e64 s[30:31], v91, v90
	v_cmp_lt_i32_e64 s[26:27], v94, v33
	s_or_b64 s[28:29], s[28:29], s[30:31]
	s_and_b64 s[26:27], s[26:27], s[28:29]
	s_xor_b64 s[28:29], s[26:27], -1
                                        ; implicit-def: $vgpr92
	s_and_saveexec_b64 s[30:31], s[28:29]
	s_xor_b64 s[28:29], exec, s[30:31]
	s_cbranch_execz .LBB38_124
; %bb.123:                              ;   in Loop: Header=BB38_2 Depth=1
	v_lshlrev_b32_e32 v92, 2, v95
	ds_read_b32 v92, v92 offset:4
.LBB38_124:                             ;   in Loop: Header=BB38_2 Depth=1
	s_or_saveexec_b64 s[28:29], s[28:29]
	v_mov_b32_e32 v93, v91
	s_xor_b64 exec, exec, s[28:29]
	s_cbranch_execz .LBB38_126
; %bb.125:                              ;   in Loop: Header=BB38_2 Depth=1
	s_waitcnt lgkmcnt(0)
	v_lshlrev_b32_e32 v92, 2, v94
	ds_read_b32 v93, v92 offset:4
	v_mov_b32_e32 v92, v90
.LBB38_126:                             ;   in Loop: Header=BB38_2 Depth=1
	s_or_b64 exec, exec, s[28:29]
	v_add_u32_e32 v97, 1, v95
	v_add_u32_e32 v96, 1, v94
	v_cndmask_b32_e64 v95, v97, v95, s[26:27]
	v_cndmask_b32_e64 v94, v94, v96, s[26:27]
	v_cmp_ge_i32_e64 s[30:31], v95, v32
	s_waitcnt lgkmcnt(0)
	v_cmp_lt_i32_e64 s[34:35], v93, v92
	v_cmp_lt_i32_e64 s[28:29], v94, v33
	s_or_b64 s[30:31], s[30:31], s[34:35]
	s_and_b64 s[28:29], s[28:29], s[30:31]
	s_xor_b64 s[30:31], s[28:29], -1
                                        ; implicit-def: $vgpr96
	s_and_saveexec_b64 s[34:35], s[30:31]
	s_xor_b64 s[30:31], exec, s[34:35]
	s_cbranch_execz .LBB38_128
; %bb.127:                              ;   in Loop: Header=BB38_2 Depth=1
	v_lshlrev_b32_e32 v96, 2, v95
	ds_read_b32 v96, v96 offset:4
.LBB38_128:                             ;   in Loop: Header=BB38_2 Depth=1
	s_or_saveexec_b64 s[30:31], s[30:31]
	v_mov_b32_e32 v97, v93
	s_xor_b64 exec, exec, s[30:31]
	s_cbranch_execz .LBB38_130
; %bb.129:                              ;   in Loop: Header=BB38_2 Depth=1
	s_waitcnt lgkmcnt(0)
	v_lshlrev_b32_e32 v96, 2, v94
	ds_read_b32 v97, v96 offset:4
	v_mov_b32_e32 v96, v92
.LBB38_130:                             ;   in Loop: Header=BB38_2 Depth=1
	s_or_b64 exec, exec, s[30:31]
	v_cndmask_b32_e64 v92, v92, v93, s[28:29]
	v_add_u32_e32 v93, 1, v94
	v_add_u32_e32 v98, 1, v95
	v_cndmask_b32_e64 v93, v94, v93, s[28:29]
	v_cndmask_b32_e64 v94, v98, v95, s[28:29]
	;; [unrolled: 1-line block ×4, first 2 shown]
	v_cmp_ge_i32_e64 s[18:19], v94, v32
	s_waitcnt lgkmcnt(0)
	v_cmp_lt_i32_e64 s[20:21], v97, v96
	v_cndmask_b32_e64 v80, v80, v81, s[16:17]
	v_cmp_lt_i32_e64 s[16:17], v93, v33
	s_or_b64 s[18:19], s[18:19], s[20:21]
	s_and_b64 s[16:17], s[16:17], s[18:19]
	v_cndmask_b32_e64 v90, v90, v91, s[26:27]
	v_cndmask_b32_e64 v88, v88, v89, s[24:25]
	;; [unrolled: 1-line block ×4, first 2 shown]
	s_barrier
	ds_write2_b32 v2, v80, v82 offset1:1
	ds_write2_b32 v2, v84, v86 offset0:2 offset1:3
	ds_write2_b32 v2, v88, v90 offset0:4 offset1:5
	;; [unrolled: 1-line block ×3, first 2 shown]
	v_mov_b32_e32 v82, v44
	s_waitcnt lgkmcnt(0)
	s_barrier
	s_and_saveexec_b64 s[18:19], s[6:7]
	s_cbranch_execz .LBB38_134
; %bb.131:                              ;   in Loop: Header=BB38_2 Depth=1
	s_mov_b64 s[20:21], 0
	v_mov_b32_e32 v82, v44
	v_mov_b32_e32 v80, v45
.LBB38_132:                             ;   Parent Loop BB38_2 Depth=1
                                        ; =>  This Inner Loop Header: Depth=2
	v_sub_u32_e32 v81, v80, v82
	v_lshrrev_b32_e32 v83, 31, v81
	v_add_u32_e32 v81, v81, v83
	v_ashrrev_i32_e32 v81, 1, v81
	v_add_u32_e32 v81, v81, v82
	v_xad_u32 v84, v81, -1, v40
	v_lshl_add_u32 v83, v81, 2, v43
	v_lshl_add_u32 v84, v84, 2, v67
	ds_read_b32 v83, v83
	ds_read_b32 v84, v84
	v_add_u32_e32 v85, 1, v81
	s_waitcnt lgkmcnt(0)
	v_cmp_lt_i32_e64 s[16:17], v84, v83
	s_nop 1
	v_cndmask_b32_e64 v80, v80, v81, s[16:17]
	v_cndmask_b32_e64 v82, v85, v82, s[16:17]
	v_cmp_ge_i32_e64 s[16:17], v82, v80
	s_or_b64 s[20:21], s[16:17], s[20:21]
	s_andn2_b64 exec, exec, s[20:21]
	s_cbranch_execnz .LBB38_132
; %bb.133:                              ;   in Loop: Header=BB38_2 Depth=1
	s_or_b64 exec, exec, s[20:21]
.LBB38_134:                             ;   in Loop: Header=BB38_2 Depth=1
	s_or_b64 exec, exec, s[18:19]
	v_sub_u32_e32 v84, v68, v82
	v_lshl_add_u32 v87, v82, 2, v43
	v_lshlrev_b32_e32 v86, 2, v84
	ds_read_b32 v80, v87
	ds_read_b32 v81, v86
	v_add_u32_e32 v85, v82, v39
	v_cmp_le_i32_e64 s[18:19], v41, v85
	v_cmp_gt_i32_e64 s[16:17], v42, v84
                                        ; implicit-def: $vgpr82
                                        ; implicit-def: $vgpr83
	s_waitcnt lgkmcnt(0)
	v_cmp_lt_i32_e64 s[20:21], v81, v80
	s_or_b64 s[18:19], s[18:19], s[20:21]
	s_and_b64 s[16:17], s[16:17], s[18:19]
	s_xor_b64 s[18:19], s[16:17], -1
	s_and_saveexec_b64 s[20:21], s[18:19]
	s_xor_b64 s[18:19], exec, s[20:21]
	s_cbranch_execz .LBB38_136
; %bb.135:                              ;   in Loop: Header=BB38_2 Depth=1
	ds_read_b32 v83, v87 offset:4
	v_mov_b32_e32 v82, v81
                                        ; implicit-def: $vgpr86
.LBB38_136:                             ;   in Loop: Header=BB38_2 Depth=1
	s_andn2_saveexec_b64 s[18:19], s[18:19]
	s_cbranch_execz .LBB38_138
; %bb.137:                              ;   in Loop: Header=BB38_2 Depth=1
	ds_read_b32 v82, v86 offset:4
	s_waitcnt lgkmcnt(1)
	v_mov_b32_e32 v83, v80
.LBB38_138:                             ;   in Loop: Header=BB38_2 Depth=1
	s_or_b64 exec, exec, s[18:19]
	v_add_u32_e32 v87, 1, v85
	v_add_u32_e32 v86, 1, v84
	v_cndmask_b32_e64 v87, v87, v85, s[16:17]
	v_cndmask_b32_e64 v86, v84, v86, s[16:17]
	v_cmp_ge_i32_e64 s[20:21], v87, v41
	s_waitcnt lgkmcnt(0)
	v_cmp_lt_i32_e64 s[22:23], v82, v83
	v_cmp_lt_i32_e64 s[18:19], v86, v42
	s_or_b64 s[20:21], s[20:21], s[22:23]
	s_and_b64 s[18:19], s[18:19], s[20:21]
	s_xor_b64 s[20:21], s[18:19], -1
                                        ; implicit-def: $vgpr84
	s_and_saveexec_b64 s[22:23], s[20:21]
	s_xor_b64 s[20:21], exec, s[22:23]
	s_cbranch_execz .LBB38_140
; %bb.139:                              ;   in Loop: Header=BB38_2 Depth=1
	v_lshlrev_b32_e32 v84, 2, v87
	ds_read_b32 v84, v84 offset:4
.LBB38_140:                             ;   in Loop: Header=BB38_2 Depth=1
	s_or_saveexec_b64 s[20:21], s[20:21]
	v_mov_b32_e32 v85, v82
	s_xor_b64 exec, exec, s[20:21]
	s_cbranch_execz .LBB38_142
; %bb.141:                              ;   in Loop: Header=BB38_2 Depth=1
	s_waitcnt lgkmcnt(0)
	v_lshlrev_b32_e32 v84, 2, v86
	ds_read_b32 v85, v84 offset:4
	v_mov_b32_e32 v84, v83
.LBB38_142:                             ;   in Loop: Header=BB38_2 Depth=1
	s_or_b64 exec, exec, s[20:21]
	v_add_u32_e32 v89, 1, v87
	v_add_u32_e32 v88, 1, v86
	v_cndmask_b32_e64 v89, v89, v87, s[18:19]
	v_cndmask_b32_e64 v88, v86, v88, s[18:19]
	v_cmp_ge_i32_e64 s[22:23], v89, v41
	s_waitcnt lgkmcnt(0)
	v_cmp_lt_i32_e64 s[24:25], v85, v84
	v_cmp_lt_i32_e64 s[20:21], v88, v42
	s_or_b64 s[22:23], s[22:23], s[24:25]
	s_and_b64 s[20:21], s[20:21], s[22:23]
	s_xor_b64 s[22:23], s[20:21], -1
                                        ; implicit-def: $vgpr86
	s_and_saveexec_b64 s[24:25], s[22:23]
	s_xor_b64 s[22:23], exec, s[24:25]
	s_cbranch_execz .LBB38_144
; %bb.143:                              ;   in Loop: Header=BB38_2 Depth=1
	v_lshlrev_b32_e32 v86, 2, v89
	ds_read_b32 v86, v86 offset:4
.LBB38_144:                             ;   in Loop: Header=BB38_2 Depth=1
	s_or_saveexec_b64 s[22:23], s[22:23]
	v_mov_b32_e32 v87, v85
	s_xor_b64 exec, exec, s[22:23]
	s_cbranch_execz .LBB38_146
; %bb.145:                              ;   in Loop: Header=BB38_2 Depth=1
	s_waitcnt lgkmcnt(0)
	v_lshlrev_b32_e32 v86, 2, v88
	ds_read_b32 v87, v86 offset:4
	v_mov_b32_e32 v86, v84
.LBB38_146:                             ;   in Loop: Header=BB38_2 Depth=1
	s_or_b64 exec, exec, s[22:23]
	v_add_u32_e32 v91, 1, v89
	v_add_u32_e32 v90, 1, v88
	v_cndmask_b32_e64 v91, v91, v89, s[20:21]
	v_cndmask_b32_e64 v90, v88, v90, s[20:21]
	v_cmp_ge_i32_e64 s[24:25], v91, v41
	s_waitcnt lgkmcnt(0)
	v_cmp_lt_i32_e64 s[26:27], v87, v86
	v_cmp_lt_i32_e64 s[22:23], v90, v42
	s_or_b64 s[24:25], s[24:25], s[26:27]
	s_and_b64 s[22:23], s[22:23], s[24:25]
	s_xor_b64 s[24:25], s[22:23], -1
                                        ; implicit-def: $vgpr88
	s_and_saveexec_b64 s[26:27], s[24:25]
	s_xor_b64 s[24:25], exec, s[26:27]
	s_cbranch_execz .LBB38_148
; %bb.147:                              ;   in Loop: Header=BB38_2 Depth=1
	v_lshlrev_b32_e32 v88, 2, v91
	ds_read_b32 v88, v88 offset:4
.LBB38_148:                             ;   in Loop: Header=BB38_2 Depth=1
	s_or_saveexec_b64 s[24:25], s[24:25]
	v_mov_b32_e32 v89, v87
	s_xor_b64 exec, exec, s[24:25]
	s_cbranch_execz .LBB38_150
; %bb.149:                              ;   in Loop: Header=BB38_2 Depth=1
	s_waitcnt lgkmcnt(0)
	v_lshlrev_b32_e32 v88, 2, v90
	ds_read_b32 v89, v88 offset:4
	v_mov_b32_e32 v88, v86
.LBB38_150:                             ;   in Loop: Header=BB38_2 Depth=1
	s_or_b64 exec, exec, s[24:25]
	v_add_u32_e32 v93, 1, v91
	v_add_u32_e32 v92, 1, v90
	v_cndmask_b32_e64 v93, v93, v91, s[22:23]
	v_cndmask_b32_e64 v92, v90, v92, s[22:23]
	v_cmp_ge_i32_e64 s[26:27], v93, v41
	s_waitcnt lgkmcnt(0)
	v_cmp_lt_i32_e64 s[28:29], v89, v88
	v_cmp_lt_i32_e64 s[24:25], v92, v42
	s_or_b64 s[26:27], s[26:27], s[28:29]
	s_and_b64 s[24:25], s[24:25], s[26:27]
	s_xor_b64 s[26:27], s[24:25], -1
                                        ; implicit-def: $vgpr90
	s_and_saveexec_b64 s[28:29], s[26:27]
	s_xor_b64 s[26:27], exec, s[28:29]
	s_cbranch_execz .LBB38_152
; %bb.151:                              ;   in Loop: Header=BB38_2 Depth=1
	v_lshlrev_b32_e32 v90, 2, v93
	ds_read_b32 v90, v90 offset:4
.LBB38_152:                             ;   in Loop: Header=BB38_2 Depth=1
	s_or_saveexec_b64 s[26:27], s[26:27]
	v_mov_b32_e32 v91, v89
	s_xor_b64 exec, exec, s[26:27]
	s_cbranch_execz .LBB38_154
; %bb.153:                              ;   in Loop: Header=BB38_2 Depth=1
	s_waitcnt lgkmcnt(0)
	v_lshlrev_b32_e32 v90, 2, v92
	ds_read_b32 v91, v90 offset:4
	v_mov_b32_e32 v90, v88
.LBB38_154:                             ;   in Loop: Header=BB38_2 Depth=1
	s_or_b64 exec, exec, s[26:27]
	v_add_u32_e32 v95, 1, v93
	v_add_u32_e32 v94, 1, v92
	v_cndmask_b32_e64 v95, v95, v93, s[24:25]
	v_cndmask_b32_e64 v94, v92, v94, s[24:25]
	v_cmp_ge_i32_e64 s[28:29], v95, v41
	s_waitcnt lgkmcnt(0)
	v_cmp_lt_i32_e64 s[30:31], v91, v90
	v_cmp_lt_i32_e64 s[26:27], v94, v42
	s_or_b64 s[28:29], s[28:29], s[30:31]
	s_and_b64 s[26:27], s[26:27], s[28:29]
	s_xor_b64 s[28:29], s[26:27], -1
                                        ; implicit-def: $vgpr92
	s_and_saveexec_b64 s[30:31], s[28:29]
	s_xor_b64 s[28:29], exec, s[30:31]
	s_cbranch_execz .LBB38_156
; %bb.155:                              ;   in Loop: Header=BB38_2 Depth=1
	v_lshlrev_b32_e32 v92, 2, v95
	ds_read_b32 v92, v92 offset:4
.LBB38_156:                             ;   in Loop: Header=BB38_2 Depth=1
	s_or_saveexec_b64 s[28:29], s[28:29]
	v_mov_b32_e32 v93, v91
	s_xor_b64 exec, exec, s[28:29]
	s_cbranch_execz .LBB38_158
; %bb.157:                              ;   in Loop: Header=BB38_2 Depth=1
	s_waitcnt lgkmcnt(0)
	v_lshlrev_b32_e32 v92, 2, v94
	ds_read_b32 v93, v92 offset:4
	v_mov_b32_e32 v92, v90
.LBB38_158:                             ;   in Loop: Header=BB38_2 Depth=1
	s_or_b64 exec, exec, s[28:29]
	v_add_u32_e32 v97, 1, v95
	v_add_u32_e32 v96, 1, v94
	v_cndmask_b32_e64 v95, v97, v95, s[26:27]
	v_cndmask_b32_e64 v94, v94, v96, s[26:27]
	v_cmp_ge_i32_e64 s[30:31], v95, v41
	s_waitcnt lgkmcnt(0)
	v_cmp_lt_i32_e64 s[34:35], v93, v92
	v_cmp_lt_i32_e64 s[28:29], v94, v42
	s_or_b64 s[30:31], s[30:31], s[34:35]
	s_and_b64 s[28:29], s[28:29], s[30:31]
	s_xor_b64 s[30:31], s[28:29], -1
                                        ; implicit-def: $vgpr96
	s_and_saveexec_b64 s[34:35], s[30:31]
	s_xor_b64 s[30:31], exec, s[34:35]
	s_cbranch_execz .LBB38_160
; %bb.159:                              ;   in Loop: Header=BB38_2 Depth=1
	v_lshlrev_b32_e32 v96, 2, v95
	ds_read_b32 v96, v96 offset:4
.LBB38_160:                             ;   in Loop: Header=BB38_2 Depth=1
	s_or_saveexec_b64 s[30:31], s[30:31]
	v_mov_b32_e32 v97, v93
	s_xor_b64 exec, exec, s[30:31]
	s_cbranch_execz .LBB38_162
; %bb.161:                              ;   in Loop: Header=BB38_2 Depth=1
	s_waitcnt lgkmcnt(0)
	v_lshlrev_b32_e32 v96, 2, v94
	ds_read_b32 v97, v96 offset:4
	v_mov_b32_e32 v96, v92
.LBB38_162:                             ;   in Loop: Header=BB38_2 Depth=1
	s_or_b64 exec, exec, s[30:31]
	v_cndmask_b32_e64 v92, v92, v93, s[28:29]
	v_add_u32_e32 v93, 1, v94
	v_add_u32_e32 v98, 1, v95
	v_cndmask_b32_e64 v93, v94, v93, s[28:29]
	v_cndmask_b32_e64 v94, v98, v95, s[28:29]
	;; [unrolled: 1-line block ×4, first 2 shown]
	v_cmp_ge_i32_e64 s[18:19], v94, v41
	s_waitcnt lgkmcnt(0)
	v_cmp_lt_i32_e64 s[20:21], v97, v96
	v_cndmask_b32_e64 v80, v80, v81, s[16:17]
	v_cmp_lt_i32_e64 s[16:17], v93, v42
	s_or_b64 s[18:19], s[18:19], s[20:21]
	s_and_b64 s[16:17], s[16:17], s[18:19]
	v_cndmask_b32_e64 v90, v90, v91, s[26:27]
	v_cndmask_b32_e64 v88, v88, v89, s[24:25]
	;; [unrolled: 1-line block ×4, first 2 shown]
	s_barrier
	ds_write2_b32 v2, v80, v82 offset1:1
	ds_write2_b32 v2, v84, v86 offset0:2 offset1:3
	ds_write2_b32 v2, v88, v90 offset0:4 offset1:5
	;; [unrolled: 1-line block ×3, first 2 shown]
	v_mov_b32_e32 v82, v50
	s_waitcnt lgkmcnt(0)
	s_barrier
	s_and_saveexec_b64 s[18:19], s[8:9]
	s_cbranch_execz .LBB38_166
; %bb.163:                              ;   in Loop: Header=BB38_2 Depth=1
	s_mov_b64 s[20:21], 0
	v_mov_b32_e32 v82, v50
	v_mov_b32_e32 v80, v51
.LBB38_164:                             ;   Parent Loop BB38_2 Depth=1
                                        ; =>  This Inner Loop Header: Depth=2
	v_sub_u32_e32 v81, v80, v82
	v_lshrrev_b32_e32 v83, 31, v81
	v_add_u32_e32 v81, v81, v83
	v_ashrrev_i32_e32 v81, 1, v81
	v_add_u32_e32 v81, v81, v82
	v_xad_u32 v84, v81, -1, v47
	v_lshl_add_u32 v83, v81, 2, v69
	v_lshl_add_u32 v84, v84, 2, v70
	ds_read_b32 v83, v83
	ds_read_b32 v84, v84
	v_add_u32_e32 v85, 1, v81
	s_waitcnt lgkmcnt(0)
	v_cmp_lt_i32_e64 s[16:17], v84, v83
	s_nop 1
	v_cndmask_b32_e64 v80, v80, v81, s[16:17]
	v_cndmask_b32_e64 v82, v85, v82, s[16:17]
	v_cmp_ge_i32_e64 s[16:17], v82, v80
	s_or_b64 s[20:21], s[16:17], s[20:21]
	s_andn2_b64 exec, exec, s[20:21]
	s_cbranch_execnz .LBB38_164
; %bb.165:                              ;   in Loop: Header=BB38_2 Depth=1
	s_or_b64 exec, exec, s[20:21]
.LBB38_166:                             ;   in Loop: Header=BB38_2 Depth=1
	s_or_b64 exec, exec, s[18:19]
	v_sub_u32_e32 v84, v71, v82
	v_lshl_add_u32 v87, v82, 2, v69
	v_lshlrev_b32_e32 v86, 2, v84
	ds_read_b32 v80, v87
	ds_read_b32 v81, v86
	v_add_u32_e32 v85, v82, v46
	v_cmp_le_i32_e64 s[18:19], v48, v85
	v_cmp_gt_i32_e64 s[16:17], v49, v84
                                        ; implicit-def: $vgpr82
                                        ; implicit-def: $vgpr83
	s_waitcnt lgkmcnt(0)
	v_cmp_lt_i32_e64 s[20:21], v81, v80
	s_or_b64 s[18:19], s[18:19], s[20:21]
	s_and_b64 s[16:17], s[16:17], s[18:19]
	s_xor_b64 s[18:19], s[16:17], -1
	s_and_saveexec_b64 s[20:21], s[18:19]
	s_xor_b64 s[18:19], exec, s[20:21]
	s_cbranch_execz .LBB38_168
; %bb.167:                              ;   in Loop: Header=BB38_2 Depth=1
	ds_read_b32 v83, v87 offset:4
	v_mov_b32_e32 v82, v81
                                        ; implicit-def: $vgpr86
.LBB38_168:                             ;   in Loop: Header=BB38_2 Depth=1
	s_andn2_saveexec_b64 s[18:19], s[18:19]
	s_cbranch_execz .LBB38_170
; %bb.169:                              ;   in Loop: Header=BB38_2 Depth=1
	ds_read_b32 v82, v86 offset:4
	s_waitcnt lgkmcnt(1)
	v_mov_b32_e32 v83, v80
.LBB38_170:                             ;   in Loop: Header=BB38_2 Depth=1
	s_or_b64 exec, exec, s[18:19]
	v_add_u32_e32 v87, 1, v85
	v_add_u32_e32 v86, 1, v84
	v_cndmask_b32_e64 v87, v87, v85, s[16:17]
	v_cndmask_b32_e64 v86, v84, v86, s[16:17]
	v_cmp_ge_i32_e64 s[20:21], v87, v48
	s_waitcnt lgkmcnt(0)
	v_cmp_lt_i32_e64 s[22:23], v82, v83
	v_cmp_lt_i32_e64 s[18:19], v86, v49
	s_or_b64 s[20:21], s[20:21], s[22:23]
	s_and_b64 s[18:19], s[18:19], s[20:21]
	s_xor_b64 s[20:21], s[18:19], -1
                                        ; implicit-def: $vgpr84
	s_and_saveexec_b64 s[22:23], s[20:21]
	s_xor_b64 s[20:21], exec, s[22:23]
	s_cbranch_execz .LBB38_172
; %bb.171:                              ;   in Loop: Header=BB38_2 Depth=1
	v_lshlrev_b32_e32 v84, 2, v87
	ds_read_b32 v84, v84 offset:4
.LBB38_172:                             ;   in Loop: Header=BB38_2 Depth=1
	s_or_saveexec_b64 s[20:21], s[20:21]
	v_mov_b32_e32 v85, v82
	s_xor_b64 exec, exec, s[20:21]
	s_cbranch_execz .LBB38_174
; %bb.173:                              ;   in Loop: Header=BB38_2 Depth=1
	s_waitcnt lgkmcnt(0)
	v_lshlrev_b32_e32 v84, 2, v86
	ds_read_b32 v85, v84 offset:4
	v_mov_b32_e32 v84, v83
.LBB38_174:                             ;   in Loop: Header=BB38_2 Depth=1
	s_or_b64 exec, exec, s[20:21]
	v_add_u32_e32 v89, 1, v87
	v_add_u32_e32 v88, 1, v86
	v_cndmask_b32_e64 v89, v89, v87, s[18:19]
	v_cndmask_b32_e64 v88, v86, v88, s[18:19]
	v_cmp_ge_i32_e64 s[22:23], v89, v48
	s_waitcnt lgkmcnt(0)
	v_cmp_lt_i32_e64 s[24:25], v85, v84
	v_cmp_lt_i32_e64 s[20:21], v88, v49
	s_or_b64 s[22:23], s[22:23], s[24:25]
	s_and_b64 s[20:21], s[20:21], s[22:23]
	s_xor_b64 s[22:23], s[20:21], -1
                                        ; implicit-def: $vgpr86
	s_and_saveexec_b64 s[24:25], s[22:23]
	s_xor_b64 s[22:23], exec, s[24:25]
	s_cbranch_execz .LBB38_176
; %bb.175:                              ;   in Loop: Header=BB38_2 Depth=1
	v_lshlrev_b32_e32 v86, 2, v89
	ds_read_b32 v86, v86 offset:4
.LBB38_176:                             ;   in Loop: Header=BB38_2 Depth=1
	s_or_saveexec_b64 s[22:23], s[22:23]
	v_mov_b32_e32 v87, v85
	s_xor_b64 exec, exec, s[22:23]
	s_cbranch_execz .LBB38_178
; %bb.177:                              ;   in Loop: Header=BB38_2 Depth=1
	s_waitcnt lgkmcnt(0)
	v_lshlrev_b32_e32 v86, 2, v88
	ds_read_b32 v87, v86 offset:4
	v_mov_b32_e32 v86, v84
.LBB38_178:                             ;   in Loop: Header=BB38_2 Depth=1
	s_or_b64 exec, exec, s[22:23]
	v_add_u32_e32 v91, 1, v89
	v_add_u32_e32 v90, 1, v88
	v_cndmask_b32_e64 v91, v91, v89, s[20:21]
	v_cndmask_b32_e64 v90, v88, v90, s[20:21]
	v_cmp_ge_i32_e64 s[24:25], v91, v48
	s_waitcnt lgkmcnt(0)
	v_cmp_lt_i32_e64 s[26:27], v87, v86
	v_cmp_lt_i32_e64 s[22:23], v90, v49
	s_or_b64 s[24:25], s[24:25], s[26:27]
	s_and_b64 s[22:23], s[22:23], s[24:25]
	s_xor_b64 s[24:25], s[22:23], -1
                                        ; implicit-def: $vgpr88
	s_and_saveexec_b64 s[26:27], s[24:25]
	s_xor_b64 s[24:25], exec, s[26:27]
	s_cbranch_execz .LBB38_180
; %bb.179:                              ;   in Loop: Header=BB38_2 Depth=1
	v_lshlrev_b32_e32 v88, 2, v91
	ds_read_b32 v88, v88 offset:4
.LBB38_180:                             ;   in Loop: Header=BB38_2 Depth=1
	s_or_saveexec_b64 s[24:25], s[24:25]
	v_mov_b32_e32 v89, v87
	s_xor_b64 exec, exec, s[24:25]
	s_cbranch_execz .LBB38_182
; %bb.181:                              ;   in Loop: Header=BB38_2 Depth=1
	s_waitcnt lgkmcnt(0)
	v_lshlrev_b32_e32 v88, 2, v90
	ds_read_b32 v89, v88 offset:4
	v_mov_b32_e32 v88, v86
.LBB38_182:                             ;   in Loop: Header=BB38_2 Depth=1
	s_or_b64 exec, exec, s[24:25]
	v_add_u32_e32 v93, 1, v91
	v_add_u32_e32 v92, 1, v90
	v_cndmask_b32_e64 v93, v93, v91, s[22:23]
	v_cndmask_b32_e64 v92, v90, v92, s[22:23]
	v_cmp_ge_i32_e64 s[26:27], v93, v48
	s_waitcnt lgkmcnt(0)
	v_cmp_lt_i32_e64 s[28:29], v89, v88
	v_cmp_lt_i32_e64 s[24:25], v92, v49
	s_or_b64 s[26:27], s[26:27], s[28:29]
	s_and_b64 s[24:25], s[24:25], s[26:27]
	s_xor_b64 s[26:27], s[24:25], -1
                                        ; implicit-def: $vgpr90
	s_and_saveexec_b64 s[28:29], s[26:27]
	s_xor_b64 s[26:27], exec, s[28:29]
	s_cbranch_execz .LBB38_184
; %bb.183:                              ;   in Loop: Header=BB38_2 Depth=1
	v_lshlrev_b32_e32 v90, 2, v93
	ds_read_b32 v90, v90 offset:4
.LBB38_184:                             ;   in Loop: Header=BB38_2 Depth=1
	s_or_saveexec_b64 s[26:27], s[26:27]
	v_mov_b32_e32 v91, v89
	s_xor_b64 exec, exec, s[26:27]
	s_cbranch_execz .LBB38_186
; %bb.185:                              ;   in Loop: Header=BB38_2 Depth=1
	s_waitcnt lgkmcnt(0)
	v_lshlrev_b32_e32 v90, 2, v92
	ds_read_b32 v91, v90 offset:4
	v_mov_b32_e32 v90, v88
.LBB38_186:                             ;   in Loop: Header=BB38_2 Depth=1
	s_or_b64 exec, exec, s[26:27]
	v_add_u32_e32 v95, 1, v93
	v_add_u32_e32 v94, 1, v92
	v_cndmask_b32_e64 v95, v95, v93, s[24:25]
	v_cndmask_b32_e64 v94, v92, v94, s[24:25]
	v_cmp_ge_i32_e64 s[28:29], v95, v48
	s_waitcnt lgkmcnt(0)
	v_cmp_lt_i32_e64 s[30:31], v91, v90
	v_cmp_lt_i32_e64 s[26:27], v94, v49
	s_or_b64 s[28:29], s[28:29], s[30:31]
	s_and_b64 s[26:27], s[26:27], s[28:29]
	s_xor_b64 s[28:29], s[26:27], -1
                                        ; implicit-def: $vgpr92
	s_and_saveexec_b64 s[30:31], s[28:29]
	s_xor_b64 s[28:29], exec, s[30:31]
	s_cbranch_execz .LBB38_188
; %bb.187:                              ;   in Loop: Header=BB38_2 Depth=1
	v_lshlrev_b32_e32 v92, 2, v95
	ds_read_b32 v92, v92 offset:4
.LBB38_188:                             ;   in Loop: Header=BB38_2 Depth=1
	s_or_saveexec_b64 s[28:29], s[28:29]
	v_mov_b32_e32 v93, v91
	s_xor_b64 exec, exec, s[28:29]
	s_cbranch_execz .LBB38_190
; %bb.189:                              ;   in Loop: Header=BB38_2 Depth=1
	s_waitcnt lgkmcnt(0)
	v_lshlrev_b32_e32 v92, 2, v94
	ds_read_b32 v93, v92 offset:4
	v_mov_b32_e32 v92, v90
.LBB38_190:                             ;   in Loop: Header=BB38_2 Depth=1
	s_or_b64 exec, exec, s[28:29]
	v_add_u32_e32 v97, 1, v95
	v_add_u32_e32 v96, 1, v94
	v_cndmask_b32_e64 v95, v97, v95, s[26:27]
	v_cndmask_b32_e64 v94, v94, v96, s[26:27]
	v_cmp_ge_i32_e64 s[30:31], v95, v48
	s_waitcnt lgkmcnt(0)
	v_cmp_lt_i32_e64 s[34:35], v93, v92
	v_cmp_lt_i32_e64 s[28:29], v94, v49
	s_or_b64 s[30:31], s[30:31], s[34:35]
	s_and_b64 s[28:29], s[28:29], s[30:31]
	s_xor_b64 s[30:31], s[28:29], -1
                                        ; implicit-def: $vgpr96
	s_and_saveexec_b64 s[34:35], s[30:31]
	s_xor_b64 s[30:31], exec, s[34:35]
	s_cbranch_execz .LBB38_192
; %bb.191:                              ;   in Loop: Header=BB38_2 Depth=1
	v_lshlrev_b32_e32 v96, 2, v95
	ds_read_b32 v96, v96 offset:4
.LBB38_192:                             ;   in Loop: Header=BB38_2 Depth=1
	s_or_saveexec_b64 s[30:31], s[30:31]
	v_mov_b32_e32 v97, v93
	s_xor_b64 exec, exec, s[30:31]
	s_cbranch_execz .LBB38_194
; %bb.193:                              ;   in Loop: Header=BB38_2 Depth=1
	s_waitcnt lgkmcnt(0)
	v_lshlrev_b32_e32 v96, 2, v94
	ds_read_b32 v97, v96 offset:4
	v_mov_b32_e32 v96, v92
.LBB38_194:                             ;   in Loop: Header=BB38_2 Depth=1
	s_or_b64 exec, exec, s[30:31]
	v_cndmask_b32_e64 v92, v92, v93, s[28:29]
	v_add_u32_e32 v93, 1, v94
	v_add_u32_e32 v98, 1, v95
	v_cndmask_b32_e64 v93, v94, v93, s[28:29]
	v_cndmask_b32_e64 v94, v98, v95, s[28:29]
	;; [unrolled: 1-line block ×4, first 2 shown]
	v_cmp_ge_i32_e64 s[18:19], v94, v48
	s_waitcnt lgkmcnt(0)
	v_cmp_lt_i32_e64 s[20:21], v97, v96
	v_cndmask_b32_e64 v80, v80, v81, s[16:17]
	v_cmp_lt_i32_e64 s[16:17], v93, v49
	s_or_b64 s[18:19], s[18:19], s[20:21]
	s_and_b64 s[16:17], s[16:17], s[18:19]
	v_cndmask_b32_e64 v90, v90, v91, s[26:27]
	v_cndmask_b32_e64 v88, v88, v89, s[24:25]
	;; [unrolled: 1-line block ×4, first 2 shown]
	s_barrier
	ds_write2_b32 v2, v80, v82 offset1:1
	ds_write2_b32 v2, v84, v86 offset0:2 offset1:3
	ds_write2_b32 v2, v88, v90 offset0:4 offset1:5
	;; [unrolled: 1-line block ×3, first 2 shown]
	v_mov_b32_e32 v82, v56
	s_waitcnt lgkmcnt(0)
	s_barrier
	s_and_saveexec_b64 s[18:19], s[10:11]
	s_cbranch_execz .LBB38_198
; %bb.195:                              ;   in Loop: Header=BB38_2 Depth=1
	s_mov_b64 s[20:21], 0
	v_mov_b32_e32 v82, v56
	v_mov_b32_e32 v80, v57
.LBB38_196:                             ;   Parent Loop BB38_2 Depth=1
                                        ; =>  This Inner Loop Header: Depth=2
	v_sub_u32_e32 v81, v80, v82
	v_lshrrev_b32_e32 v83, 31, v81
	v_add_u32_e32 v81, v81, v83
	v_ashrrev_i32_e32 v81, 1, v81
	v_add_u32_e32 v81, v81, v82
	v_xad_u32 v84, v81, -1, v53
	v_lshl_add_u32 v83, v81, 2, v72
	v_lshl_add_u32 v84, v84, 2, v73
	ds_read_b32 v83, v83
	ds_read_b32 v84, v84
	v_add_u32_e32 v85, 1, v81
	s_waitcnt lgkmcnt(0)
	v_cmp_lt_i32_e64 s[16:17], v84, v83
	s_nop 1
	v_cndmask_b32_e64 v80, v80, v81, s[16:17]
	v_cndmask_b32_e64 v82, v85, v82, s[16:17]
	v_cmp_ge_i32_e64 s[16:17], v82, v80
	s_or_b64 s[20:21], s[16:17], s[20:21]
	s_andn2_b64 exec, exec, s[20:21]
	s_cbranch_execnz .LBB38_196
; %bb.197:                              ;   in Loop: Header=BB38_2 Depth=1
	s_or_b64 exec, exec, s[20:21]
.LBB38_198:                             ;   in Loop: Header=BB38_2 Depth=1
	s_or_b64 exec, exec, s[18:19]
	v_sub_u32_e32 v84, v74, v82
	v_lshl_add_u32 v87, v82, 2, v72
	v_lshlrev_b32_e32 v86, 2, v84
	ds_read_b32 v80, v87
	ds_read_b32 v81, v86
	v_add_u32_e32 v85, v82, v52
	v_cmp_le_i32_e64 s[18:19], v54, v85
	v_cmp_gt_i32_e64 s[16:17], v55, v84
                                        ; implicit-def: $vgpr82
                                        ; implicit-def: $vgpr83
	s_waitcnt lgkmcnt(0)
	v_cmp_lt_i32_e64 s[20:21], v81, v80
	s_or_b64 s[18:19], s[18:19], s[20:21]
	s_and_b64 s[16:17], s[16:17], s[18:19]
	s_xor_b64 s[18:19], s[16:17], -1
	s_and_saveexec_b64 s[20:21], s[18:19]
	s_xor_b64 s[18:19], exec, s[20:21]
	s_cbranch_execz .LBB38_200
; %bb.199:                              ;   in Loop: Header=BB38_2 Depth=1
	ds_read_b32 v83, v87 offset:4
	v_mov_b32_e32 v82, v81
                                        ; implicit-def: $vgpr86
.LBB38_200:                             ;   in Loop: Header=BB38_2 Depth=1
	s_andn2_saveexec_b64 s[18:19], s[18:19]
	s_cbranch_execz .LBB38_202
; %bb.201:                              ;   in Loop: Header=BB38_2 Depth=1
	ds_read_b32 v82, v86 offset:4
	s_waitcnt lgkmcnt(1)
	v_mov_b32_e32 v83, v80
.LBB38_202:                             ;   in Loop: Header=BB38_2 Depth=1
	s_or_b64 exec, exec, s[18:19]
	v_add_u32_e32 v87, 1, v85
	v_add_u32_e32 v86, 1, v84
	v_cndmask_b32_e64 v87, v87, v85, s[16:17]
	v_cndmask_b32_e64 v86, v84, v86, s[16:17]
	v_cmp_ge_i32_e64 s[20:21], v87, v54
	s_waitcnt lgkmcnt(0)
	v_cmp_lt_i32_e64 s[22:23], v82, v83
	v_cmp_lt_i32_e64 s[18:19], v86, v55
	s_or_b64 s[20:21], s[20:21], s[22:23]
	s_and_b64 s[18:19], s[18:19], s[20:21]
	s_xor_b64 s[20:21], s[18:19], -1
                                        ; implicit-def: $vgpr84
	s_and_saveexec_b64 s[22:23], s[20:21]
	s_xor_b64 s[20:21], exec, s[22:23]
	s_cbranch_execz .LBB38_204
; %bb.203:                              ;   in Loop: Header=BB38_2 Depth=1
	v_lshlrev_b32_e32 v84, 2, v87
	ds_read_b32 v84, v84 offset:4
.LBB38_204:                             ;   in Loop: Header=BB38_2 Depth=1
	s_or_saveexec_b64 s[20:21], s[20:21]
	v_mov_b32_e32 v85, v82
	s_xor_b64 exec, exec, s[20:21]
	s_cbranch_execz .LBB38_206
; %bb.205:                              ;   in Loop: Header=BB38_2 Depth=1
	s_waitcnt lgkmcnt(0)
	v_lshlrev_b32_e32 v84, 2, v86
	ds_read_b32 v85, v84 offset:4
	v_mov_b32_e32 v84, v83
.LBB38_206:                             ;   in Loop: Header=BB38_2 Depth=1
	s_or_b64 exec, exec, s[20:21]
	v_add_u32_e32 v89, 1, v87
	v_add_u32_e32 v88, 1, v86
	v_cndmask_b32_e64 v89, v89, v87, s[18:19]
	v_cndmask_b32_e64 v88, v86, v88, s[18:19]
	v_cmp_ge_i32_e64 s[22:23], v89, v54
	s_waitcnt lgkmcnt(0)
	v_cmp_lt_i32_e64 s[24:25], v85, v84
	v_cmp_lt_i32_e64 s[20:21], v88, v55
	s_or_b64 s[22:23], s[22:23], s[24:25]
	s_and_b64 s[20:21], s[20:21], s[22:23]
	s_xor_b64 s[22:23], s[20:21], -1
                                        ; implicit-def: $vgpr86
	s_and_saveexec_b64 s[24:25], s[22:23]
	s_xor_b64 s[22:23], exec, s[24:25]
	s_cbranch_execz .LBB38_208
; %bb.207:                              ;   in Loop: Header=BB38_2 Depth=1
	v_lshlrev_b32_e32 v86, 2, v89
	ds_read_b32 v86, v86 offset:4
.LBB38_208:                             ;   in Loop: Header=BB38_2 Depth=1
	s_or_saveexec_b64 s[22:23], s[22:23]
	v_mov_b32_e32 v87, v85
	s_xor_b64 exec, exec, s[22:23]
	s_cbranch_execz .LBB38_210
; %bb.209:                              ;   in Loop: Header=BB38_2 Depth=1
	s_waitcnt lgkmcnt(0)
	v_lshlrev_b32_e32 v86, 2, v88
	ds_read_b32 v87, v86 offset:4
	v_mov_b32_e32 v86, v84
.LBB38_210:                             ;   in Loop: Header=BB38_2 Depth=1
	s_or_b64 exec, exec, s[22:23]
	v_add_u32_e32 v91, 1, v89
	v_add_u32_e32 v90, 1, v88
	v_cndmask_b32_e64 v91, v91, v89, s[20:21]
	v_cndmask_b32_e64 v90, v88, v90, s[20:21]
	v_cmp_ge_i32_e64 s[24:25], v91, v54
	s_waitcnt lgkmcnt(0)
	v_cmp_lt_i32_e64 s[26:27], v87, v86
	v_cmp_lt_i32_e64 s[22:23], v90, v55
	s_or_b64 s[24:25], s[24:25], s[26:27]
	s_and_b64 s[22:23], s[22:23], s[24:25]
	s_xor_b64 s[24:25], s[22:23], -1
                                        ; implicit-def: $vgpr88
	s_and_saveexec_b64 s[26:27], s[24:25]
	s_xor_b64 s[24:25], exec, s[26:27]
	s_cbranch_execz .LBB38_212
; %bb.211:                              ;   in Loop: Header=BB38_2 Depth=1
	v_lshlrev_b32_e32 v88, 2, v91
	ds_read_b32 v88, v88 offset:4
.LBB38_212:                             ;   in Loop: Header=BB38_2 Depth=1
	s_or_saveexec_b64 s[24:25], s[24:25]
	v_mov_b32_e32 v89, v87
	s_xor_b64 exec, exec, s[24:25]
	s_cbranch_execz .LBB38_214
; %bb.213:                              ;   in Loop: Header=BB38_2 Depth=1
	s_waitcnt lgkmcnt(0)
	v_lshlrev_b32_e32 v88, 2, v90
	ds_read_b32 v89, v88 offset:4
	v_mov_b32_e32 v88, v86
.LBB38_214:                             ;   in Loop: Header=BB38_2 Depth=1
	s_or_b64 exec, exec, s[24:25]
	v_add_u32_e32 v93, 1, v91
	v_add_u32_e32 v92, 1, v90
	v_cndmask_b32_e64 v93, v93, v91, s[22:23]
	v_cndmask_b32_e64 v92, v90, v92, s[22:23]
	v_cmp_ge_i32_e64 s[26:27], v93, v54
	s_waitcnt lgkmcnt(0)
	v_cmp_lt_i32_e64 s[28:29], v89, v88
	v_cmp_lt_i32_e64 s[24:25], v92, v55
	s_or_b64 s[26:27], s[26:27], s[28:29]
	s_and_b64 s[24:25], s[24:25], s[26:27]
	s_xor_b64 s[26:27], s[24:25], -1
                                        ; implicit-def: $vgpr90
	s_and_saveexec_b64 s[28:29], s[26:27]
	s_xor_b64 s[26:27], exec, s[28:29]
	s_cbranch_execz .LBB38_216
; %bb.215:                              ;   in Loop: Header=BB38_2 Depth=1
	v_lshlrev_b32_e32 v90, 2, v93
	ds_read_b32 v90, v90 offset:4
.LBB38_216:                             ;   in Loop: Header=BB38_2 Depth=1
	s_or_saveexec_b64 s[26:27], s[26:27]
	v_mov_b32_e32 v91, v89
	s_xor_b64 exec, exec, s[26:27]
	s_cbranch_execz .LBB38_218
; %bb.217:                              ;   in Loop: Header=BB38_2 Depth=1
	s_waitcnt lgkmcnt(0)
	v_lshlrev_b32_e32 v90, 2, v92
	ds_read_b32 v91, v90 offset:4
	v_mov_b32_e32 v90, v88
.LBB38_218:                             ;   in Loop: Header=BB38_2 Depth=1
	s_or_b64 exec, exec, s[26:27]
	v_add_u32_e32 v95, 1, v93
	v_add_u32_e32 v94, 1, v92
	v_cndmask_b32_e64 v95, v95, v93, s[24:25]
	v_cndmask_b32_e64 v94, v92, v94, s[24:25]
	v_cmp_ge_i32_e64 s[28:29], v95, v54
	s_waitcnt lgkmcnt(0)
	v_cmp_lt_i32_e64 s[30:31], v91, v90
	v_cmp_lt_i32_e64 s[26:27], v94, v55
	s_or_b64 s[28:29], s[28:29], s[30:31]
	s_and_b64 s[26:27], s[26:27], s[28:29]
	s_xor_b64 s[28:29], s[26:27], -1
                                        ; implicit-def: $vgpr92
	s_and_saveexec_b64 s[30:31], s[28:29]
	s_xor_b64 s[28:29], exec, s[30:31]
	s_cbranch_execz .LBB38_220
; %bb.219:                              ;   in Loop: Header=BB38_2 Depth=1
	v_lshlrev_b32_e32 v92, 2, v95
	ds_read_b32 v92, v92 offset:4
.LBB38_220:                             ;   in Loop: Header=BB38_2 Depth=1
	s_or_saveexec_b64 s[28:29], s[28:29]
	v_mov_b32_e32 v93, v91
	s_xor_b64 exec, exec, s[28:29]
	s_cbranch_execz .LBB38_222
; %bb.221:                              ;   in Loop: Header=BB38_2 Depth=1
	s_waitcnt lgkmcnt(0)
	v_lshlrev_b32_e32 v92, 2, v94
	ds_read_b32 v93, v92 offset:4
	v_mov_b32_e32 v92, v90
.LBB38_222:                             ;   in Loop: Header=BB38_2 Depth=1
	s_or_b64 exec, exec, s[28:29]
	v_add_u32_e32 v97, 1, v95
	v_add_u32_e32 v96, 1, v94
	v_cndmask_b32_e64 v95, v97, v95, s[26:27]
	v_cndmask_b32_e64 v94, v94, v96, s[26:27]
	v_cmp_ge_i32_e64 s[30:31], v95, v54
	s_waitcnt lgkmcnt(0)
	v_cmp_lt_i32_e64 s[34:35], v93, v92
	v_cmp_lt_i32_e64 s[28:29], v94, v55
	s_or_b64 s[30:31], s[30:31], s[34:35]
	s_and_b64 s[28:29], s[28:29], s[30:31]
	s_xor_b64 s[30:31], s[28:29], -1
                                        ; implicit-def: $vgpr96
	s_and_saveexec_b64 s[34:35], s[30:31]
	s_xor_b64 s[30:31], exec, s[34:35]
	s_cbranch_execz .LBB38_224
; %bb.223:                              ;   in Loop: Header=BB38_2 Depth=1
	v_lshlrev_b32_e32 v96, 2, v95
	ds_read_b32 v96, v96 offset:4
.LBB38_224:                             ;   in Loop: Header=BB38_2 Depth=1
	s_or_saveexec_b64 s[30:31], s[30:31]
	v_mov_b32_e32 v97, v93
	s_xor_b64 exec, exec, s[30:31]
	s_cbranch_execz .LBB38_226
; %bb.225:                              ;   in Loop: Header=BB38_2 Depth=1
	s_waitcnt lgkmcnt(0)
	v_lshlrev_b32_e32 v96, 2, v94
	ds_read_b32 v97, v96 offset:4
	v_mov_b32_e32 v96, v92
.LBB38_226:                             ;   in Loop: Header=BB38_2 Depth=1
	s_or_b64 exec, exec, s[30:31]
	v_cndmask_b32_e64 v92, v92, v93, s[28:29]
	v_add_u32_e32 v93, 1, v94
	v_add_u32_e32 v98, 1, v95
	v_cndmask_b32_e64 v93, v94, v93, s[28:29]
	v_cndmask_b32_e64 v94, v98, v95, s[28:29]
	;; [unrolled: 1-line block ×4, first 2 shown]
	v_cmp_ge_i32_e64 s[18:19], v94, v54
	s_waitcnt lgkmcnt(0)
	v_cmp_lt_i32_e64 s[20:21], v97, v96
	v_cndmask_b32_e64 v80, v80, v81, s[16:17]
	v_cmp_lt_i32_e64 s[16:17], v93, v55
	s_or_b64 s[18:19], s[18:19], s[20:21]
	s_and_b64 s[16:17], s[16:17], s[18:19]
	v_cndmask_b32_e64 v90, v90, v91, s[26:27]
	v_cndmask_b32_e64 v88, v88, v89, s[24:25]
	;; [unrolled: 1-line block ×4, first 2 shown]
	s_barrier
	ds_write2_b32 v2, v80, v82 offset1:1
	ds_write2_b32 v2, v84, v86 offset0:2 offset1:3
	ds_write2_b32 v2, v88, v90 offset0:4 offset1:5
	;; [unrolled: 1-line block ×3, first 2 shown]
	v_mov_b32_e32 v82, v63
	s_waitcnt lgkmcnt(0)
	s_barrier
	s_and_saveexec_b64 s[18:19], s[12:13]
	s_cbranch_execz .LBB38_230
; %bb.227:                              ;   in Loop: Header=BB38_2 Depth=1
	s_mov_b64 s[20:21], 0
	v_mov_b32_e32 v82, v63
	v_mov_b32_e32 v80, v64
.LBB38_228:                             ;   Parent Loop BB38_2 Depth=1
                                        ; =>  This Inner Loop Header: Depth=2
	v_sub_u32_e32 v81, v80, v82
	v_lshrrev_b32_e32 v83, 31, v81
	v_add_u32_e32 v81, v81, v83
	v_ashrrev_i32_e32 v81, 1, v81
	v_add_u32_e32 v81, v81, v82
	v_xad_u32 v84, v81, -1, v60
	v_lshl_add_u32 v83, v81, 2, v75
	v_lshl_add_u32 v84, v84, 2, v76
	ds_read_b32 v83, v83
	ds_read_b32 v84, v84
	v_add_u32_e32 v85, 1, v81
	s_waitcnt lgkmcnt(0)
	v_cmp_lt_i32_e64 s[16:17], v84, v83
	s_nop 1
	v_cndmask_b32_e64 v80, v80, v81, s[16:17]
	v_cndmask_b32_e64 v82, v85, v82, s[16:17]
	v_cmp_ge_i32_e64 s[16:17], v82, v80
	s_or_b64 s[20:21], s[16:17], s[20:21]
	s_andn2_b64 exec, exec, s[20:21]
	s_cbranch_execnz .LBB38_228
; %bb.229:                              ;   in Loop: Header=BB38_2 Depth=1
	s_or_b64 exec, exec, s[20:21]
.LBB38_230:                             ;   in Loop: Header=BB38_2 Depth=1
	s_or_b64 exec, exec, s[18:19]
	v_sub_u32_e32 v84, v77, v82
	v_lshl_add_u32 v87, v82, 2, v75
	v_lshlrev_b32_e32 v86, 2, v84
	ds_read_b32 v80, v87
	ds_read_b32 v81, v86
	v_add_u32_e32 v85, v82, v59
	v_cmp_le_i32_e64 s[18:19], v61, v85
	v_cmp_gt_i32_e64 s[16:17], v62, v84
                                        ; implicit-def: $vgpr82
                                        ; implicit-def: $vgpr83
	s_waitcnt lgkmcnt(0)
	v_cmp_lt_i32_e64 s[20:21], v81, v80
	s_or_b64 s[18:19], s[18:19], s[20:21]
	s_and_b64 s[16:17], s[16:17], s[18:19]
	s_xor_b64 s[18:19], s[16:17], -1
	s_and_saveexec_b64 s[20:21], s[18:19]
	s_xor_b64 s[18:19], exec, s[20:21]
	s_cbranch_execz .LBB38_232
; %bb.231:                              ;   in Loop: Header=BB38_2 Depth=1
	ds_read_b32 v83, v87 offset:4
	v_mov_b32_e32 v82, v81
                                        ; implicit-def: $vgpr86
.LBB38_232:                             ;   in Loop: Header=BB38_2 Depth=1
	s_andn2_saveexec_b64 s[18:19], s[18:19]
	s_cbranch_execz .LBB38_234
; %bb.233:                              ;   in Loop: Header=BB38_2 Depth=1
	ds_read_b32 v82, v86 offset:4
	s_waitcnt lgkmcnt(1)
	v_mov_b32_e32 v83, v80
.LBB38_234:                             ;   in Loop: Header=BB38_2 Depth=1
	s_or_b64 exec, exec, s[18:19]
	v_add_u32_e32 v87, 1, v85
	v_add_u32_e32 v86, 1, v84
	v_cndmask_b32_e64 v87, v87, v85, s[16:17]
	v_cndmask_b32_e64 v86, v84, v86, s[16:17]
	v_cmp_ge_i32_e64 s[20:21], v87, v61
	s_waitcnt lgkmcnt(0)
	v_cmp_lt_i32_e64 s[22:23], v82, v83
	v_cmp_lt_i32_e64 s[18:19], v86, v62
	s_or_b64 s[20:21], s[20:21], s[22:23]
	s_and_b64 s[18:19], s[18:19], s[20:21]
	s_xor_b64 s[20:21], s[18:19], -1
                                        ; implicit-def: $vgpr84
	s_and_saveexec_b64 s[22:23], s[20:21]
	s_xor_b64 s[20:21], exec, s[22:23]
	s_cbranch_execz .LBB38_236
; %bb.235:                              ;   in Loop: Header=BB38_2 Depth=1
	v_lshlrev_b32_e32 v84, 2, v87
	ds_read_b32 v84, v84 offset:4
.LBB38_236:                             ;   in Loop: Header=BB38_2 Depth=1
	s_or_saveexec_b64 s[20:21], s[20:21]
	v_mov_b32_e32 v85, v82
	s_xor_b64 exec, exec, s[20:21]
	s_cbranch_execz .LBB38_238
; %bb.237:                              ;   in Loop: Header=BB38_2 Depth=1
	s_waitcnt lgkmcnt(0)
	v_lshlrev_b32_e32 v84, 2, v86
	ds_read_b32 v85, v84 offset:4
	v_mov_b32_e32 v84, v83
.LBB38_238:                             ;   in Loop: Header=BB38_2 Depth=1
	s_or_b64 exec, exec, s[20:21]
	v_add_u32_e32 v89, 1, v87
	v_add_u32_e32 v88, 1, v86
	v_cndmask_b32_e64 v89, v89, v87, s[18:19]
	v_cndmask_b32_e64 v88, v86, v88, s[18:19]
	v_cmp_ge_i32_e64 s[22:23], v89, v61
	s_waitcnt lgkmcnt(0)
	v_cmp_lt_i32_e64 s[24:25], v85, v84
	v_cmp_lt_i32_e64 s[20:21], v88, v62
	s_or_b64 s[22:23], s[22:23], s[24:25]
	s_and_b64 s[20:21], s[20:21], s[22:23]
	s_xor_b64 s[22:23], s[20:21], -1
                                        ; implicit-def: $vgpr86
	s_and_saveexec_b64 s[24:25], s[22:23]
	s_xor_b64 s[22:23], exec, s[24:25]
	s_cbranch_execz .LBB38_240
; %bb.239:                              ;   in Loop: Header=BB38_2 Depth=1
	v_lshlrev_b32_e32 v86, 2, v89
	ds_read_b32 v86, v86 offset:4
.LBB38_240:                             ;   in Loop: Header=BB38_2 Depth=1
	s_or_saveexec_b64 s[22:23], s[22:23]
	v_mov_b32_e32 v87, v85
	s_xor_b64 exec, exec, s[22:23]
	s_cbranch_execz .LBB38_242
; %bb.241:                              ;   in Loop: Header=BB38_2 Depth=1
	s_waitcnt lgkmcnt(0)
	v_lshlrev_b32_e32 v86, 2, v88
	ds_read_b32 v87, v86 offset:4
	v_mov_b32_e32 v86, v84
.LBB38_242:                             ;   in Loop: Header=BB38_2 Depth=1
	s_or_b64 exec, exec, s[22:23]
	v_add_u32_e32 v91, 1, v89
	v_add_u32_e32 v90, 1, v88
	v_cndmask_b32_e64 v91, v91, v89, s[20:21]
	v_cndmask_b32_e64 v90, v88, v90, s[20:21]
	v_cmp_ge_i32_e64 s[24:25], v91, v61
	s_waitcnt lgkmcnt(0)
	v_cmp_lt_i32_e64 s[26:27], v87, v86
	v_cmp_lt_i32_e64 s[22:23], v90, v62
	s_or_b64 s[24:25], s[24:25], s[26:27]
	s_and_b64 s[22:23], s[22:23], s[24:25]
	s_xor_b64 s[24:25], s[22:23], -1
                                        ; implicit-def: $vgpr88
	s_and_saveexec_b64 s[26:27], s[24:25]
	s_xor_b64 s[24:25], exec, s[26:27]
	s_cbranch_execz .LBB38_244
; %bb.243:                              ;   in Loop: Header=BB38_2 Depth=1
	v_lshlrev_b32_e32 v88, 2, v91
	ds_read_b32 v88, v88 offset:4
.LBB38_244:                             ;   in Loop: Header=BB38_2 Depth=1
	s_or_saveexec_b64 s[24:25], s[24:25]
	v_mov_b32_e32 v89, v87
	s_xor_b64 exec, exec, s[24:25]
	s_cbranch_execz .LBB38_246
; %bb.245:                              ;   in Loop: Header=BB38_2 Depth=1
	s_waitcnt lgkmcnt(0)
	v_lshlrev_b32_e32 v88, 2, v90
	ds_read_b32 v89, v88 offset:4
	v_mov_b32_e32 v88, v86
.LBB38_246:                             ;   in Loop: Header=BB38_2 Depth=1
	s_or_b64 exec, exec, s[24:25]
	v_add_u32_e32 v93, 1, v91
	v_add_u32_e32 v92, 1, v90
	v_cndmask_b32_e64 v93, v93, v91, s[22:23]
	v_cndmask_b32_e64 v92, v90, v92, s[22:23]
	v_cmp_ge_i32_e64 s[26:27], v93, v61
	s_waitcnt lgkmcnt(0)
	v_cmp_lt_i32_e64 s[28:29], v89, v88
	v_cmp_lt_i32_e64 s[24:25], v92, v62
	s_or_b64 s[26:27], s[26:27], s[28:29]
	s_and_b64 s[24:25], s[24:25], s[26:27]
	s_xor_b64 s[26:27], s[24:25], -1
                                        ; implicit-def: $vgpr90
	s_and_saveexec_b64 s[28:29], s[26:27]
	s_xor_b64 s[26:27], exec, s[28:29]
	s_cbranch_execz .LBB38_248
; %bb.247:                              ;   in Loop: Header=BB38_2 Depth=1
	v_lshlrev_b32_e32 v90, 2, v93
	ds_read_b32 v90, v90 offset:4
.LBB38_248:                             ;   in Loop: Header=BB38_2 Depth=1
	s_or_saveexec_b64 s[26:27], s[26:27]
	v_mov_b32_e32 v91, v89
	s_xor_b64 exec, exec, s[26:27]
	s_cbranch_execz .LBB38_250
; %bb.249:                              ;   in Loop: Header=BB38_2 Depth=1
	s_waitcnt lgkmcnt(0)
	v_lshlrev_b32_e32 v90, 2, v92
	ds_read_b32 v91, v90 offset:4
	v_mov_b32_e32 v90, v88
.LBB38_250:                             ;   in Loop: Header=BB38_2 Depth=1
	s_or_b64 exec, exec, s[26:27]
	v_add_u32_e32 v95, 1, v93
	v_add_u32_e32 v94, 1, v92
	v_cndmask_b32_e64 v95, v95, v93, s[24:25]
	v_cndmask_b32_e64 v94, v92, v94, s[24:25]
	v_cmp_ge_i32_e64 s[28:29], v95, v61
	s_waitcnt lgkmcnt(0)
	v_cmp_lt_i32_e64 s[30:31], v91, v90
	v_cmp_lt_i32_e64 s[26:27], v94, v62
	s_or_b64 s[28:29], s[28:29], s[30:31]
	s_and_b64 s[26:27], s[26:27], s[28:29]
	s_xor_b64 s[28:29], s[26:27], -1
                                        ; implicit-def: $vgpr92
	s_and_saveexec_b64 s[30:31], s[28:29]
	s_xor_b64 s[28:29], exec, s[30:31]
	s_cbranch_execz .LBB38_252
; %bb.251:                              ;   in Loop: Header=BB38_2 Depth=1
	v_lshlrev_b32_e32 v92, 2, v95
	ds_read_b32 v92, v92 offset:4
.LBB38_252:                             ;   in Loop: Header=BB38_2 Depth=1
	s_or_saveexec_b64 s[28:29], s[28:29]
	v_mov_b32_e32 v93, v91
	s_xor_b64 exec, exec, s[28:29]
	s_cbranch_execz .LBB38_254
; %bb.253:                              ;   in Loop: Header=BB38_2 Depth=1
	s_waitcnt lgkmcnt(0)
	v_lshlrev_b32_e32 v92, 2, v94
	ds_read_b32 v93, v92 offset:4
	v_mov_b32_e32 v92, v90
.LBB38_254:                             ;   in Loop: Header=BB38_2 Depth=1
	s_or_b64 exec, exec, s[28:29]
	v_add_u32_e32 v97, 1, v95
	v_add_u32_e32 v96, 1, v94
	v_cndmask_b32_e64 v95, v97, v95, s[26:27]
	v_cndmask_b32_e64 v94, v94, v96, s[26:27]
	v_cmp_ge_i32_e64 s[30:31], v95, v61
	s_waitcnt lgkmcnt(0)
	v_cmp_lt_i32_e64 s[34:35], v93, v92
	v_cmp_lt_i32_e64 s[28:29], v94, v62
	s_or_b64 s[30:31], s[30:31], s[34:35]
	s_and_b64 s[28:29], s[28:29], s[30:31]
	s_xor_b64 s[30:31], s[28:29], -1
                                        ; implicit-def: $vgpr96
	s_and_saveexec_b64 s[34:35], s[30:31]
	s_xor_b64 s[30:31], exec, s[34:35]
	s_cbranch_execz .LBB38_256
; %bb.255:                              ;   in Loop: Header=BB38_2 Depth=1
	v_lshlrev_b32_e32 v96, 2, v95
	ds_read_b32 v96, v96 offset:4
.LBB38_256:                             ;   in Loop: Header=BB38_2 Depth=1
	s_or_saveexec_b64 s[30:31], s[30:31]
	v_mov_b32_e32 v97, v93
	s_xor_b64 exec, exec, s[30:31]
	s_cbranch_execz .LBB38_258
; %bb.257:                              ;   in Loop: Header=BB38_2 Depth=1
	s_waitcnt lgkmcnt(0)
	v_lshlrev_b32_e32 v96, 2, v94
	ds_read_b32 v97, v96 offset:4
	v_mov_b32_e32 v96, v92
.LBB38_258:                             ;   in Loop: Header=BB38_2 Depth=1
	s_or_b64 exec, exec, s[30:31]
	v_cndmask_b32_e64 v92, v92, v93, s[28:29]
	v_add_u32_e32 v93, 1, v94
	v_add_u32_e32 v98, 1, v95
	v_cndmask_b32_e64 v93, v94, v93, s[28:29]
	v_cndmask_b32_e64 v94, v98, v95, s[28:29]
	;; [unrolled: 1-line block ×4, first 2 shown]
	v_cmp_ge_i32_e64 s[18:19], v94, v61
	s_waitcnt lgkmcnt(0)
	v_cmp_lt_i32_e64 s[20:21], v97, v96
	v_cndmask_b32_e64 v80, v80, v81, s[16:17]
	v_cmp_lt_i32_e64 s[16:17], v93, v62
	s_or_b64 s[18:19], s[18:19], s[20:21]
	s_and_b64 s[16:17], s[16:17], s[18:19]
	v_cndmask_b32_e64 v90, v90, v91, s[26:27]
	v_cndmask_b32_e64 v88, v88, v89, s[24:25]
	;; [unrolled: 1-line block ×4, first 2 shown]
	s_barrier
	ds_write2_b32 v2, v80, v82 offset1:1
	ds_write2_b32 v2, v84, v86 offset0:2 offset1:3
	ds_write2_b32 v2, v88, v90 offset0:4 offset1:5
	;; [unrolled: 1-line block ×3, first 2 shown]
	v_mov_b32_e32 v84, v65
	s_waitcnt lgkmcnt(0)
	s_barrier
	s_and_saveexec_b64 s[18:19], s[14:15]
	s_cbranch_execz .LBB38_262
; %bb.259:                              ;   in Loop: Header=BB38_2 Depth=1
	s_mov_b64 s[20:21], 0
	v_mov_b32_e32 v84, v65
	v_mov_b32_e32 v80, v66
.LBB38_260:                             ;   Parent Loop BB38_2 Depth=1
                                        ; =>  This Inner Loop Header: Depth=2
	v_sub_u32_e32 v81, v80, v84
	v_lshrrev_b32_e32 v82, 31, v81
	v_add_u32_e32 v81, v81, v82
	v_ashrrev_i32_e32 v81, 1, v81
	v_add_u32_e32 v81, v81, v84
	v_xad_u32 v83, v81, -1, v1
	v_lshlrev_b32_e32 v82, 2, v81
	v_lshl_add_u32 v83, v83, 2, v78
	ds_read_b32 v82, v82
	ds_read_b32 v83, v83
	v_add_u32_e32 v85, 1, v81
	s_waitcnt lgkmcnt(0)
	v_cmp_lt_i32_e64 s[16:17], v83, v82
	s_nop 1
	v_cndmask_b32_e64 v80, v80, v81, s[16:17]
	v_cndmask_b32_e64 v84, v85, v84, s[16:17]
	v_cmp_ge_i32_e64 s[16:17], v84, v80
	s_or_b64 s[20:21], s[16:17], s[20:21]
	s_andn2_b64 exec, exec, s[20:21]
	s_cbranch_execnz .LBB38_260
; %bb.261:                              ;   in Loop: Header=BB38_2 Depth=1
	s_or_b64 exec, exec, s[20:21]
.LBB38_262:                             ;   in Loop: Header=BB38_2 Depth=1
	s_or_b64 exec, exec, s[18:19]
	v_sub_u32_e32 v85, v79, v84
	v_lshlrev_b32_e32 v87, 2, v84
	v_lshlrev_b32_e32 v86, 2, v85
	ds_read_b32 v80, v87
	ds_read_b32 v81, v86
	v_cmp_le_i32_e64 s[18:19], v58, v84
	v_cmp_gt_i32_e64 s[16:17], s33, v85
                                        ; implicit-def: $vgpr82
                                        ; implicit-def: $vgpr83
	s_waitcnt lgkmcnt(0)
	v_cmp_lt_i32_e64 s[20:21], v81, v80
	s_or_b64 s[18:19], s[18:19], s[20:21]
	s_and_b64 s[16:17], s[16:17], s[18:19]
	s_xor_b64 s[18:19], s[16:17], -1
	s_and_saveexec_b64 s[20:21], s[18:19]
	s_xor_b64 s[18:19], exec, s[20:21]
	s_cbranch_execz .LBB38_264
; %bb.263:                              ;   in Loop: Header=BB38_2 Depth=1
	ds_read_b32 v83, v87 offset:4
	v_mov_b32_e32 v82, v81
                                        ; implicit-def: $vgpr86
.LBB38_264:                             ;   in Loop: Header=BB38_2 Depth=1
	s_andn2_saveexec_b64 s[18:19], s[18:19]
	s_cbranch_execz .LBB38_266
; %bb.265:                              ;   in Loop: Header=BB38_2 Depth=1
	ds_read_b32 v82, v86 offset:4
	s_waitcnt lgkmcnt(1)
	v_mov_b32_e32 v83, v80
.LBB38_266:                             ;   in Loop: Header=BB38_2 Depth=1
	s_or_b64 exec, exec, s[18:19]
	v_add_u32_e32 v87, 1, v84
	v_add_u32_e32 v86, 1, v85
	v_cndmask_b32_e64 v87, v87, v84, s[16:17]
	v_cndmask_b32_e64 v86, v85, v86, s[16:17]
	v_cmp_ge_i32_e64 s[20:21], v87, v58
	s_waitcnt lgkmcnt(0)
	v_cmp_lt_i32_e64 s[22:23], v82, v83
	v_cmp_gt_i32_e64 s[18:19], s33, v86
	s_or_b64 s[20:21], s[20:21], s[22:23]
	s_and_b64 s[18:19], s[18:19], s[20:21]
	s_xor_b64 s[20:21], s[18:19], -1
                                        ; implicit-def: $vgpr84
	s_and_saveexec_b64 s[22:23], s[20:21]
	s_xor_b64 s[20:21], exec, s[22:23]
	s_cbranch_execz .LBB38_268
; %bb.267:                              ;   in Loop: Header=BB38_2 Depth=1
	v_lshlrev_b32_e32 v84, 2, v87
	ds_read_b32 v84, v84 offset:4
.LBB38_268:                             ;   in Loop: Header=BB38_2 Depth=1
	s_or_saveexec_b64 s[20:21], s[20:21]
	v_mov_b32_e32 v85, v82
	s_xor_b64 exec, exec, s[20:21]
	s_cbranch_execz .LBB38_270
; %bb.269:                              ;   in Loop: Header=BB38_2 Depth=1
	s_waitcnt lgkmcnt(0)
	v_lshlrev_b32_e32 v84, 2, v86
	ds_read_b32 v85, v84 offset:4
	v_mov_b32_e32 v84, v83
.LBB38_270:                             ;   in Loop: Header=BB38_2 Depth=1
	s_or_b64 exec, exec, s[20:21]
	v_add_u32_e32 v89, 1, v87
	v_add_u32_e32 v88, 1, v86
	v_cndmask_b32_e64 v89, v89, v87, s[18:19]
	v_cndmask_b32_e64 v88, v86, v88, s[18:19]
	v_cmp_ge_i32_e64 s[22:23], v89, v58
	s_waitcnt lgkmcnt(0)
	v_cmp_lt_i32_e64 s[24:25], v85, v84
	v_cmp_gt_i32_e64 s[20:21], s33, v88
	s_or_b64 s[22:23], s[22:23], s[24:25]
	s_and_b64 s[20:21], s[20:21], s[22:23]
	s_xor_b64 s[22:23], s[20:21], -1
                                        ; implicit-def: $vgpr86
	s_and_saveexec_b64 s[24:25], s[22:23]
	s_xor_b64 s[22:23], exec, s[24:25]
	s_cbranch_execz .LBB38_272
; %bb.271:                              ;   in Loop: Header=BB38_2 Depth=1
	v_lshlrev_b32_e32 v86, 2, v89
	ds_read_b32 v86, v86 offset:4
.LBB38_272:                             ;   in Loop: Header=BB38_2 Depth=1
	s_or_saveexec_b64 s[22:23], s[22:23]
	v_mov_b32_e32 v87, v85
	s_xor_b64 exec, exec, s[22:23]
	s_cbranch_execz .LBB38_274
; %bb.273:                              ;   in Loop: Header=BB38_2 Depth=1
	s_waitcnt lgkmcnt(0)
	v_lshlrev_b32_e32 v86, 2, v88
	ds_read_b32 v87, v86 offset:4
	v_mov_b32_e32 v86, v84
.LBB38_274:                             ;   in Loop: Header=BB38_2 Depth=1
	s_or_b64 exec, exec, s[22:23]
	v_add_u32_e32 v91, 1, v89
	v_add_u32_e32 v90, 1, v88
	v_cndmask_b32_e64 v89, v91, v89, s[20:21]
	v_cndmask_b32_e64 v88, v88, v90, s[20:21]
	v_cmp_ge_i32_e64 s[24:25], v89, v58
	s_waitcnt lgkmcnt(0)
	v_cmp_lt_i32_e64 s[26:27], v87, v86
	v_cmp_gt_i32_e64 s[22:23], s33, v88
	s_or_b64 s[24:25], s[24:25], s[26:27]
	s_and_b64 s[22:23], s[22:23], s[24:25]
	s_xor_b64 s[24:25], s[22:23], -1
                                        ; implicit-def: $vgpr90
	s_and_saveexec_b64 s[26:27], s[24:25]
	s_xor_b64 s[24:25], exec, s[26:27]
	s_cbranch_execz .LBB38_276
; %bb.275:                              ;   in Loop: Header=BB38_2 Depth=1
	v_lshlrev_b32_e32 v90, 2, v89
	ds_read_b32 v90, v90 offset:4
.LBB38_276:                             ;   in Loop: Header=BB38_2 Depth=1
	s_or_saveexec_b64 s[24:25], s[24:25]
	v_mov_b32_e32 v91, v87
	s_xor_b64 exec, exec, s[24:25]
	s_cbranch_execz .LBB38_278
; %bb.277:                              ;   in Loop: Header=BB38_2 Depth=1
	s_waitcnt lgkmcnt(0)
	v_lshlrev_b32_e32 v90, 2, v88
	ds_read_b32 v91, v90 offset:4
	v_mov_b32_e32 v90, v86
.LBB38_278:                             ;   in Loop: Header=BB38_2 Depth=1
	s_or_b64 exec, exec, s[24:25]
	v_add_u32_e32 v93, 1, v89
	v_add_u32_e32 v92, 1, v88
	v_cndmask_b32_e64 v89, v93, v89, s[22:23]
	v_cndmask_b32_e64 v88, v88, v92, s[22:23]
	v_cmp_ge_i32_e64 s[26:27], v89, v58
	s_waitcnt lgkmcnt(0)
	v_cmp_lt_i32_e64 s[28:29], v91, v90
	v_cmp_gt_i32_e64 s[24:25], s33, v88
	s_or_b64 s[26:27], s[26:27], s[28:29]
	s_and_b64 s[24:25], s[24:25], s[26:27]
	s_xor_b64 s[26:27], s[24:25], -1
                                        ; implicit-def: $vgpr92
	s_and_saveexec_b64 s[28:29], s[26:27]
	s_xor_b64 s[26:27], exec, s[28:29]
	s_cbranch_execz .LBB38_280
; %bb.279:                              ;   in Loop: Header=BB38_2 Depth=1
	v_lshlrev_b32_e32 v92, 2, v89
	ds_read_b32 v92, v92 offset:4
.LBB38_280:                             ;   in Loop: Header=BB38_2 Depth=1
	s_or_saveexec_b64 s[26:27], s[26:27]
	v_mov_b32_e32 v93, v91
	s_xor_b64 exec, exec, s[26:27]
	s_cbranch_execz .LBB38_282
; %bb.281:                              ;   in Loop: Header=BB38_2 Depth=1
	s_waitcnt lgkmcnt(0)
	v_lshlrev_b32_e32 v92, 2, v88
	ds_read_b32 v93, v92 offset:4
	v_mov_b32_e32 v92, v90
.LBB38_282:                             ;   in Loop: Header=BB38_2 Depth=1
	s_or_b64 exec, exec, s[26:27]
	v_add_u32_e32 v95, 1, v89
	v_add_u32_e32 v94, 1, v88
	v_cndmask_b32_e64 v89, v95, v89, s[24:25]
	v_cndmask_b32_e64 v88, v88, v94, s[24:25]
	v_cmp_ge_i32_e64 s[28:29], v89, v58
	s_waitcnt lgkmcnt(0)
	v_cmp_lt_i32_e64 s[30:31], v93, v92
	v_cmp_gt_i32_e64 s[26:27], s33, v88
	s_or_b64 s[28:29], s[28:29], s[30:31]
	s_and_b64 s[26:27], s[26:27], s[28:29]
	s_xor_b64 s[28:29], s[26:27], -1
                                        ; implicit-def: $vgpr94
	s_and_saveexec_b64 s[30:31], s[28:29]
	s_xor_b64 s[28:29], exec, s[30:31]
	s_cbranch_execz .LBB38_284
; %bb.283:                              ;   in Loop: Header=BB38_2 Depth=1
	v_lshlrev_b32_e32 v94, 2, v89
	ds_read_b32 v94, v94 offset:4
.LBB38_284:                             ;   in Loop: Header=BB38_2 Depth=1
	s_or_saveexec_b64 s[28:29], s[28:29]
	v_mov_b32_e32 v95, v93
	s_xor_b64 exec, exec, s[28:29]
	s_cbranch_execz .LBB38_286
; %bb.285:                              ;   in Loop: Header=BB38_2 Depth=1
	s_waitcnt lgkmcnt(0)
	v_lshlrev_b32_e32 v94, 2, v88
	ds_read_b32 v95, v94 offset:4
	v_mov_b32_e32 v94, v92
.LBB38_286:                             ;   in Loop: Header=BB38_2 Depth=1
	s_or_b64 exec, exec, s[28:29]
	v_add_u32_e32 v96, 1, v88
	v_add_u32_e32 v97, 1, v89
	v_cndmask_b32_e64 v96, v88, v96, s[26:27]
	v_cndmask_b32_e64 v88, v97, v89, s[26:27]
	v_cmp_ge_i32_e64 s[30:31], v88, v58
	s_waitcnt lgkmcnt(0)
	v_cmp_lt_i32_e64 s[34:35], v95, v94
	v_cmp_gt_i32_e64 s[28:29], s33, v96
	s_or_b64 s[30:31], s[30:31], s[34:35]
	s_and_b64 s[28:29], s[28:29], s[30:31]
	s_xor_b64 s[30:31], s[28:29], -1
                                        ; implicit-def: $vgpr97
                                        ; implicit-def: $vgpr98
	s_and_saveexec_b64 s[34:35], s[30:31]
	s_xor_b64 s[30:31], exec, s[34:35]
	s_cbranch_execz .LBB38_288
; %bb.287:                              ;   in Loop: Header=BB38_2 Depth=1
	v_lshlrev_b32_e32 v89, 2, v88
	ds_read_b32 v97, v89 offset:4
	v_add_u32_e32 v98, 1, v88
                                        ; implicit-def: $vgpr88
.LBB38_288:                             ;   in Loop: Header=BB38_2 Depth=1
	s_or_saveexec_b64 s[30:31], s[30:31]
	v_mov_b32_e32 v99, v95
	s_xor_b64 exec, exec, s[30:31]
	s_cbranch_execz .LBB38_1
; %bb.289:                              ;   in Loop: Header=BB38_2 Depth=1
	v_lshlrev_b32_e32 v89, 2, v96
	ds_read_b32 v99, v89 offset:4
	v_add_u32_e32 v96, 1, v96
	v_mov_b32_e32 v98, v88
	s_waitcnt lgkmcnt(1)
	v_mov_b32_e32 v97, v94
	s_branch .LBB38_1
.LBB38_290:
	s_add_u32 s0, s38, s42
	s_addc_u32 s1, s39, s43
	v_lshlrev_b32_e32 v0, 2, v0
	v_mov_b32_e32 v1, 0
	v_lshl_add_u64 v[2:3], s[0:1], 0, v[0:1]
	global_store_dword v0, v89, s[0:1]
	global_store_dword v0, v88, s[0:1] offset:2048
	v_add_co_u32_e32 v0, vcc, 0x1000, v2
	s_nop 1
	v_addc_co_u32_e32 v1, vcc, 0, v3, vcc
	global_store_dword v[0:1], v83, off
	global_store_dword v[0:1], v85, off offset:2048
	v_add_co_u32_e32 v0, vcc, 0x2000, v2
	s_nop 1
	v_addc_co_u32_e32 v1, vcc, 0, v3, vcc
	global_store_dword v[0:1], v81, off
	global_store_dword v[0:1], v82, off offset:2048
	;; [unrolled: 5-line block ×3, first 2 shown]
	s_endpgm
	.section	.rodata,"a",@progbits
	.p2align	6, 0x0
	.amdhsa_kernel _Z16sort_keys_kernelIiLj512ELj8EN10test_utils4lessELj10EEvPKT_PS2_T2_
		.amdhsa_group_segment_fixed_size 16388
		.amdhsa_private_segment_fixed_size 0
		.amdhsa_kernarg_size 20
		.amdhsa_user_sgpr_count 2
		.amdhsa_user_sgpr_dispatch_ptr 0
		.amdhsa_user_sgpr_queue_ptr 0
		.amdhsa_user_sgpr_kernarg_segment_ptr 1
		.amdhsa_user_sgpr_dispatch_id 0
		.amdhsa_user_sgpr_kernarg_preload_length 0
		.amdhsa_user_sgpr_kernarg_preload_offset 0
		.amdhsa_user_sgpr_private_segment_size 0
		.amdhsa_uses_dynamic_stack 0
		.amdhsa_enable_private_segment 0
		.amdhsa_system_sgpr_workgroup_id_x 1
		.amdhsa_system_sgpr_workgroup_id_y 0
		.amdhsa_system_sgpr_workgroup_id_z 0
		.amdhsa_system_sgpr_workgroup_info 0
		.amdhsa_system_vgpr_workitem_id 0
		.amdhsa_next_free_vgpr 100
		.amdhsa_next_free_sgpr 44
		.amdhsa_accum_offset 100
		.amdhsa_reserve_vcc 1
		.amdhsa_float_round_mode_32 0
		.amdhsa_float_round_mode_16_64 0
		.amdhsa_float_denorm_mode_32 3
		.amdhsa_float_denorm_mode_16_64 3
		.amdhsa_dx10_clamp 1
		.amdhsa_ieee_mode 1
		.amdhsa_fp16_overflow 0
		.amdhsa_tg_split 0
		.amdhsa_exception_fp_ieee_invalid_op 0
		.amdhsa_exception_fp_denorm_src 0
		.amdhsa_exception_fp_ieee_div_zero 0
		.amdhsa_exception_fp_ieee_overflow 0
		.amdhsa_exception_fp_ieee_underflow 0
		.amdhsa_exception_fp_ieee_inexact 0
		.amdhsa_exception_int_div_zero 0
	.end_amdhsa_kernel
	.section	.text._Z16sort_keys_kernelIiLj512ELj8EN10test_utils4lessELj10EEvPKT_PS2_T2_,"axG",@progbits,_Z16sort_keys_kernelIiLj512ELj8EN10test_utils4lessELj10EEvPKT_PS2_T2_,comdat
.Lfunc_end38:
	.size	_Z16sort_keys_kernelIiLj512ELj8EN10test_utils4lessELj10EEvPKT_PS2_T2_, .Lfunc_end38-_Z16sort_keys_kernelIiLj512ELj8EN10test_utils4lessELj10EEvPKT_PS2_T2_
                                        ; -- End function
	.section	.AMDGPU.csdata,"",@progbits
; Kernel info:
; codeLenInByte = 12808
; NumSgprs: 50
; NumVgprs: 100
; NumAgprs: 0
; TotalNumVgprs: 100
; ScratchSize: 0
; MemoryBound: 0
; FloatMode: 240
; IeeeMode: 1
; LDSByteSize: 16388 bytes/workgroup (compile time only)
; SGPRBlocks: 6
; VGPRBlocks: 12
; NumSGPRsForWavesPerEU: 50
; NumVGPRsForWavesPerEU: 100
; AccumOffset: 100
; Occupancy: 4
; WaveLimiterHint : 1
; COMPUTE_PGM_RSRC2:SCRATCH_EN: 0
; COMPUTE_PGM_RSRC2:USER_SGPR: 2
; COMPUTE_PGM_RSRC2:TRAP_HANDLER: 0
; COMPUTE_PGM_RSRC2:TGID_X_EN: 1
; COMPUTE_PGM_RSRC2:TGID_Y_EN: 0
; COMPUTE_PGM_RSRC2:TGID_Z_EN: 0
; COMPUTE_PGM_RSRC2:TIDIG_COMP_CNT: 0
; COMPUTE_PGM_RSRC3_GFX90A:ACCUM_OFFSET: 24
; COMPUTE_PGM_RSRC3_GFX90A:TG_SPLIT: 0
	.section	.text._Z17sort_pairs_kernelIiLj512ELj8EN10test_utils4lessELj10EEvPKT_PS2_T2_,"axG",@progbits,_Z17sort_pairs_kernelIiLj512ELj8EN10test_utils4lessELj10EEvPKT_PS2_T2_,comdat
	.protected	_Z17sort_pairs_kernelIiLj512ELj8EN10test_utils4lessELj10EEvPKT_PS2_T2_ ; -- Begin function _Z17sort_pairs_kernelIiLj512ELj8EN10test_utils4lessELj10EEvPKT_PS2_T2_
	.globl	_Z17sort_pairs_kernelIiLj512ELj8EN10test_utils4lessELj10EEvPKT_PS2_T2_
	.p2align	8
	.type	_Z17sort_pairs_kernelIiLj512ELj8EN10test_utils4lessELj10EEvPKT_PS2_T2_,@function
_Z17sort_pairs_kernelIiLj512ELj8EN10test_utils4lessELj10EEvPKT_PS2_T2_: ; @_Z17sort_pairs_kernelIiLj512ELj8EN10test_utils4lessELj10EEvPKT_PS2_T2_
; %bb.0:
	s_load_dwordx4 s[92:95], s[0:1], 0x0
	s_lshl_b32 s98, s2, 12
	s_mov_b32 s99, 0
	s_lshl_b64 s[96:97], s[98:99], 2
	v_mov_b32_e32 v3, 0
	s_waitcnt lgkmcnt(0)
	s_add_u32 s0, s92, s96
	s_addc_u32 s1, s93, s97
	v_lshlrev_b32_e32 v2, 2, v0
	v_lshl_add_u64 v[4:5], s[0:1], 0, v[2:3]
	s_movk_i32 s33, 0x1000
	v_add_co_u32_e32 v6, vcc, s33, v4
	s_movk_i32 s2, 0x2000
	s_nop 0
	v_addc_co_u32_e32 v7, vcc, 0, v5, vcc
	v_add_co_u32_e32 v8, vcc, s2, v4
	v_lshlrev_b32_e32 v1, 3, v0
	s_nop 0
	v_addc_co_u32_e32 v9, vcc, 0, v5, vcc
	global_load_dword v90, v[6:7], off offset:2048
	global_load_dword v93, v2, s[0:1]
	global_load_dword v94, v2, s[0:1] offset:2048
	global_load_dword v92, v[8:9], off offset:-4096
	global_load_dword v91, v[8:9], off
	global_load_dword v89, v[8:9], off offset:2048
	s_movk_i32 s0, 0x3000
	v_add_co_u32_e32 v2, vcc, s0, v4
	v_and_b32_e32 v4, 8, v1
	s_nop 0
	v_addc_co_u32_e32 v3, vcc, 0, v5, vcc
	global_load_dword v95, v[2:3], off
	global_load_dword v88, v[2:3], off offset:2048
	v_and_b32_e32 v3, 0xff0, v1
	v_and_b32_e32 v5, 0xfe0, v1
	v_or_b32_e32 v11, 8, v3
	v_add_u32_e32 v12, 16, v3
	v_and_b32_e32 v7, 0xfc0, v1
	v_and_b32_e32 v9, 0xf80, v1
	v_or_b32_e32 v14, 16, v5
	v_add_u32_e32 v15, 32, v5
	v_sub_u32_e32 v27, v12, v11
	v_and_b32_e32 v6, 24, v1
	v_or_b32_e32 v17, 32, v7
	v_add_u32_e32 v18, 64, v7
	v_or_b32_e32 v19, 64, v9
	v_add_u32_e32 v20, 0x80, v9
	v_sub_u32_e32 v28, v15, v14
	v_sub_u32_e32 v32, v4, v27
	v_cmp_ge_i32_e32 vcc, v4, v27
	v_and_b32_e32 v8, 56, v1
	v_and_b32_e32 v10, 0x78, v1
	v_sub_u32_e32 v29, v18, v17
	v_sub_u32_e32 v30, v20, v19
	;; [unrolled: 1-line block ×3, first 2 shown]
	v_cndmask_b32_e32 v27, 0, v32, vcc
	v_cmp_ge_i32_e32 vcc, v6, v28
	v_sub_u32_e32 v34, v8, v29
	v_sub_u32_e32 v35, v10, v30
	v_cndmask_b32_e32 v28, 0, v33, vcc
	v_cmp_ge_i32_e32 vcc, v8, v29
	v_cmp_ge_i32_e64 s[4:5], v10, v30
	v_and_b32_e32 v32, 0xf00, v1
	v_cndmask_b32_e32 v29, 0, v34, vcc
	v_cndmask_b32_e64 v30, 0, v35, s[4:5]
	v_or_b32_e32 v34, 0x80, v32
	v_add_u32_e32 v35, 0x100, v32
	v_and_b32_e32 v33, 0xf8, v1
	v_sub_u32_e32 v36, v35, v34
	v_sub_u32_e32 v38, v33, v36
	v_cmp_ge_i32_e64 s[6:7], v33, v36
	v_and_b32_e32 v39, 0x1f8, v1
	v_and_b32_e32 v51, 0x800, v1
	v_cndmask_b32_e64 v36, 0, v38, s[6:7]
	v_and_b32_e32 v38, 0xe00, v1
	v_or_b32_e32 v40, 0x100, v38
	v_add_u32_e32 v41, 0x200, v38
	v_sub_u32_e32 v42, v41, v40
	v_sub_u32_e32 v44, v39, v42
	v_cmp_ge_i32_e64 s[8:9], v39, v42
	v_and_b32_e32 v45, 0x3f8, v1
	v_or_b32_e32 v53, 0x400, v51
	v_cndmask_b32_e64 v42, 0, v44, s[8:9]
	v_and_b32_e32 v44, 0xc00, v1
	v_or_b32_e32 v46, 0x200, v44
	v_add_u32_e32 v47, 0x400, v44
	v_sub_u32_e32 v48, v47, v46
	v_add_u32_e32 v54, 0x800, v51
	v_sub_u32_e32 v50, v45, v48
	v_cmp_ge_i32_e64 s[10:11], v45, v48
	v_and_b32_e32 v52, 0x7f8, v1
	v_sub_u32_e32 v55, v54, v53
	v_sub_u32_e32 v24, v11, v3
	;; [unrolled: 1-line block ×8, first 2 shown]
	v_cndmask_b32_e64 v48, 0, v50, s[10:11]
	v_mov_b32_e32 v50, 0x800
	v_sub_u32_e32 v56, v53, v51
	v_sub_u32_e32 v57, v52, v55
	v_cmp_ge_i32_e64 s[12:13], v52, v55
	v_min_i32_e32 v24, v4, v24
	v_min_i32_e32 v25, v6, v25
	;; [unrolled: 1-line block ×7, first 2 shown]
	v_cndmask_b32_e64 v55, 0, v57, s[12:13]
	v_min_i32_e32 v56, v52, v56
	v_sub_u32_e64 v57, v1, v50 clamp
	v_min_i32_e32 v58, 0x800, v1
	v_lshlrev_b32_e32 v2, 5, v0
	v_lshlrev_b32_e32 v13, 2, v3
	;; [unrolled: 1-line block ×4, first 2 shown]
	v_add_u32_e32 v22, v11, v4
	v_lshlrev_b32_e32 v23, 2, v14
	v_cmp_lt_i32_e32 vcc, v27, v24
	v_cmp_lt_i32_e64 s[0:1], v28, v25
	v_cmp_lt_i32_e64 s[2:3], v29, v26
	s_waitcnt vmcnt(6)
	v_add_u32_e32 v80, 1, v93
	s_waitcnt vmcnt(5)
	v_add_u32_e32 v84, 1, v94
	;; [unrolled: 2-line block ×3, first 2 shown]
	v_add_u32_e32 v85, 1, v90
	s_waitcnt vmcnt(3)
	v_add_u32_e32 v82, 1, v91
	s_waitcnt vmcnt(2)
	;; [unrolled: 2-line block ×4, first 2 shown]
	v_add_u32_e32 v87, 1, v88
	v_cmp_lt_i32_e64 s[4:5], v30, v31
	v_cmp_lt_i32_e64 s[6:7], v36, v37
	;; [unrolled: 1-line block ×6, first 2 shown]
	v_add_u32_e32 v59, v14, v6
	v_lshlrev_b32_e32 v60, 2, v7
	v_lshlrev_b32_e32 v61, 2, v17
	v_add_u32_e32 v62, v17, v8
	v_lshlrev_b32_e32 v63, 2, v9
	v_lshlrev_b32_e32 v64, 2, v19
	;; [unrolled: 3-line block ×6, first 2 shown]
	v_add_u32_e32 v77, v53, v52
	v_mov_b32_e32 v78, 0x2000
	v_add_u32_e32 v79, 0x800, v1
	s_branch .LBB39_2
.LBB39_1:                               ;   in Loop: Header=BB39_2 Depth=1
	s_or_b64 exec, exec, s[30:31]
	v_cndmask_b32_e64 v94, v94, v92, s[18:19]
	v_cndmask_b32_e64 v92, v97, v98, s[20:21]
	;; [unrolled: 1-line block ×4, first 2 shown]
	v_cmp_ge_i32_e64 s[18:19], v117, v50
	s_waitcnt lgkmcnt(0)
	v_cmp_lt_i32_e64 s[20:21], v119, v118
	v_cndmask_b32_e64 v93, v90, v91, s[16:17]
	v_cndmask_b32_e64 v89, v88, v89, s[16:17]
	v_cmp_gt_i32_e64 s[16:17], s33, v115
	s_or_b64 s[18:19], s[18:19], s[20:21]
	v_cndmask_b32_e64 v90, v101, v102, s[22:23]
	v_cndmask_b32_e64 v97, v114, v113, s[24:25]
	;; [unrolled: 1-line block ×4, first 2 shown]
	s_and_b64 s[16:17], s[16:17], s[18:19]
	v_cndmask_b32_e64 v96, v117, v115, s[16:17]
	s_barrier
	ds_write2_b32 v2, v80, v81 offset1:1
	ds_write2_b32 v2, v82, v83 offset0:2 offset1:3
	ds_write2_b32 v2, v84, v85 offset0:4 offset1:5
	ds_write2_b32 v2, v86, v87 offset0:6 offset1:7
	v_lshlrev_b32_e32 v80, 2, v89
	v_lshlrev_b32_e32 v81, 2, v95
	;; [unrolled: 1-line block ×6, first 2 shown]
	s_waitcnt lgkmcnt(0)
	s_barrier
	v_lshlrev_b32_e32 v89, 2, v116
	v_lshlrev_b32_e32 v95, 2, v96
	ds_read_b32 v80, v80
	ds_read_b32 v84, v81
	ds_read_b32 v81, v82
	ds_read_b32 v85, v83
	ds_read_b32 v82, v86
	ds_read_b32 v86, v87
	ds_read_b32 v83, v89
	ds_read_b32 v87, v95
	s_add_i32 s99, s99, 1
	v_cndmask_b32_e64 v91, v106, v108, s[26:27]
	v_cndmask_b32_e64 v88, v118, v119, s[16:17]
	;; [unrolled: 1-line block ×3, first 2 shown]
	s_cmp_eq_u32 s99, 10
	v_cndmask_b32_e64 v95, v111, v112, s[28:29]
	s_cbranch_scc1 .LBB39_290
.LBB39_2:                               ; =>This Loop Header: Depth=1
                                        ;     Child Loop BB39_4 Depth 2
                                        ;     Child Loop BB39_36 Depth 2
	;; [unrolled: 1-line block ×9, first 2 shown]
	v_cmp_lt_i32_e64 s[16:17], v94, v93
	v_cmp_lt_i32_e64 s[18:19], v90, v92
	v_cmp_lt_i32_e64 s[20:21], v89, v91
	v_cmp_lt_i32_e64 s[22:23], v88, v95
	v_cndmask_b32_e64 v96, v93, v94, s[16:17]
	v_cndmask_b32_e64 v93, v94, v93, s[16:17]
	v_cndmask_b32_e64 v94, v90, v92, s[18:19]
	v_cndmask_b32_e64 v90, v92, v90, s[18:19]
	v_cndmask_b32_e64 v92, v89, v91, s[20:21]
	v_cndmask_b32_e64 v89, v91, v89, s[20:21]
	v_cndmask_b32_e64 v91, v88, v95, s[22:23]
	v_cndmask_b32_e64 v88, v95, v88, s[22:23]
	v_cmp_lt_i32_e64 s[24:25], v90, v93
	v_cmp_lt_i32_e64 s[26:27], v89, v94
	v_cmp_lt_i32_e64 s[28:29], v88, v92
	v_cndmask_b32_e64 v95, v90, v93, s[24:25]
	v_cndmask_b32_e64 v90, v93, v90, s[24:25]
	v_cndmask_b32_e64 v93, v89, v94, s[26:27]
	v_cndmask_b32_e64 v89, v94, v89, s[26:27]
	v_cndmask_b32_e64 v94, v88, v92, s[28:29]
	v_cndmask_b32_e64 v88, v92, v88, s[28:29]
	v_cmp_lt_i32_e64 s[30:31], v90, v96
	v_cmp_lt_i32_e64 s[34:35], v89, v95
	v_cmp_lt_i32_e64 s[36:37], v88, v93
	v_cmp_lt_i32_e64 s[38:39], v91, v94
	v_cndmask_b32_e64 v92, v96, v90, s[30:31]
	v_cndmask_b32_e64 v90, v90, v96, s[30:31]
	v_cndmask_b32_e64 v96, v89, v95, s[34:35]
	v_cndmask_b32_e64 v89, v95, v89, s[34:35]
	v_cndmask_b32_e64 v95, v88, v93, s[36:37]
	v_cndmask_b32_e64 v88, v93, v88, s[36:37]
	v_cndmask_b32_e64 v93, v91, v94, s[38:39]
	v_cndmask_b32_e64 v91, v94, v91, s[38:39]
	v_cmp_lt_i32_e64 s[40:41], v89, v90
	v_cmp_lt_i32_e64 s[42:43], v88, v96
	v_cmp_lt_i32_e64 s[44:45], v91, v95
	v_cndmask_b32_e64 v94, v89, v90, s[40:41]
	v_cndmask_b32_e64 v89, v90, v89, s[40:41]
	v_cndmask_b32_e64 v90, v88, v96, s[42:43]
	v_cndmask_b32_e64 v88, v96, v88, s[42:43]
	v_cndmask_b32_e64 v96, v91, v95, s[44:45]
	v_cndmask_b32_e64 v91, v95, v91, s[44:45]
	v_cmp_lt_i32_e64 s[46:47], v89, v92
	v_cmp_lt_i32_e64 s[48:49], v88, v94
	v_cmp_lt_i32_e64 s[50:51], v91, v90
	v_cmp_lt_i32_e64 s[52:53], v93, v96
	v_cndmask_b32_e64 v95, v92, v89, s[46:47]
	v_cndmask_b32_e64 v89, v89, v92, s[46:47]
	v_cndmask_b32_e64 v92, v88, v94, s[48:49]
	v_cndmask_b32_e64 v88, v94, v88, s[48:49]
	v_cndmask_b32_e64 v94, v91, v90, s[50:51]
	v_cndmask_b32_e64 v90, v90, v91, s[50:51]
	v_cndmask_b32_e64 v91, v93, v96, s[52:53]
	v_cndmask_b32_e64 v93, v96, v93, s[52:53]
	v_cmp_lt_i32_e64 s[54:55], v88, v89
	v_cmp_lt_i32_e64 s[56:57], v90, v92
	v_cmp_lt_i32_e64 s[58:59], v93, v94
	v_cndmask_b32_e64 v96, v88, v89, s[54:55]
	v_cndmask_b32_e64 v88, v89, v88, s[54:55]
	v_cndmask_b32_e64 v89, v90, v92, s[56:57]
	v_cndmask_b32_e64 v90, v92, v90, s[56:57]
	v_cndmask_b32_e64 v92, v93, v94, s[58:59]
	v_cndmask_b32_e64 v93, v94, v93, s[58:59]
	v_cmp_lt_i32_e64 s[60:61], v88, v95
	v_cmp_lt_i32_e64 s[62:63], v90, v96
	v_cmp_lt_i32_e64 s[64:65], v93, v89
	v_cndmask_b32_e64 v94, v95, v88, s[60:61]
	v_cndmask_b32_e64 v88, v88, v95, s[60:61]
	;; [unrolled: 1-line block ×6, first 2 shown]
	v_cmp_lt_i32_e64 s[66:67], v91, v92
	v_cmp_lt_i32_e64 s[68:69], v90, v88
	;; [unrolled: 1-line block ×3, first 2 shown]
	v_cndmask_b32_e64 v93, v91, v92, s[66:67]
	v_cndmask_b32_e64 v91, v92, v91, s[66:67]
	;; [unrolled: 1-line block ×5, first 2 shown]
	v_cmp_lt_i32_e64 s[72:73], v91, v96
	v_cndmask_b32_e64 v89, v95, v89, s[70:71]
	s_nop 0
	v_cndmask_b32_e64 v95, v91, v96, s[72:73]
	v_cndmask_b32_e64 v91, v96, v91, s[72:73]
	s_barrier
	ds_write2_b32 v2, v94, v88 offset1:1
	ds_write2_b32 v2, v92, v89 offset0:2 offset1:3
	ds_write2_b32 v2, v90, v91 offset0:4 offset1:5
	;; [unrolled: 1-line block ×3, first 2 shown]
	v_mov_b32_e32 v90, v27
	s_waitcnt lgkmcnt(0)
	s_barrier
	s_and_saveexec_b64 s[76:77], vcc
	s_cbranch_execz .LBB39_6
; %bb.3:                                ;   in Loop: Header=BB39_2 Depth=1
	s_mov_b64 s[78:79], 0
	v_mov_b32_e32 v90, v27
	v_mov_b32_e32 v88, v24
.LBB39_4:                               ;   Parent Loop BB39_2 Depth=1
                                        ; =>  This Inner Loop Header: Depth=2
	v_sub_u32_e32 v89, v88, v90
	v_lshrrev_b32_e32 v91, 31, v89
	v_add_u32_e32 v89, v89, v91
	v_ashrrev_i32_e32 v89, 1, v89
	v_add_u32_e32 v89, v89, v90
	v_xad_u32 v92, v89, -1, v4
	v_lshl_add_u32 v91, v89, 2, v13
	v_lshl_add_u32 v92, v92, 2, v21
	ds_read_b32 v91, v91
	ds_read_b32 v92, v92
	v_add_u32_e32 v93, 1, v89
	s_waitcnt lgkmcnt(0)
	v_cmp_lt_i32_e64 s[74:75], v92, v91
	s_nop 1
	v_cndmask_b32_e64 v88, v88, v89, s[74:75]
	v_cndmask_b32_e64 v90, v93, v90, s[74:75]
	v_cmp_ge_i32_e64 s[74:75], v90, v88
	s_or_b64 s[78:79], s[74:75], s[78:79]
	s_andn2_b64 exec, exec, s[78:79]
	s_cbranch_execnz .LBB39_4
; %bb.5:                                ;   in Loop: Header=BB39_2 Depth=1
	s_or_b64 exec, exec, s[78:79]
.LBB39_6:                               ;   in Loop: Header=BB39_2 Depth=1
	s_or_b64 exec, exec, s[76:77]
	v_sub_u32_e32 v88, v22, v90
	v_lshl_add_u32 v95, v90, 2, v13
	v_lshlrev_b32_e32 v94, 2, v88
	ds_read_b32 v89, v95
	ds_read_b32 v91, v94
	v_add_u32_e32 v90, v90, v3
	v_cmp_le_i32_e64 s[76:77], v11, v90
	v_cmp_gt_i32_e64 s[74:75], v12, v88
                                        ; implicit-def: $vgpr92
                                        ; implicit-def: $vgpr93
	s_waitcnt lgkmcnt(0)
	v_cmp_lt_i32_e64 s[78:79], v91, v89
	s_or_b64 s[76:77], s[76:77], s[78:79]
	s_and_b64 s[74:75], s[74:75], s[76:77]
	s_xor_b64 s[76:77], s[74:75], -1
	s_and_saveexec_b64 s[78:79], s[76:77]
	s_xor_b64 s[76:77], exec, s[78:79]
	s_cbranch_execz .LBB39_8
; %bb.7:                                ;   in Loop: Header=BB39_2 Depth=1
	ds_read_b32 v93, v95 offset:4
	v_mov_b32_e32 v92, v91
                                        ; implicit-def: $vgpr94
.LBB39_8:                               ;   in Loop: Header=BB39_2 Depth=1
	s_andn2_saveexec_b64 s[76:77], s[76:77]
	s_cbranch_execz .LBB39_10
; %bb.9:                                ;   in Loop: Header=BB39_2 Depth=1
	ds_read_b32 v92, v94 offset:4
	s_waitcnt lgkmcnt(1)
	v_mov_b32_e32 v93, v89
.LBB39_10:                              ;   in Loop: Header=BB39_2 Depth=1
	s_or_b64 exec, exec, s[76:77]
	v_add_u32_e32 v95, 1, v90
	v_add_u32_e32 v94, 1, v88
	v_cndmask_b32_e64 v95, v95, v90, s[74:75]
	v_cndmask_b32_e64 v94, v88, v94, s[74:75]
	v_cmp_ge_i32_e64 s[78:79], v95, v11
	s_waitcnt lgkmcnt(0)
	v_cmp_lt_i32_e64 s[80:81], v92, v93
	v_cmp_lt_i32_e64 s[76:77], v94, v12
	s_or_b64 s[78:79], s[78:79], s[80:81]
	s_and_b64 s[76:77], s[76:77], s[78:79]
	s_xor_b64 s[78:79], s[76:77], -1
                                        ; implicit-def: $vgpr96
	s_and_saveexec_b64 s[80:81], s[78:79]
	s_xor_b64 s[78:79], exec, s[80:81]
	s_cbranch_execz .LBB39_12
; %bb.11:                               ;   in Loop: Header=BB39_2 Depth=1
	v_lshlrev_b32_e32 v96, 2, v95
	ds_read_b32 v96, v96 offset:4
.LBB39_12:                              ;   in Loop: Header=BB39_2 Depth=1
	s_or_saveexec_b64 s[78:79], s[78:79]
	v_mov_b32_e32 v97, v92
	s_xor_b64 exec, exec, s[78:79]
	s_cbranch_execz .LBB39_14
; %bb.13:                               ;   in Loop: Header=BB39_2 Depth=1
	s_waitcnt lgkmcnt(0)
	v_lshlrev_b32_e32 v96, 2, v94
	ds_read_b32 v97, v96 offset:4
	v_mov_b32_e32 v96, v93
.LBB39_14:                              ;   in Loop: Header=BB39_2 Depth=1
	s_or_b64 exec, exec, s[78:79]
	v_add_u32_e32 v99, 1, v95
	v_add_u32_e32 v98, 1, v94
	v_cndmask_b32_e64 v99, v99, v95, s[76:77]
	v_cndmask_b32_e64 v98, v94, v98, s[76:77]
	v_cmp_ge_i32_e64 s[80:81], v99, v11
	s_waitcnt lgkmcnt(0)
	v_cmp_lt_i32_e64 s[82:83], v97, v96
	v_cmp_lt_i32_e64 s[78:79], v98, v12
	s_or_b64 s[80:81], s[80:81], s[82:83]
	s_and_b64 s[78:79], s[78:79], s[80:81]
	s_xor_b64 s[80:81], s[78:79], -1
                                        ; implicit-def: $vgpr100
	s_and_saveexec_b64 s[82:83], s[80:81]
	s_xor_b64 s[80:81], exec, s[82:83]
	s_cbranch_execz .LBB39_16
; %bb.15:                               ;   in Loop: Header=BB39_2 Depth=1
	v_lshlrev_b32_e32 v100, 2, v99
	ds_read_b32 v100, v100 offset:4
.LBB39_16:                              ;   in Loop: Header=BB39_2 Depth=1
	s_or_saveexec_b64 s[80:81], s[80:81]
	v_mov_b32_e32 v101, v97
	s_xor_b64 exec, exec, s[80:81]
	s_cbranch_execz .LBB39_18
; %bb.17:                               ;   in Loop: Header=BB39_2 Depth=1
	s_waitcnt lgkmcnt(0)
	v_lshlrev_b32_e32 v100, 2, v98
	ds_read_b32 v101, v100 offset:4
	v_mov_b32_e32 v100, v96
.LBB39_18:                              ;   in Loop: Header=BB39_2 Depth=1
	s_or_b64 exec, exec, s[80:81]
	v_add_u32_e32 v103, 1, v99
	v_add_u32_e32 v102, 1, v98
	v_cndmask_b32_e64 v103, v103, v99, s[78:79]
	v_cndmask_b32_e64 v102, v98, v102, s[78:79]
	v_cmp_ge_i32_e64 s[82:83], v103, v11
	s_waitcnt lgkmcnt(0)
	v_cmp_lt_i32_e64 s[84:85], v101, v100
	v_cmp_lt_i32_e64 s[80:81], v102, v12
	s_or_b64 s[82:83], s[82:83], s[84:85]
	s_and_b64 s[80:81], s[80:81], s[82:83]
	s_xor_b64 s[82:83], s[80:81], -1
                                        ; implicit-def: $vgpr104
	s_and_saveexec_b64 s[84:85], s[82:83]
	s_xor_b64 s[82:83], exec, s[84:85]
	s_cbranch_execz .LBB39_20
; %bb.19:                               ;   in Loop: Header=BB39_2 Depth=1
	v_lshlrev_b32_e32 v104, 2, v103
	ds_read_b32 v104, v104 offset:4
.LBB39_20:                              ;   in Loop: Header=BB39_2 Depth=1
	s_or_saveexec_b64 s[82:83], s[82:83]
	v_mov_b32_e32 v105, v101
	s_xor_b64 exec, exec, s[82:83]
	s_cbranch_execz .LBB39_22
; %bb.21:                               ;   in Loop: Header=BB39_2 Depth=1
	s_waitcnt lgkmcnt(0)
	v_lshlrev_b32_e32 v104, 2, v102
	ds_read_b32 v105, v104 offset:4
	v_mov_b32_e32 v104, v100
.LBB39_22:                              ;   in Loop: Header=BB39_2 Depth=1
	s_or_b64 exec, exec, s[82:83]
	v_add_u32_e32 v107, 1, v103
	v_add_u32_e32 v106, 1, v102
	v_cndmask_b32_e64 v107, v107, v103, s[80:81]
	v_cndmask_b32_e64 v106, v102, v106, s[80:81]
	v_cmp_ge_i32_e64 s[84:85], v107, v11
	s_waitcnt lgkmcnt(0)
	v_cmp_lt_i32_e64 s[86:87], v105, v104
	v_cmp_lt_i32_e64 s[82:83], v106, v12
	s_or_b64 s[84:85], s[84:85], s[86:87]
	s_and_b64 s[82:83], s[82:83], s[84:85]
	s_xor_b64 s[84:85], s[82:83], -1
                                        ; implicit-def: $vgpr108
	s_and_saveexec_b64 s[86:87], s[84:85]
	s_xor_b64 s[84:85], exec, s[86:87]
	s_cbranch_execz .LBB39_24
; %bb.23:                               ;   in Loop: Header=BB39_2 Depth=1
	v_lshlrev_b32_e32 v108, 2, v107
	ds_read_b32 v108, v108 offset:4
.LBB39_24:                              ;   in Loop: Header=BB39_2 Depth=1
	s_or_saveexec_b64 s[84:85], s[84:85]
	v_mov_b32_e32 v110, v105
	s_xor_b64 exec, exec, s[84:85]
	s_cbranch_execz .LBB39_26
; %bb.25:                               ;   in Loop: Header=BB39_2 Depth=1
	s_waitcnt lgkmcnt(0)
	v_lshlrev_b32_e32 v108, 2, v106
	ds_read_b32 v110, v108 offset:4
	v_mov_b32_e32 v108, v104
.LBB39_26:                              ;   in Loop: Header=BB39_2 Depth=1
	s_or_b64 exec, exec, s[84:85]
	v_add_u32_e32 v112, 1, v107
	v_add_u32_e32 v109, 1, v106
	v_cndmask_b32_e64 v112, v112, v107, s[82:83]
	v_cndmask_b32_e64 v111, v106, v109, s[82:83]
	v_cmp_ge_i32_e64 s[86:87], v112, v11
	s_waitcnt lgkmcnt(0)
	v_cmp_lt_i32_e64 s[88:89], v110, v108
	v_cmp_lt_i32_e64 s[84:85], v111, v12
	s_or_b64 s[86:87], s[86:87], s[88:89]
	s_and_b64 s[84:85], s[84:85], s[86:87]
	s_xor_b64 s[86:87], s[84:85], -1
                                        ; implicit-def: $vgpr114
	s_and_saveexec_b64 s[88:89], s[86:87]
	s_xor_b64 s[86:87], exec, s[88:89]
	s_cbranch_execz .LBB39_28
; %bb.27:                               ;   in Loop: Header=BB39_2 Depth=1
	v_lshlrev_b32_e32 v109, 2, v112
	ds_read_b32 v114, v109 offset:4
.LBB39_28:                              ;   in Loop: Header=BB39_2 Depth=1
	s_or_saveexec_b64 s[86:87], s[86:87]
	v_mov_b32_e32 v115, v110
	s_xor_b64 exec, exec, s[86:87]
	s_cbranch_execz .LBB39_30
; %bb.29:                               ;   in Loop: Header=BB39_2 Depth=1
	v_lshlrev_b32_e32 v109, 2, v111
	ds_read_b32 v115, v109 offset:4
	s_waitcnt lgkmcnt(1)
	v_mov_b32_e32 v114, v108
.LBB39_30:                              ;   in Loop: Header=BB39_2 Depth=1
	s_or_b64 exec, exec, s[86:87]
	v_add_u32_e32 v113, 1, v112
	v_add_u32_e32 v109, 1, v111
	v_cndmask_b32_e64 v117, v113, v112, s[84:85]
	v_cndmask_b32_e64 v116, v111, v109, s[84:85]
	v_cmp_ge_i32_e64 s[88:89], v117, v11
	s_waitcnt lgkmcnt(0)
	v_cmp_lt_i32_e64 s[90:91], v115, v114
	v_cmp_lt_i32_e64 s[86:87], v116, v12
	s_or_b64 s[88:89], s[88:89], s[90:91]
	s_and_b64 s[86:87], s[86:87], s[88:89]
	s_xor_b64 s[88:89], s[86:87], -1
                                        ; implicit-def: $vgpr109
	s_and_saveexec_b64 s[90:91], s[88:89]
	s_xor_b64 s[88:89], exec, s[90:91]
	s_cbranch_execz .LBB39_32
; %bb.31:                               ;   in Loop: Header=BB39_2 Depth=1
	v_lshlrev_b32_e32 v109, 2, v117
	ds_read_b32 v109, v109 offset:4
.LBB39_32:                              ;   in Loop: Header=BB39_2 Depth=1
	s_or_saveexec_b64 s[88:89], s[88:89]
	v_mov_b32_e32 v113, v115
	s_xor_b64 exec, exec, s[88:89]
	s_cbranch_execz .LBB39_34
; %bb.33:                               ;   in Loop: Header=BB39_2 Depth=1
	s_waitcnt lgkmcnt(0)
	v_lshlrev_b32_e32 v109, 2, v116
	ds_read_b32 v113, v109 offset:4
	v_mov_b32_e32 v109, v114
.LBB39_34:                              ;   in Loop: Header=BB39_2 Depth=1
	s_or_b64 exec, exec, s[88:89]
	v_cndmask_b32_e64 v88, v90, v88, s[74:75]
	v_cndmask_b32_e64 v90, v80, v84, s[16:17]
	;; [unrolled: 1-line block ×15, first 2 shown]
	v_add_u32_e32 v118, 1, v117
	v_cndmask_b32_e64 v85, v90, v80, s[30:31]
	v_cndmask_b32_e64 v80, v80, v90, s[30:31]
	v_cndmask_b32_e64 v90, v82, v87, s[34:35]
	v_cndmask_b32_e64 v82, v87, v82, s[34:35]
	v_cndmask_b32_e64 v87, v83, v81, s[36:37]
	v_cndmask_b32_e64 v81, v81, v83, s[36:37]
	v_cndmask_b32_e64 v83, v86, v84, s[38:39]
	v_cndmask_b32_e64 v84, v84, v86, s[38:39]
	v_cndmask_b32_e64 v114, v114, v115, s[86:87]
	v_add_u32_e32 v115, 1, v116
	v_cndmask_b32_e64 v118, v118, v117, s[86:87]
	v_cndmask_b32_e64 v86, v82, v80, s[40:41]
	;; [unrolled: 1-line block ×16, first 2 shown]
	v_cmp_ge_i32_e64 s[18:19], v118, v11
	s_waitcnt lgkmcnt(0)
	v_cmp_lt_i32_e64 s[20:21], v113, v109
	v_cndmask_b32_e64 v90, v81, v80, s[54:55]
	v_cndmask_b32_e64 v80, v80, v81, s[54:55]
	;; [unrolled: 1-line block ×6, first 2 shown]
	v_cmp_lt_i32_e64 s[16:17], v115, v12
	s_or_b64 s[18:19], s[18:19], s[20:21]
	v_cndmask_b32_e64 v86, v87, v80, s[60:61]
	v_cndmask_b32_e64 v80, v80, v87, s[60:61]
	v_cndmask_b32_e64 v87, v82, v90, s[62:63]
	v_cndmask_b32_e64 v82, v90, v82, s[62:63]
	v_cndmask_b32_e64 v90, v83, v81, s[64:65]
	v_cndmask_b32_e64 v81, v81, v83, s[64:65]
	v_cndmask_b32_e64 v83, v84, v85, s[66:67]
	v_cndmask_b32_e64 v84, v85, v84, s[66:67]
	s_and_b64 s[16:17], s[16:17], s[18:19]
	v_cndmask_b32_e64 v116, v117, v116, s[86:87]
	v_cndmask_b32_e64 v108, v108, v110, s[84:85]
	v_cndmask_b32_e64 v110, v112, v111, s[84:85]
	v_cndmask_b32_e64 v104, v104, v105, s[82:83]
	v_cndmask_b32_e64 v105, v107, v106, s[82:83]
	v_cndmask_b32_e64 v100, v100, v101, s[80:81]
	v_cndmask_b32_e64 v101, v103, v102, s[80:81]
	v_cndmask_b32_e64 v96, v96, v97, s[78:79]
	v_cndmask_b32_e64 v97, v99, v98, s[78:79]
	v_cndmask_b32_e64 v92, v93, v92, s[76:77]
	v_cndmask_b32_e64 v93, v95, v94, s[76:77]
	v_cndmask_b32_e64 v89, v89, v91, s[74:75]
	v_cndmask_b32_e64 v85, v82, v80, s[68:69]
	v_cndmask_b32_e64 v80, v80, v82, s[68:69]
	v_cndmask_b32_e64 v82, v81, v87, s[70:71]
	v_cndmask_b32_e64 v81, v87, v81, s[70:71]
	v_cndmask_b32_e64 v87, v84, v90, s[72:73]
	v_cndmask_b32_e64 v84, v90, v84, s[72:73]
	v_cndmask_b32_e64 v91, v118, v115, s[16:17]
	s_barrier
	ds_write2_b32 v2, v86, v80 offset1:1
	ds_write2_b32 v2, v85, v81 offset0:2 offset1:3
	ds_write2_b32 v2, v82, v84 offset0:4 offset1:5
	;; [unrolled: 1-line block ×3, first 2 shown]
	v_lshlrev_b32_e32 v80, 2, v88
	v_lshlrev_b32_e32 v81, 2, v93
	;; [unrolled: 1-line block ×8, first 2 shown]
	s_waitcnt lgkmcnt(0)
	s_barrier
	ds_read_b32 v80, v80
	ds_read_b32 v81, v81
	ds_read_b32 v82, v82
	ds_read_b32 v83, v83
	ds_read_b32 v84, v84
	ds_read_b32 v85, v85
	ds_read_b32 v86, v86
	ds_read_b32 v87, v87
	v_cndmask_b32_e64 v90, v109, v113, s[16:17]
	s_waitcnt lgkmcnt(0)
	s_barrier
	ds_write2_b32 v2, v89, v92 offset1:1
	ds_write2_b32 v2, v96, v100 offset0:2 offset1:3
	ds_write2_b32 v2, v104, v108 offset0:4 offset1:5
	ds_write2_b32 v2, v114, v90 offset0:6 offset1:7
	v_mov_b32_e32 v90, v28
	s_waitcnt lgkmcnt(0)
	s_barrier
	s_and_saveexec_b64 s[18:19], s[0:1]
	s_cbranch_execz .LBB39_38
; %bb.35:                               ;   in Loop: Header=BB39_2 Depth=1
	s_mov_b64 s[20:21], 0
	v_mov_b32_e32 v90, v28
	v_mov_b32_e32 v88, v25
.LBB39_36:                              ;   Parent Loop BB39_2 Depth=1
                                        ; =>  This Inner Loop Header: Depth=2
	v_sub_u32_e32 v89, v88, v90
	v_lshrrev_b32_e32 v91, 31, v89
	v_add_u32_e32 v89, v89, v91
	v_ashrrev_i32_e32 v89, 1, v89
	v_add_u32_e32 v89, v89, v90
	v_xad_u32 v92, v89, -1, v6
	v_lshl_add_u32 v91, v89, 2, v16
	v_lshl_add_u32 v92, v92, 2, v23
	ds_read_b32 v91, v91
	ds_read_b32 v92, v92
	v_add_u32_e32 v93, 1, v89
	s_waitcnt lgkmcnt(0)
	v_cmp_lt_i32_e64 s[16:17], v92, v91
	s_nop 1
	v_cndmask_b32_e64 v88, v88, v89, s[16:17]
	v_cndmask_b32_e64 v90, v93, v90, s[16:17]
	v_cmp_ge_i32_e64 s[16:17], v90, v88
	s_or_b64 s[20:21], s[16:17], s[20:21]
	s_andn2_b64 exec, exec, s[20:21]
	s_cbranch_execnz .LBB39_36
; %bb.37:                               ;   in Loop: Header=BB39_2 Depth=1
	s_or_b64 exec, exec, s[20:21]
.LBB39_38:                              ;   in Loop: Header=BB39_2 Depth=1
	s_or_b64 exec, exec, s[18:19]
	v_sub_u32_e32 v88, v59, v90
	v_lshl_add_u32 v95, v90, 2, v16
	v_lshlrev_b32_e32 v94, 2, v88
	ds_read_b32 v89, v95
	ds_read_b32 v91, v94
	v_add_u32_e32 v90, v90, v5
	v_cmp_le_i32_e64 s[18:19], v14, v90
	v_cmp_gt_i32_e64 s[16:17], v15, v88
                                        ; implicit-def: $vgpr92
                                        ; implicit-def: $vgpr93
	s_waitcnt lgkmcnt(0)
	v_cmp_lt_i32_e64 s[20:21], v91, v89
	s_or_b64 s[18:19], s[18:19], s[20:21]
	s_and_b64 s[16:17], s[16:17], s[18:19]
	s_xor_b64 s[18:19], s[16:17], -1
	s_and_saveexec_b64 s[20:21], s[18:19]
	s_xor_b64 s[18:19], exec, s[20:21]
	s_cbranch_execz .LBB39_40
; %bb.39:                               ;   in Loop: Header=BB39_2 Depth=1
	ds_read_b32 v93, v95 offset:4
	v_mov_b32_e32 v92, v91
                                        ; implicit-def: $vgpr94
.LBB39_40:                              ;   in Loop: Header=BB39_2 Depth=1
	s_andn2_saveexec_b64 s[18:19], s[18:19]
	s_cbranch_execz .LBB39_42
; %bb.41:                               ;   in Loop: Header=BB39_2 Depth=1
	ds_read_b32 v92, v94 offset:4
	s_waitcnt lgkmcnt(1)
	v_mov_b32_e32 v93, v89
.LBB39_42:                              ;   in Loop: Header=BB39_2 Depth=1
	s_or_b64 exec, exec, s[18:19]
	v_add_u32_e32 v95, 1, v90
	v_add_u32_e32 v94, 1, v88
	v_cndmask_b32_e64 v95, v95, v90, s[16:17]
	v_cndmask_b32_e64 v94, v88, v94, s[16:17]
	v_cmp_ge_i32_e64 s[20:21], v95, v14
	s_waitcnt lgkmcnt(0)
	v_cmp_lt_i32_e64 s[22:23], v92, v93
	v_cmp_lt_i32_e64 s[18:19], v94, v15
	s_or_b64 s[20:21], s[20:21], s[22:23]
	s_and_b64 s[18:19], s[18:19], s[20:21]
	s_xor_b64 s[20:21], s[18:19], -1
                                        ; implicit-def: $vgpr96
	s_and_saveexec_b64 s[22:23], s[20:21]
	s_xor_b64 s[20:21], exec, s[22:23]
	s_cbranch_execz .LBB39_44
; %bb.43:                               ;   in Loop: Header=BB39_2 Depth=1
	v_lshlrev_b32_e32 v96, 2, v95
	ds_read_b32 v96, v96 offset:4
.LBB39_44:                              ;   in Loop: Header=BB39_2 Depth=1
	s_or_saveexec_b64 s[20:21], s[20:21]
	v_mov_b32_e32 v97, v92
	s_xor_b64 exec, exec, s[20:21]
	s_cbranch_execz .LBB39_46
; %bb.45:                               ;   in Loop: Header=BB39_2 Depth=1
	s_waitcnt lgkmcnt(0)
	v_lshlrev_b32_e32 v96, 2, v94
	ds_read_b32 v97, v96 offset:4
	v_mov_b32_e32 v96, v93
.LBB39_46:                              ;   in Loop: Header=BB39_2 Depth=1
	s_or_b64 exec, exec, s[20:21]
	v_add_u32_e32 v99, 1, v95
	v_add_u32_e32 v98, 1, v94
	v_cndmask_b32_e64 v99, v99, v95, s[18:19]
	v_cndmask_b32_e64 v98, v94, v98, s[18:19]
	v_cmp_ge_i32_e64 s[22:23], v99, v14
	s_waitcnt lgkmcnt(0)
	v_cmp_lt_i32_e64 s[24:25], v97, v96
	v_cmp_lt_i32_e64 s[20:21], v98, v15
	s_or_b64 s[22:23], s[22:23], s[24:25]
	s_and_b64 s[20:21], s[20:21], s[22:23]
	s_xor_b64 s[22:23], s[20:21], -1
                                        ; implicit-def: $vgpr100
	s_and_saveexec_b64 s[24:25], s[22:23]
	s_xor_b64 s[22:23], exec, s[24:25]
	s_cbranch_execz .LBB39_48
; %bb.47:                               ;   in Loop: Header=BB39_2 Depth=1
	v_lshlrev_b32_e32 v100, 2, v99
	ds_read_b32 v100, v100 offset:4
.LBB39_48:                              ;   in Loop: Header=BB39_2 Depth=1
	s_or_saveexec_b64 s[22:23], s[22:23]
	v_mov_b32_e32 v101, v97
	s_xor_b64 exec, exec, s[22:23]
	s_cbranch_execz .LBB39_50
; %bb.49:                               ;   in Loop: Header=BB39_2 Depth=1
	s_waitcnt lgkmcnt(0)
	v_lshlrev_b32_e32 v100, 2, v98
	ds_read_b32 v101, v100 offset:4
	v_mov_b32_e32 v100, v96
.LBB39_50:                              ;   in Loop: Header=BB39_2 Depth=1
	s_or_b64 exec, exec, s[22:23]
	v_add_u32_e32 v103, 1, v99
	v_add_u32_e32 v102, 1, v98
	v_cndmask_b32_e64 v103, v103, v99, s[20:21]
	v_cndmask_b32_e64 v102, v98, v102, s[20:21]
	v_cmp_ge_i32_e64 s[24:25], v103, v14
	s_waitcnt lgkmcnt(0)
	v_cmp_lt_i32_e64 s[26:27], v101, v100
	v_cmp_lt_i32_e64 s[22:23], v102, v15
	s_or_b64 s[24:25], s[24:25], s[26:27]
	s_and_b64 s[22:23], s[22:23], s[24:25]
	s_xor_b64 s[24:25], s[22:23], -1
                                        ; implicit-def: $vgpr104
	s_and_saveexec_b64 s[26:27], s[24:25]
	s_xor_b64 s[24:25], exec, s[26:27]
	s_cbranch_execz .LBB39_52
; %bb.51:                               ;   in Loop: Header=BB39_2 Depth=1
	v_lshlrev_b32_e32 v104, 2, v103
	ds_read_b32 v104, v104 offset:4
.LBB39_52:                              ;   in Loop: Header=BB39_2 Depth=1
	s_or_saveexec_b64 s[24:25], s[24:25]
	v_mov_b32_e32 v105, v101
	s_xor_b64 exec, exec, s[24:25]
	s_cbranch_execz .LBB39_54
; %bb.53:                               ;   in Loop: Header=BB39_2 Depth=1
	s_waitcnt lgkmcnt(0)
	v_lshlrev_b32_e32 v104, 2, v102
	ds_read_b32 v105, v104 offset:4
	v_mov_b32_e32 v104, v100
.LBB39_54:                              ;   in Loop: Header=BB39_2 Depth=1
	s_or_b64 exec, exec, s[24:25]
	v_add_u32_e32 v107, 1, v103
	v_add_u32_e32 v106, 1, v102
	v_cndmask_b32_e64 v107, v107, v103, s[22:23]
	v_cndmask_b32_e64 v106, v102, v106, s[22:23]
	v_cmp_ge_i32_e64 s[26:27], v107, v14
	s_waitcnt lgkmcnt(0)
	v_cmp_lt_i32_e64 s[28:29], v105, v104
	v_cmp_lt_i32_e64 s[24:25], v106, v15
	s_or_b64 s[26:27], s[26:27], s[28:29]
	s_and_b64 s[24:25], s[24:25], s[26:27]
	s_xor_b64 s[26:27], s[24:25], -1
                                        ; implicit-def: $vgpr108
	s_and_saveexec_b64 s[28:29], s[26:27]
	s_xor_b64 s[26:27], exec, s[28:29]
	s_cbranch_execz .LBB39_56
; %bb.55:                               ;   in Loop: Header=BB39_2 Depth=1
	v_lshlrev_b32_e32 v108, 2, v107
	ds_read_b32 v108, v108 offset:4
.LBB39_56:                              ;   in Loop: Header=BB39_2 Depth=1
	s_or_saveexec_b64 s[26:27], s[26:27]
	v_mov_b32_e32 v109, v105
	s_xor_b64 exec, exec, s[26:27]
	s_cbranch_execz .LBB39_58
; %bb.57:                               ;   in Loop: Header=BB39_2 Depth=1
	s_waitcnt lgkmcnt(0)
	v_lshlrev_b32_e32 v108, 2, v106
	ds_read_b32 v109, v108 offset:4
	v_mov_b32_e32 v108, v104
.LBB39_58:                              ;   in Loop: Header=BB39_2 Depth=1
	s_or_b64 exec, exec, s[26:27]
	v_add_u32_e32 v111, 1, v107
	v_add_u32_e32 v110, 1, v106
	v_cndmask_b32_e64 v111, v111, v107, s[24:25]
	v_cndmask_b32_e64 v110, v106, v110, s[24:25]
	v_cmp_ge_i32_e64 s[28:29], v111, v14
	s_waitcnt lgkmcnt(0)
	v_cmp_lt_i32_e64 s[30:31], v109, v108
	v_cmp_lt_i32_e64 s[26:27], v110, v15
	s_or_b64 s[28:29], s[28:29], s[30:31]
	s_and_b64 s[26:27], s[26:27], s[28:29]
	s_xor_b64 s[28:29], s[26:27], -1
                                        ; implicit-def: $vgpr112
	s_and_saveexec_b64 s[30:31], s[28:29]
	s_xor_b64 s[28:29], exec, s[30:31]
	s_cbranch_execz .LBB39_60
; %bb.59:                               ;   in Loop: Header=BB39_2 Depth=1
	v_lshlrev_b32_e32 v112, 2, v111
	ds_read_b32 v112, v112 offset:4
.LBB39_60:                              ;   in Loop: Header=BB39_2 Depth=1
	s_or_saveexec_b64 s[28:29], s[28:29]
	v_mov_b32_e32 v113, v109
	s_xor_b64 exec, exec, s[28:29]
	s_cbranch_execz .LBB39_62
; %bb.61:                               ;   in Loop: Header=BB39_2 Depth=1
	s_waitcnt lgkmcnt(0)
	v_lshlrev_b32_e32 v112, 2, v110
	ds_read_b32 v113, v112 offset:4
	v_mov_b32_e32 v112, v108
.LBB39_62:                              ;   in Loop: Header=BB39_2 Depth=1
	s_or_b64 exec, exec, s[28:29]
	v_add_u32_e32 v116, 1, v111
	v_add_u32_e32 v114, 1, v110
	v_cndmask_b32_e64 v116, v116, v111, s[26:27]
	v_cndmask_b32_e64 v115, v110, v114, s[26:27]
	v_cmp_ge_i32_e64 s[30:31], v116, v14
	s_waitcnt lgkmcnt(0)
	v_cmp_lt_i32_e64 s[34:35], v113, v112
	v_cmp_lt_i32_e64 s[28:29], v115, v15
	s_or_b64 s[30:31], s[30:31], s[34:35]
	s_and_b64 s[28:29], s[28:29], s[30:31]
	s_xor_b64 s[30:31], s[28:29], -1
                                        ; implicit-def: $vgpr114
	s_and_saveexec_b64 s[34:35], s[30:31]
	s_xor_b64 s[30:31], exec, s[34:35]
	s_cbranch_execz .LBB39_64
; %bb.63:                               ;   in Loop: Header=BB39_2 Depth=1
	v_lshlrev_b32_e32 v114, 2, v116
	ds_read_b32 v114, v114 offset:4
.LBB39_64:                              ;   in Loop: Header=BB39_2 Depth=1
	s_or_saveexec_b64 s[30:31], s[30:31]
	v_mov_b32_e32 v117, v113
	s_xor_b64 exec, exec, s[30:31]
	s_cbranch_execz .LBB39_66
; %bb.65:                               ;   in Loop: Header=BB39_2 Depth=1
	s_waitcnt lgkmcnt(0)
	v_lshlrev_b32_e32 v114, 2, v115
	ds_read_b32 v117, v114 offset:4
	v_mov_b32_e32 v114, v112
.LBB39_66:                              ;   in Loop: Header=BB39_2 Depth=1
	s_or_b64 exec, exec, s[30:31]
	v_add_u32_e32 v118, 1, v116
	v_cndmask_b32_e64 v112, v112, v113, s[28:29]
	v_add_u32_e32 v113, 1, v115
	v_cndmask_b32_e64 v118, v118, v116, s[28:29]
	v_cndmask_b32_e64 v113, v115, v113, s[28:29]
	;; [unrolled: 1-line block ×6, first 2 shown]
	v_cmp_ge_i32_e64 s[18:19], v118, v14
	s_waitcnt lgkmcnt(0)
	v_cmp_lt_i32_e64 s[20:21], v117, v114
	v_cndmask_b32_e64 v89, v89, v91, s[16:17]
	v_cndmask_b32_e64 v88, v90, v88, s[16:17]
	v_cmp_lt_i32_e64 s[16:17], v113, v15
	s_or_b64 s[18:19], s[18:19], s[20:21]
	s_and_b64 s[16:17], s[16:17], s[18:19]
	v_cndmask_b32_e64 v115, v116, v115, s[28:29]
	v_cndmask_b32_e64 v108, v108, v109, s[26:27]
	;; [unrolled: 1-line block ×8, first 2 shown]
	s_barrier
	ds_write2_b32 v2, v80, v81 offset1:1
	ds_write2_b32 v2, v82, v83 offset0:2 offset1:3
	ds_write2_b32 v2, v84, v85 offset0:4 offset1:5
	;; [unrolled: 1-line block ×3, first 2 shown]
	v_lshlrev_b32_e32 v80, 2, v88
	v_lshlrev_b32_e32 v81, 2, v93
	;; [unrolled: 1-line block ×8, first 2 shown]
	s_waitcnt lgkmcnt(0)
	s_barrier
	ds_read_b32 v80, v80
	ds_read_b32 v81, v81
	;; [unrolled: 1-line block ×8, first 2 shown]
	v_cndmask_b32_e64 v90, v114, v117, s[16:17]
	s_waitcnt lgkmcnt(0)
	s_barrier
	ds_write2_b32 v2, v89, v92 offset1:1
	ds_write2_b32 v2, v96, v100 offset0:2 offset1:3
	ds_write2_b32 v2, v104, v108 offset0:4 offset1:5
	;; [unrolled: 1-line block ×3, first 2 shown]
	v_mov_b32_e32 v90, v29
	s_waitcnt lgkmcnt(0)
	s_barrier
	s_and_saveexec_b64 s[18:19], s[2:3]
	s_cbranch_execz .LBB39_70
; %bb.67:                               ;   in Loop: Header=BB39_2 Depth=1
	s_mov_b64 s[20:21], 0
	v_mov_b32_e32 v90, v29
	v_mov_b32_e32 v88, v26
.LBB39_68:                              ;   Parent Loop BB39_2 Depth=1
                                        ; =>  This Inner Loop Header: Depth=2
	v_sub_u32_e32 v89, v88, v90
	v_lshrrev_b32_e32 v91, 31, v89
	v_add_u32_e32 v89, v89, v91
	v_ashrrev_i32_e32 v89, 1, v89
	v_add_u32_e32 v89, v89, v90
	v_xad_u32 v92, v89, -1, v8
	v_lshl_add_u32 v91, v89, 2, v60
	v_lshl_add_u32 v92, v92, 2, v61
	ds_read_b32 v91, v91
	ds_read_b32 v92, v92
	v_add_u32_e32 v93, 1, v89
	s_waitcnt lgkmcnt(0)
	v_cmp_lt_i32_e64 s[16:17], v92, v91
	s_nop 1
	v_cndmask_b32_e64 v88, v88, v89, s[16:17]
	v_cndmask_b32_e64 v90, v93, v90, s[16:17]
	v_cmp_ge_i32_e64 s[16:17], v90, v88
	s_or_b64 s[20:21], s[16:17], s[20:21]
	s_andn2_b64 exec, exec, s[20:21]
	s_cbranch_execnz .LBB39_68
; %bb.69:                               ;   in Loop: Header=BB39_2 Depth=1
	s_or_b64 exec, exec, s[20:21]
.LBB39_70:                              ;   in Loop: Header=BB39_2 Depth=1
	s_or_b64 exec, exec, s[18:19]
	v_sub_u32_e32 v88, v62, v90
	v_lshl_add_u32 v95, v90, 2, v60
	v_lshlrev_b32_e32 v94, 2, v88
	ds_read_b32 v89, v95
	ds_read_b32 v91, v94
	v_add_u32_e32 v90, v90, v7
	v_cmp_le_i32_e64 s[18:19], v17, v90
	v_cmp_gt_i32_e64 s[16:17], v18, v88
                                        ; implicit-def: $vgpr92
                                        ; implicit-def: $vgpr93
	s_waitcnt lgkmcnt(0)
	v_cmp_lt_i32_e64 s[20:21], v91, v89
	s_or_b64 s[18:19], s[18:19], s[20:21]
	s_and_b64 s[16:17], s[16:17], s[18:19]
	s_xor_b64 s[18:19], s[16:17], -1
	s_and_saveexec_b64 s[20:21], s[18:19]
	s_xor_b64 s[18:19], exec, s[20:21]
	s_cbranch_execz .LBB39_72
; %bb.71:                               ;   in Loop: Header=BB39_2 Depth=1
	ds_read_b32 v93, v95 offset:4
	v_mov_b32_e32 v92, v91
                                        ; implicit-def: $vgpr94
.LBB39_72:                              ;   in Loop: Header=BB39_2 Depth=1
	s_andn2_saveexec_b64 s[18:19], s[18:19]
	s_cbranch_execz .LBB39_74
; %bb.73:                               ;   in Loop: Header=BB39_2 Depth=1
	ds_read_b32 v92, v94 offset:4
	s_waitcnt lgkmcnt(1)
	v_mov_b32_e32 v93, v89
.LBB39_74:                              ;   in Loop: Header=BB39_2 Depth=1
	s_or_b64 exec, exec, s[18:19]
	v_add_u32_e32 v95, 1, v90
	v_add_u32_e32 v94, 1, v88
	v_cndmask_b32_e64 v95, v95, v90, s[16:17]
	v_cndmask_b32_e64 v94, v88, v94, s[16:17]
	v_cmp_ge_i32_e64 s[20:21], v95, v17
	s_waitcnt lgkmcnt(0)
	v_cmp_lt_i32_e64 s[22:23], v92, v93
	v_cmp_lt_i32_e64 s[18:19], v94, v18
	s_or_b64 s[20:21], s[20:21], s[22:23]
	s_and_b64 s[18:19], s[18:19], s[20:21]
	s_xor_b64 s[20:21], s[18:19], -1
                                        ; implicit-def: $vgpr96
	s_and_saveexec_b64 s[22:23], s[20:21]
	s_xor_b64 s[20:21], exec, s[22:23]
	s_cbranch_execz .LBB39_76
; %bb.75:                               ;   in Loop: Header=BB39_2 Depth=1
	v_lshlrev_b32_e32 v96, 2, v95
	ds_read_b32 v96, v96 offset:4
.LBB39_76:                              ;   in Loop: Header=BB39_2 Depth=1
	s_or_saveexec_b64 s[20:21], s[20:21]
	v_mov_b32_e32 v97, v92
	s_xor_b64 exec, exec, s[20:21]
	s_cbranch_execz .LBB39_78
; %bb.77:                               ;   in Loop: Header=BB39_2 Depth=1
	s_waitcnt lgkmcnt(0)
	v_lshlrev_b32_e32 v96, 2, v94
	ds_read_b32 v97, v96 offset:4
	v_mov_b32_e32 v96, v93
.LBB39_78:                              ;   in Loop: Header=BB39_2 Depth=1
	s_or_b64 exec, exec, s[20:21]
	v_add_u32_e32 v99, 1, v95
	v_add_u32_e32 v98, 1, v94
	v_cndmask_b32_e64 v99, v99, v95, s[18:19]
	v_cndmask_b32_e64 v98, v94, v98, s[18:19]
	v_cmp_ge_i32_e64 s[22:23], v99, v17
	s_waitcnt lgkmcnt(0)
	v_cmp_lt_i32_e64 s[24:25], v97, v96
	v_cmp_lt_i32_e64 s[20:21], v98, v18
	s_or_b64 s[22:23], s[22:23], s[24:25]
	s_and_b64 s[20:21], s[20:21], s[22:23]
	s_xor_b64 s[22:23], s[20:21], -1
                                        ; implicit-def: $vgpr100
	s_and_saveexec_b64 s[24:25], s[22:23]
	s_xor_b64 s[22:23], exec, s[24:25]
	s_cbranch_execz .LBB39_80
; %bb.79:                               ;   in Loop: Header=BB39_2 Depth=1
	v_lshlrev_b32_e32 v100, 2, v99
	ds_read_b32 v100, v100 offset:4
.LBB39_80:                              ;   in Loop: Header=BB39_2 Depth=1
	s_or_saveexec_b64 s[22:23], s[22:23]
	v_mov_b32_e32 v101, v97
	s_xor_b64 exec, exec, s[22:23]
	s_cbranch_execz .LBB39_82
; %bb.81:                               ;   in Loop: Header=BB39_2 Depth=1
	s_waitcnt lgkmcnt(0)
	v_lshlrev_b32_e32 v100, 2, v98
	ds_read_b32 v101, v100 offset:4
	v_mov_b32_e32 v100, v96
.LBB39_82:                              ;   in Loop: Header=BB39_2 Depth=1
	s_or_b64 exec, exec, s[22:23]
	v_add_u32_e32 v103, 1, v99
	v_add_u32_e32 v102, 1, v98
	v_cndmask_b32_e64 v103, v103, v99, s[20:21]
	v_cndmask_b32_e64 v102, v98, v102, s[20:21]
	v_cmp_ge_i32_e64 s[24:25], v103, v17
	s_waitcnt lgkmcnt(0)
	v_cmp_lt_i32_e64 s[26:27], v101, v100
	v_cmp_lt_i32_e64 s[22:23], v102, v18
	s_or_b64 s[24:25], s[24:25], s[26:27]
	s_and_b64 s[22:23], s[22:23], s[24:25]
	s_xor_b64 s[24:25], s[22:23], -1
                                        ; implicit-def: $vgpr104
	s_and_saveexec_b64 s[26:27], s[24:25]
	s_xor_b64 s[24:25], exec, s[26:27]
	s_cbranch_execz .LBB39_84
; %bb.83:                               ;   in Loop: Header=BB39_2 Depth=1
	v_lshlrev_b32_e32 v104, 2, v103
	ds_read_b32 v104, v104 offset:4
.LBB39_84:                              ;   in Loop: Header=BB39_2 Depth=1
	s_or_saveexec_b64 s[24:25], s[24:25]
	v_mov_b32_e32 v105, v101
	s_xor_b64 exec, exec, s[24:25]
	s_cbranch_execz .LBB39_86
; %bb.85:                               ;   in Loop: Header=BB39_2 Depth=1
	s_waitcnt lgkmcnt(0)
	v_lshlrev_b32_e32 v104, 2, v102
	ds_read_b32 v105, v104 offset:4
	v_mov_b32_e32 v104, v100
.LBB39_86:                              ;   in Loop: Header=BB39_2 Depth=1
	s_or_b64 exec, exec, s[24:25]
	v_add_u32_e32 v107, 1, v103
	v_add_u32_e32 v106, 1, v102
	v_cndmask_b32_e64 v107, v107, v103, s[22:23]
	v_cndmask_b32_e64 v106, v102, v106, s[22:23]
	v_cmp_ge_i32_e64 s[26:27], v107, v17
	s_waitcnt lgkmcnt(0)
	v_cmp_lt_i32_e64 s[28:29], v105, v104
	v_cmp_lt_i32_e64 s[24:25], v106, v18
	s_or_b64 s[26:27], s[26:27], s[28:29]
	s_and_b64 s[24:25], s[24:25], s[26:27]
	s_xor_b64 s[26:27], s[24:25], -1
                                        ; implicit-def: $vgpr108
	s_and_saveexec_b64 s[28:29], s[26:27]
	s_xor_b64 s[26:27], exec, s[28:29]
	s_cbranch_execz .LBB39_88
; %bb.87:                               ;   in Loop: Header=BB39_2 Depth=1
	v_lshlrev_b32_e32 v108, 2, v107
	ds_read_b32 v108, v108 offset:4
.LBB39_88:                              ;   in Loop: Header=BB39_2 Depth=1
	s_or_saveexec_b64 s[26:27], s[26:27]
	v_mov_b32_e32 v109, v105
	s_xor_b64 exec, exec, s[26:27]
	s_cbranch_execz .LBB39_90
; %bb.89:                               ;   in Loop: Header=BB39_2 Depth=1
	s_waitcnt lgkmcnt(0)
	v_lshlrev_b32_e32 v108, 2, v106
	ds_read_b32 v109, v108 offset:4
	v_mov_b32_e32 v108, v104
.LBB39_90:                              ;   in Loop: Header=BB39_2 Depth=1
	s_or_b64 exec, exec, s[26:27]
	v_add_u32_e32 v111, 1, v107
	v_add_u32_e32 v110, 1, v106
	v_cndmask_b32_e64 v111, v111, v107, s[24:25]
	v_cndmask_b32_e64 v110, v106, v110, s[24:25]
	v_cmp_ge_i32_e64 s[28:29], v111, v17
	s_waitcnt lgkmcnt(0)
	v_cmp_lt_i32_e64 s[30:31], v109, v108
	v_cmp_lt_i32_e64 s[26:27], v110, v18
	s_or_b64 s[28:29], s[28:29], s[30:31]
	s_and_b64 s[26:27], s[26:27], s[28:29]
	s_xor_b64 s[28:29], s[26:27], -1
                                        ; implicit-def: $vgpr112
	s_and_saveexec_b64 s[30:31], s[28:29]
	s_xor_b64 s[28:29], exec, s[30:31]
	s_cbranch_execz .LBB39_92
; %bb.91:                               ;   in Loop: Header=BB39_2 Depth=1
	v_lshlrev_b32_e32 v112, 2, v111
	ds_read_b32 v112, v112 offset:4
.LBB39_92:                              ;   in Loop: Header=BB39_2 Depth=1
	s_or_saveexec_b64 s[28:29], s[28:29]
	v_mov_b32_e32 v113, v109
	s_xor_b64 exec, exec, s[28:29]
	s_cbranch_execz .LBB39_94
; %bb.93:                               ;   in Loop: Header=BB39_2 Depth=1
	s_waitcnt lgkmcnt(0)
	v_lshlrev_b32_e32 v112, 2, v110
	ds_read_b32 v113, v112 offset:4
	v_mov_b32_e32 v112, v108
.LBB39_94:                              ;   in Loop: Header=BB39_2 Depth=1
	s_or_b64 exec, exec, s[28:29]
	v_add_u32_e32 v116, 1, v111
	v_add_u32_e32 v114, 1, v110
	v_cndmask_b32_e64 v116, v116, v111, s[26:27]
	v_cndmask_b32_e64 v115, v110, v114, s[26:27]
	v_cmp_ge_i32_e64 s[30:31], v116, v17
	s_waitcnt lgkmcnt(0)
	v_cmp_lt_i32_e64 s[34:35], v113, v112
	v_cmp_lt_i32_e64 s[28:29], v115, v18
	s_or_b64 s[30:31], s[30:31], s[34:35]
	s_and_b64 s[28:29], s[28:29], s[30:31]
	s_xor_b64 s[30:31], s[28:29], -1
                                        ; implicit-def: $vgpr114
	s_and_saveexec_b64 s[34:35], s[30:31]
	s_xor_b64 s[30:31], exec, s[34:35]
	s_cbranch_execz .LBB39_96
; %bb.95:                               ;   in Loop: Header=BB39_2 Depth=1
	v_lshlrev_b32_e32 v114, 2, v116
	ds_read_b32 v114, v114 offset:4
.LBB39_96:                              ;   in Loop: Header=BB39_2 Depth=1
	s_or_saveexec_b64 s[30:31], s[30:31]
	v_mov_b32_e32 v117, v113
	s_xor_b64 exec, exec, s[30:31]
	s_cbranch_execz .LBB39_98
; %bb.97:                               ;   in Loop: Header=BB39_2 Depth=1
	s_waitcnt lgkmcnt(0)
	v_lshlrev_b32_e32 v114, 2, v115
	ds_read_b32 v117, v114 offset:4
	v_mov_b32_e32 v114, v112
.LBB39_98:                              ;   in Loop: Header=BB39_2 Depth=1
	s_or_b64 exec, exec, s[30:31]
	v_add_u32_e32 v118, 1, v116
	v_cndmask_b32_e64 v112, v112, v113, s[28:29]
	v_add_u32_e32 v113, 1, v115
	v_cndmask_b32_e64 v118, v118, v116, s[28:29]
	v_cndmask_b32_e64 v113, v115, v113, s[28:29]
	;; [unrolled: 1-line block ×6, first 2 shown]
	v_cmp_ge_i32_e64 s[18:19], v118, v17
	s_waitcnt lgkmcnt(0)
	v_cmp_lt_i32_e64 s[20:21], v117, v114
	v_cndmask_b32_e64 v89, v89, v91, s[16:17]
	v_cndmask_b32_e64 v88, v90, v88, s[16:17]
	v_cmp_lt_i32_e64 s[16:17], v113, v18
	s_or_b64 s[18:19], s[18:19], s[20:21]
	s_and_b64 s[16:17], s[16:17], s[18:19]
	v_cndmask_b32_e64 v115, v116, v115, s[28:29]
	v_cndmask_b32_e64 v108, v108, v109, s[26:27]
	v_cndmask_b32_e64 v109, v111, v110, s[26:27]
	v_cndmask_b32_e64 v104, v104, v105, s[24:25]
	v_cndmask_b32_e64 v105, v107, v106, s[24:25]
	v_cndmask_b32_e64 v100, v100, v101, s[22:23]
	v_cndmask_b32_e64 v101, v103, v102, s[22:23]
	v_cndmask_b32_e64 v91, v118, v113, s[16:17]
	s_barrier
	ds_write2_b32 v2, v80, v81 offset1:1
	ds_write2_b32 v2, v82, v83 offset0:2 offset1:3
	ds_write2_b32 v2, v84, v85 offset0:4 offset1:5
	;; [unrolled: 1-line block ×3, first 2 shown]
	v_lshlrev_b32_e32 v80, 2, v88
	v_lshlrev_b32_e32 v81, 2, v93
	;; [unrolled: 1-line block ×8, first 2 shown]
	s_waitcnt lgkmcnt(0)
	s_barrier
	ds_read_b32 v80, v80
	ds_read_b32 v81, v81
	;; [unrolled: 1-line block ×8, first 2 shown]
	v_cndmask_b32_e64 v90, v114, v117, s[16:17]
	s_waitcnt lgkmcnt(0)
	s_barrier
	ds_write2_b32 v2, v89, v92 offset1:1
	ds_write2_b32 v2, v96, v100 offset0:2 offset1:3
	ds_write2_b32 v2, v104, v108 offset0:4 offset1:5
	ds_write2_b32 v2, v112, v90 offset0:6 offset1:7
	v_mov_b32_e32 v90, v30
	s_waitcnt lgkmcnt(0)
	s_barrier
	s_and_saveexec_b64 s[18:19], s[4:5]
	s_cbranch_execz .LBB39_102
; %bb.99:                               ;   in Loop: Header=BB39_2 Depth=1
	s_mov_b64 s[20:21], 0
	v_mov_b32_e32 v90, v30
	v_mov_b32_e32 v88, v31
.LBB39_100:                             ;   Parent Loop BB39_2 Depth=1
                                        ; =>  This Inner Loop Header: Depth=2
	v_sub_u32_e32 v89, v88, v90
	v_lshrrev_b32_e32 v91, 31, v89
	v_add_u32_e32 v89, v89, v91
	v_ashrrev_i32_e32 v89, 1, v89
	v_add_u32_e32 v89, v89, v90
	v_xad_u32 v92, v89, -1, v10
	v_lshl_add_u32 v91, v89, 2, v63
	v_lshl_add_u32 v92, v92, 2, v64
	ds_read_b32 v91, v91
	ds_read_b32 v92, v92
	v_add_u32_e32 v93, 1, v89
	s_waitcnt lgkmcnt(0)
	v_cmp_lt_i32_e64 s[16:17], v92, v91
	s_nop 1
	v_cndmask_b32_e64 v88, v88, v89, s[16:17]
	v_cndmask_b32_e64 v90, v93, v90, s[16:17]
	v_cmp_ge_i32_e64 s[16:17], v90, v88
	s_or_b64 s[20:21], s[16:17], s[20:21]
	s_andn2_b64 exec, exec, s[20:21]
	s_cbranch_execnz .LBB39_100
; %bb.101:                              ;   in Loop: Header=BB39_2 Depth=1
	s_or_b64 exec, exec, s[20:21]
.LBB39_102:                             ;   in Loop: Header=BB39_2 Depth=1
	s_or_b64 exec, exec, s[18:19]
	v_sub_u32_e32 v88, v65, v90
	v_lshl_add_u32 v95, v90, 2, v63
	v_lshlrev_b32_e32 v94, 2, v88
	ds_read_b32 v89, v95
	ds_read_b32 v91, v94
	v_add_u32_e32 v90, v90, v9
	v_cmp_le_i32_e64 s[18:19], v19, v90
	v_cmp_gt_i32_e64 s[16:17], v20, v88
                                        ; implicit-def: $vgpr92
                                        ; implicit-def: $vgpr93
	s_waitcnt lgkmcnt(0)
	v_cmp_lt_i32_e64 s[20:21], v91, v89
	s_or_b64 s[18:19], s[18:19], s[20:21]
	s_and_b64 s[16:17], s[16:17], s[18:19]
	s_xor_b64 s[18:19], s[16:17], -1
	s_and_saveexec_b64 s[20:21], s[18:19]
	s_xor_b64 s[18:19], exec, s[20:21]
	s_cbranch_execz .LBB39_104
; %bb.103:                              ;   in Loop: Header=BB39_2 Depth=1
	ds_read_b32 v93, v95 offset:4
	v_mov_b32_e32 v92, v91
                                        ; implicit-def: $vgpr94
.LBB39_104:                             ;   in Loop: Header=BB39_2 Depth=1
	s_andn2_saveexec_b64 s[18:19], s[18:19]
	s_cbranch_execz .LBB39_106
; %bb.105:                              ;   in Loop: Header=BB39_2 Depth=1
	ds_read_b32 v92, v94 offset:4
	s_waitcnt lgkmcnt(1)
	v_mov_b32_e32 v93, v89
.LBB39_106:                             ;   in Loop: Header=BB39_2 Depth=1
	s_or_b64 exec, exec, s[18:19]
	v_add_u32_e32 v95, 1, v90
	v_add_u32_e32 v94, 1, v88
	v_cndmask_b32_e64 v95, v95, v90, s[16:17]
	v_cndmask_b32_e64 v94, v88, v94, s[16:17]
	v_cmp_ge_i32_e64 s[20:21], v95, v19
	s_waitcnt lgkmcnt(0)
	v_cmp_lt_i32_e64 s[22:23], v92, v93
	v_cmp_lt_i32_e64 s[18:19], v94, v20
	s_or_b64 s[20:21], s[20:21], s[22:23]
	s_and_b64 s[18:19], s[18:19], s[20:21]
	s_xor_b64 s[20:21], s[18:19], -1
                                        ; implicit-def: $vgpr96
	s_and_saveexec_b64 s[22:23], s[20:21]
	s_xor_b64 s[20:21], exec, s[22:23]
	s_cbranch_execz .LBB39_108
; %bb.107:                              ;   in Loop: Header=BB39_2 Depth=1
	v_lshlrev_b32_e32 v96, 2, v95
	ds_read_b32 v96, v96 offset:4
.LBB39_108:                             ;   in Loop: Header=BB39_2 Depth=1
	s_or_saveexec_b64 s[20:21], s[20:21]
	v_mov_b32_e32 v97, v92
	s_xor_b64 exec, exec, s[20:21]
	s_cbranch_execz .LBB39_110
; %bb.109:                              ;   in Loop: Header=BB39_2 Depth=1
	s_waitcnt lgkmcnt(0)
	v_lshlrev_b32_e32 v96, 2, v94
	ds_read_b32 v97, v96 offset:4
	v_mov_b32_e32 v96, v93
.LBB39_110:                             ;   in Loop: Header=BB39_2 Depth=1
	s_or_b64 exec, exec, s[20:21]
	v_add_u32_e32 v99, 1, v95
	v_add_u32_e32 v98, 1, v94
	v_cndmask_b32_e64 v99, v99, v95, s[18:19]
	v_cndmask_b32_e64 v98, v94, v98, s[18:19]
	v_cmp_ge_i32_e64 s[22:23], v99, v19
	s_waitcnt lgkmcnt(0)
	v_cmp_lt_i32_e64 s[24:25], v97, v96
	v_cmp_lt_i32_e64 s[20:21], v98, v20
	s_or_b64 s[22:23], s[22:23], s[24:25]
	s_and_b64 s[20:21], s[20:21], s[22:23]
	s_xor_b64 s[22:23], s[20:21], -1
                                        ; implicit-def: $vgpr100
	s_and_saveexec_b64 s[24:25], s[22:23]
	s_xor_b64 s[22:23], exec, s[24:25]
	s_cbranch_execz .LBB39_112
; %bb.111:                              ;   in Loop: Header=BB39_2 Depth=1
	v_lshlrev_b32_e32 v100, 2, v99
	ds_read_b32 v100, v100 offset:4
.LBB39_112:                             ;   in Loop: Header=BB39_2 Depth=1
	s_or_saveexec_b64 s[22:23], s[22:23]
	v_mov_b32_e32 v101, v97
	s_xor_b64 exec, exec, s[22:23]
	s_cbranch_execz .LBB39_114
; %bb.113:                              ;   in Loop: Header=BB39_2 Depth=1
	s_waitcnt lgkmcnt(0)
	v_lshlrev_b32_e32 v100, 2, v98
	ds_read_b32 v101, v100 offset:4
	v_mov_b32_e32 v100, v96
.LBB39_114:                             ;   in Loop: Header=BB39_2 Depth=1
	s_or_b64 exec, exec, s[22:23]
	v_add_u32_e32 v103, 1, v99
	v_add_u32_e32 v102, 1, v98
	v_cndmask_b32_e64 v103, v103, v99, s[20:21]
	v_cndmask_b32_e64 v102, v98, v102, s[20:21]
	v_cmp_ge_i32_e64 s[24:25], v103, v19
	s_waitcnt lgkmcnt(0)
	v_cmp_lt_i32_e64 s[26:27], v101, v100
	v_cmp_lt_i32_e64 s[22:23], v102, v20
	s_or_b64 s[24:25], s[24:25], s[26:27]
	s_and_b64 s[22:23], s[22:23], s[24:25]
	s_xor_b64 s[24:25], s[22:23], -1
                                        ; implicit-def: $vgpr104
	s_and_saveexec_b64 s[26:27], s[24:25]
	s_xor_b64 s[24:25], exec, s[26:27]
	s_cbranch_execz .LBB39_116
; %bb.115:                              ;   in Loop: Header=BB39_2 Depth=1
	v_lshlrev_b32_e32 v104, 2, v103
	ds_read_b32 v104, v104 offset:4
.LBB39_116:                             ;   in Loop: Header=BB39_2 Depth=1
	s_or_saveexec_b64 s[24:25], s[24:25]
	v_mov_b32_e32 v105, v101
	s_xor_b64 exec, exec, s[24:25]
	s_cbranch_execz .LBB39_118
; %bb.117:                              ;   in Loop: Header=BB39_2 Depth=1
	s_waitcnt lgkmcnt(0)
	v_lshlrev_b32_e32 v104, 2, v102
	ds_read_b32 v105, v104 offset:4
	v_mov_b32_e32 v104, v100
.LBB39_118:                             ;   in Loop: Header=BB39_2 Depth=1
	s_or_b64 exec, exec, s[24:25]
	v_add_u32_e32 v107, 1, v103
	v_add_u32_e32 v106, 1, v102
	v_cndmask_b32_e64 v107, v107, v103, s[22:23]
	v_cndmask_b32_e64 v106, v102, v106, s[22:23]
	v_cmp_ge_i32_e64 s[26:27], v107, v19
	s_waitcnt lgkmcnt(0)
	v_cmp_lt_i32_e64 s[28:29], v105, v104
	v_cmp_lt_i32_e64 s[24:25], v106, v20
	s_or_b64 s[26:27], s[26:27], s[28:29]
	s_and_b64 s[24:25], s[24:25], s[26:27]
	s_xor_b64 s[26:27], s[24:25], -1
                                        ; implicit-def: $vgpr108
	s_and_saveexec_b64 s[28:29], s[26:27]
	s_xor_b64 s[26:27], exec, s[28:29]
	s_cbranch_execz .LBB39_120
; %bb.119:                              ;   in Loop: Header=BB39_2 Depth=1
	v_lshlrev_b32_e32 v108, 2, v107
	ds_read_b32 v108, v108 offset:4
.LBB39_120:                             ;   in Loop: Header=BB39_2 Depth=1
	s_or_saveexec_b64 s[26:27], s[26:27]
	v_mov_b32_e32 v109, v105
	s_xor_b64 exec, exec, s[26:27]
	s_cbranch_execz .LBB39_122
; %bb.121:                              ;   in Loop: Header=BB39_2 Depth=1
	s_waitcnt lgkmcnt(0)
	v_lshlrev_b32_e32 v108, 2, v106
	ds_read_b32 v109, v108 offset:4
	v_mov_b32_e32 v108, v104
.LBB39_122:                             ;   in Loop: Header=BB39_2 Depth=1
	s_or_b64 exec, exec, s[26:27]
	v_add_u32_e32 v111, 1, v107
	v_add_u32_e32 v110, 1, v106
	v_cndmask_b32_e64 v111, v111, v107, s[24:25]
	v_cndmask_b32_e64 v110, v106, v110, s[24:25]
	v_cmp_ge_i32_e64 s[28:29], v111, v19
	s_waitcnt lgkmcnt(0)
	v_cmp_lt_i32_e64 s[30:31], v109, v108
	v_cmp_lt_i32_e64 s[26:27], v110, v20
	s_or_b64 s[28:29], s[28:29], s[30:31]
	s_and_b64 s[26:27], s[26:27], s[28:29]
	s_xor_b64 s[28:29], s[26:27], -1
                                        ; implicit-def: $vgpr112
	s_and_saveexec_b64 s[30:31], s[28:29]
	s_xor_b64 s[28:29], exec, s[30:31]
	s_cbranch_execz .LBB39_124
; %bb.123:                              ;   in Loop: Header=BB39_2 Depth=1
	v_lshlrev_b32_e32 v112, 2, v111
	ds_read_b32 v112, v112 offset:4
.LBB39_124:                             ;   in Loop: Header=BB39_2 Depth=1
	s_or_saveexec_b64 s[28:29], s[28:29]
	v_mov_b32_e32 v113, v109
	s_xor_b64 exec, exec, s[28:29]
	s_cbranch_execz .LBB39_126
; %bb.125:                              ;   in Loop: Header=BB39_2 Depth=1
	s_waitcnt lgkmcnt(0)
	v_lshlrev_b32_e32 v112, 2, v110
	ds_read_b32 v113, v112 offset:4
	v_mov_b32_e32 v112, v108
.LBB39_126:                             ;   in Loop: Header=BB39_2 Depth=1
	s_or_b64 exec, exec, s[28:29]
	v_add_u32_e32 v116, 1, v111
	v_add_u32_e32 v114, 1, v110
	v_cndmask_b32_e64 v116, v116, v111, s[26:27]
	v_cndmask_b32_e64 v115, v110, v114, s[26:27]
	v_cmp_ge_i32_e64 s[30:31], v116, v19
	s_waitcnt lgkmcnt(0)
	v_cmp_lt_i32_e64 s[34:35], v113, v112
	v_cmp_lt_i32_e64 s[28:29], v115, v20
	s_or_b64 s[30:31], s[30:31], s[34:35]
	s_and_b64 s[28:29], s[28:29], s[30:31]
	s_xor_b64 s[30:31], s[28:29], -1
                                        ; implicit-def: $vgpr114
	s_and_saveexec_b64 s[34:35], s[30:31]
	s_xor_b64 s[30:31], exec, s[34:35]
	s_cbranch_execz .LBB39_128
; %bb.127:                              ;   in Loop: Header=BB39_2 Depth=1
	v_lshlrev_b32_e32 v114, 2, v116
	ds_read_b32 v114, v114 offset:4
.LBB39_128:                             ;   in Loop: Header=BB39_2 Depth=1
	s_or_saveexec_b64 s[30:31], s[30:31]
	v_mov_b32_e32 v117, v113
	s_xor_b64 exec, exec, s[30:31]
	s_cbranch_execz .LBB39_130
; %bb.129:                              ;   in Loop: Header=BB39_2 Depth=1
	s_waitcnt lgkmcnt(0)
	v_lshlrev_b32_e32 v114, 2, v115
	ds_read_b32 v117, v114 offset:4
	v_mov_b32_e32 v114, v112
.LBB39_130:                             ;   in Loop: Header=BB39_2 Depth=1
	s_or_b64 exec, exec, s[30:31]
	v_add_u32_e32 v118, 1, v116
	v_cndmask_b32_e64 v112, v112, v113, s[28:29]
	v_add_u32_e32 v113, 1, v115
	v_cndmask_b32_e64 v118, v118, v116, s[28:29]
	v_cndmask_b32_e64 v113, v115, v113, s[28:29]
	;; [unrolled: 1-line block ×6, first 2 shown]
	v_cmp_ge_i32_e64 s[18:19], v118, v19
	s_waitcnt lgkmcnt(0)
	v_cmp_lt_i32_e64 s[20:21], v117, v114
	v_cndmask_b32_e64 v89, v89, v91, s[16:17]
	v_cndmask_b32_e64 v88, v90, v88, s[16:17]
	v_cmp_lt_i32_e64 s[16:17], v113, v20
	s_or_b64 s[18:19], s[18:19], s[20:21]
	s_and_b64 s[16:17], s[16:17], s[18:19]
	v_cndmask_b32_e64 v115, v116, v115, s[28:29]
	v_cndmask_b32_e64 v108, v108, v109, s[26:27]
	;; [unrolled: 1-line block ×8, first 2 shown]
	s_barrier
	ds_write2_b32 v2, v80, v81 offset1:1
	ds_write2_b32 v2, v82, v83 offset0:2 offset1:3
	ds_write2_b32 v2, v84, v85 offset0:4 offset1:5
	;; [unrolled: 1-line block ×3, first 2 shown]
	v_lshlrev_b32_e32 v80, 2, v88
	v_lshlrev_b32_e32 v81, 2, v93
	;; [unrolled: 1-line block ×8, first 2 shown]
	s_waitcnt lgkmcnt(0)
	s_barrier
	ds_read_b32 v80, v80
	ds_read_b32 v81, v81
	;; [unrolled: 1-line block ×8, first 2 shown]
	v_cndmask_b32_e64 v90, v114, v117, s[16:17]
	s_waitcnt lgkmcnt(0)
	s_barrier
	ds_write2_b32 v2, v89, v92 offset1:1
	ds_write2_b32 v2, v96, v100 offset0:2 offset1:3
	ds_write2_b32 v2, v104, v108 offset0:4 offset1:5
	ds_write2_b32 v2, v112, v90 offset0:6 offset1:7
	v_mov_b32_e32 v90, v36
	s_waitcnt lgkmcnt(0)
	s_barrier
	s_and_saveexec_b64 s[18:19], s[6:7]
	s_cbranch_execz .LBB39_134
; %bb.131:                              ;   in Loop: Header=BB39_2 Depth=1
	s_mov_b64 s[20:21], 0
	v_mov_b32_e32 v90, v36
	v_mov_b32_e32 v88, v37
.LBB39_132:                             ;   Parent Loop BB39_2 Depth=1
                                        ; =>  This Inner Loop Header: Depth=2
	v_sub_u32_e32 v89, v88, v90
	v_lshrrev_b32_e32 v91, 31, v89
	v_add_u32_e32 v89, v89, v91
	v_ashrrev_i32_e32 v89, 1, v89
	v_add_u32_e32 v89, v89, v90
	v_xad_u32 v92, v89, -1, v33
	v_lshl_add_u32 v91, v89, 2, v66
	v_lshl_add_u32 v92, v92, 2, v67
	ds_read_b32 v91, v91
	ds_read_b32 v92, v92
	v_add_u32_e32 v93, 1, v89
	s_waitcnt lgkmcnt(0)
	v_cmp_lt_i32_e64 s[16:17], v92, v91
	s_nop 1
	v_cndmask_b32_e64 v88, v88, v89, s[16:17]
	v_cndmask_b32_e64 v90, v93, v90, s[16:17]
	v_cmp_ge_i32_e64 s[16:17], v90, v88
	s_or_b64 s[20:21], s[16:17], s[20:21]
	s_andn2_b64 exec, exec, s[20:21]
	s_cbranch_execnz .LBB39_132
; %bb.133:                              ;   in Loop: Header=BB39_2 Depth=1
	s_or_b64 exec, exec, s[20:21]
.LBB39_134:                             ;   in Loop: Header=BB39_2 Depth=1
	s_or_b64 exec, exec, s[18:19]
	v_sub_u32_e32 v88, v68, v90
	v_lshl_add_u32 v95, v90, 2, v66
	v_lshlrev_b32_e32 v94, 2, v88
	ds_read_b32 v89, v95
	ds_read_b32 v91, v94
	v_add_u32_e32 v90, v90, v32
	v_cmp_le_i32_e64 s[18:19], v34, v90
	v_cmp_gt_i32_e64 s[16:17], v35, v88
                                        ; implicit-def: $vgpr92
                                        ; implicit-def: $vgpr93
	s_waitcnt lgkmcnt(0)
	v_cmp_lt_i32_e64 s[20:21], v91, v89
	s_or_b64 s[18:19], s[18:19], s[20:21]
	s_and_b64 s[16:17], s[16:17], s[18:19]
	s_xor_b64 s[18:19], s[16:17], -1
	s_and_saveexec_b64 s[20:21], s[18:19]
	s_xor_b64 s[18:19], exec, s[20:21]
	s_cbranch_execz .LBB39_136
; %bb.135:                              ;   in Loop: Header=BB39_2 Depth=1
	ds_read_b32 v93, v95 offset:4
	v_mov_b32_e32 v92, v91
                                        ; implicit-def: $vgpr94
.LBB39_136:                             ;   in Loop: Header=BB39_2 Depth=1
	s_andn2_saveexec_b64 s[18:19], s[18:19]
	s_cbranch_execz .LBB39_138
; %bb.137:                              ;   in Loop: Header=BB39_2 Depth=1
	ds_read_b32 v92, v94 offset:4
	s_waitcnt lgkmcnt(1)
	v_mov_b32_e32 v93, v89
.LBB39_138:                             ;   in Loop: Header=BB39_2 Depth=1
	s_or_b64 exec, exec, s[18:19]
	v_add_u32_e32 v95, 1, v90
	v_add_u32_e32 v94, 1, v88
	v_cndmask_b32_e64 v95, v95, v90, s[16:17]
	v_cndmask_b32_e64 v94, v88, v94, s[16:17]
	v_cmp_ge_i32_e64 s[20:21], v95, v34
	s_waitcnt lgkmcnt(0)
	v_cmp_lt_i32_e64 s[22:23], v92, v93
	v_cmp_lt_i32_e64 s[18:19], v94, v35
	s_or_b64 s[20:21], s[20:21], s[22:23]
	s_and_b64 s[18:19], s[18:19], s[20:21]
	s_xor_b64 s[20:21], s[18:19], -1
                                        ; implicit-def: $vgpr96
	s_and_saveexec_b64 s[22:23], s[20:21]
	s_xor_b64 s[20:21], exec, s[22:23]
	s_cbranch_execz .LBB39_140
; %bb.139:                              ;   in Loop: Header=BB39_2 Depth=1
	v_lshlrev_b32_e32 v96, 2, v95
	ds_read_b32 v96, v96 offset:4
.LBB39_140:                             ;   in Loop: Header=BB39_2 Depth=1
	s_or_saveexec_b64 s[20:21], s[20:21]
	v_mov_b32_e32 v97, v92
	s_xor_b64 exec, exec, s[20:21]
	s_cbranch_execz .LBB39_142
; %bb.141:                              ;   in Loop: Header=BB39_2 Depth=1
	s_waitcnt lgkmcnt(0)
	v_lshlrev_b32_e32 v96, 2, v94
	ds_read_b32 v97, v96 offset:4
	v_mov_b32_e32 v96, v93
.LBB39_142:                             ;   in Loop: Header=BB39_2 Depth=1
	s_or_b64 exec, exec, s[20:21]
	v_add_u32_e32 v99, 1, v95
	v_add_u32_e32 v98, 1, v94
	v_cndmask_b32_e64 v99, v99, v95, s[18:19]
	v_cndmask_b32_e64 v98, v94, v98, s[18:19]
	v_cmp_ge_i32_e64 s[22:23], v99, v34
	s_waitcnt lgkmcnt(0)
	v_cmp_lt_i32_e64 s[24:25], v97, v96
	v_cmp_lt_i32_e64 s[20:21], v98, v35
	s_or_b64 s[22:23], s[22:23], s[24:25]
	s_and_b64 s[20:21], s[20:21], s[22:23]
	s_xor_b64 s[22:23], s[20:21], -1
                                        ; implicit-def: $vgpr100
	s_and_saveexec_b64 s[24:25], s[22:23]
	s_xor_b64 s[22:23], exec, s[24:25]
	s_cbranch_execz .LBB39_144
; %bb.143:                              ;   in Loop: Header=BB39_2 Depth=1
	v_lshlrev_b32_e32 v100, 2, v99
	ds_read_b32 v100, v100 offset:4
.LBB39_144:                             ;   in Loop: Header=BB39_2 Depth=1
	s_or_saveexec_b64 s[22:23], s[22:23]
	v_mov_b32_e32 v101, v97
	s_xor_b64 exec, exec, s[22:23]
	s_cbranch_execz .LBB39_146
; %bb.145:                              ;   in Loop: Header=BB39_2 Depth=1
	s_waitcnt lgkmcnt(0)
	v_lshlrev_b32_e32 v100, 2, v98
	ds_read_b32 v101, v100 offset:4
	v_mov_b32_e32 v100, v96
.LBB39_146:                             ;   in Loop: Header=BB39_2 Depth=1
	s_or_b64 exec, exec, s[22:23]
	v_add_u32_e32 v103, 1, v99
	v_add_u32_e32 v102, 1, v98
	v_cndmask_b32_e64 v103, v103, v99, s[20:21]
	v_cndmask_b32_e64 v102, v98, v102, s[20:21]
	v_cmp_ge_i32_e64 s[24:25], v103, v34
	s_waitcnt lgkmcnt(0)
	v_cmp_lt_i32_e64 s[26:27], v101, v100
	v_cmp_lt_i32_e64 s[22:23], v102, v35
	s_or_b64 s[24:25], s[24:25], s[26:27]
	s_and_b64 s[22:23], s[22:23], s[24:25]
	s_xor_b64 s[24:25], s[22:23], -1
                                        ; implicit-def: $vgpr104
	s_and_saveexec_b64 s[26:27], s[24:25]
	s_xor_b64 s[24:25], exec, s[26:27]
	s_cbranch_execz .LBB39_148
; %bb.147:                              ;   in Loop: Header=BB39_2 Depth=1
	v_lshlrev_b32_e32 v104, 2, v103
	ds_read_b32 v104, v104 offset:4
.LBB39_148:                             ;   in Loop: Header=BB39_2 Depth=1
	s_or_saveexec_b64 s[24:25], s[24:25]
	v_mov_b32_e32 v105, v101
	s_xor_b64 exec, exec, s[24:25]
	s_cbranch_execz .LBB39_150
; %bb.149:                              ;   in Loop: Header=BB39_2 Depth=1
	s_waitcnt lgkmcnt(0)
	v_lshlrev_b32_e32 v104, 2, v102
	ds_read_b32 v105, v104 offset:4
	v_mov_b32_e32 v104, v100
.LBB39_150:                             ;   in Loop: Header=BB39_2 Depth=1
	s_or_b64 exec, exec, s[24:25]
	v_add_u32_e32 v107, 1, v103
	v_add_u32_e32 v106, 1, v102
	v_cndmask_b32_e64 v107, v107, v103, s[22:23]
	v_cndmask_b32_e64 v106, v102, v106, s[22:23]
	v_cmp_ge_i32_e64 s[26:27], v107, v34
	s_waitcnt lgkmcnt(0)
	v_cmp_lt_i32_e64 s[28:29], v105, v104
	v_cmp_lt_i32_e64 s[24:25], v106, v35
	s_or_b64 s[26:27], s[26:27], s[28:29]
	s_and_b64 s[24:25], s[24:25], s[26:27]
	s_xor_b64 s[26:27], s[24:25], -1
                                        ; implicit-def: $vgpr108
	s_and_saveexec_b64 s[28:29], s[26:27]
	s_xor_b64 s[26:27], exec, s[28:29]
	s_cbranch_execz .LBB39_152
; %bb.151:                              ;   in Loop: Header=BB39_2 Depth=1
	v_lshlrev_b32_e32 v108, 2, v107
	ds_read_b32 v108, v108 offset:4
.LBB39_152:                             ;   in Loop: Header=BB39_2 Depth=1
	s_or_saveexec_b64 s[26:27], s[26:27]
	v_mov_b32_e32 v109, v105
	s_xor_b64 exec, exec, s[26:27]
	s_cbranch_execz .LBB39_154
; %bb.153:                              ;   in Loop: Header=BB39_2 Depth=1
	s_waitcnt lgkmcnt(0)
	v_lshlrev_b32_e32 v108, 2, v106
	ds_read_b32 v109, v108 offset:4
	v_mov_b32_e32 v108, v104
.LBB39_154:                             ;   in Loop: Header=BB39_2 Depth=1
	s_or_b64 exec, exec, s[26:27]
	v_add_u32_e32 v111, 1, v107
	v_add_u32_e32 v110, 1, v106
	v_cndmask_b32_e64 v111, v111, v107, s[24:25]
	v_cndmask_b32_e64 v110, v106, v110, s[24:25]
	v_cmp_ge_i32_e64 s[28:29], v111, v34
	s_waitcnt lgkmcnt(0)
	v_cmp_lt_i32_e64 s[30:31], v109, v108
	v_cmp_lt_i32_e64 s[26:27], v110, v35
	s_or_b64 s[28:29], s[28:29], s[30:31]
	s_and_b64 s[26:27], s[26:27], s[28:29]
	s_xor_b64 s[28:29], s[26:27], -1
                                        ; implicit-def: $vgpr112
	s_and_saveexec_b64 s[30:31], s[28:29]
	s_xor_b64 s[28:29], exec, s[30:31]
	s_cbranch_execz .LBB39_156
; %bb.155:                              ;   in Loop: Header=BB39_2 Depth=1
	v_lshlrev_b32_e32 v112, 2, v111
	ds_read_b32 v112, v112 offset:4
.LBB39_156:                             ;   in Loop: Header=BB39_2 Depth=1
	s_or_saveexec_b64 s[28:29], s[28:29]
	v_mov_b32_e32 v113, v109
	s_xor_b64 exec, exec, s[28:29]
	s_cbranch_execz .LBB39_158
; %bb.157:                              ;   in Loop: Header=BB39_2 Depth=1
	s_waitcnt lgkmcnt(0)
	v_lshlrev_b32_e32 v112, 2, v110
	ds_read_b32 v113, v112 offset:4
	v_mov_b32_e32 v112, v108
.LBB39_158:                             ;   in Loop: Header=BB39_2 Depth=1
	s_or_b64 exec, exec, s[28:29]
	v_add_u32_e32 v116, 1, v111
	v_add_u32_e32 v114, 1, v110
	v_cndmask_b32_e64 v116, v116, v111, s[26:27]
	v_cndmask_b32_e64 v115, v110, v114, s[26:27]
	v_cmp_ge_i32_e64 s[30:31], v116, v34
	s_waitcnt lgkmcnt(0)
	v_cmp_lt_i32_e64 s[34:35], v113, v112
	v_cmp_lt_i32_e64 s[28:29], v115, v35
	s_or_b64 s[30:31], s[30:31], s[34:35]
	s_and_b64 s[28:29], s[28:29], s[30:31]
	s_xor_b64 s[30:31], s[28:29], -1
                                        ; implicit-def: $vgpr114
	s_and_saveexec_b64 s[34:35], s[30:31]
	s_xor_b64 s[30:31], exec, s[34:35]
	s_cbranch_execz .LBB39_160
; %bb.159:                              ;   in Loop: Header=BB39_2 Depth=1
	v_lshlrev_b32_e32 v114, 2, v116
	ds_read_b32 v114, v114 offset:4
.LBB39_160:                             ;   in Loop: Header=BB39_2 Depth=1
	s_or_saveexec_b64 s[30:31], s[30:31]
	v_mov_b32_e32 v117, v113
	s_xor_b64 exec, exec, s[30:31]
	s_cbranch_execz .LBB39_162
; %bb.161:                              ;   in Loop: Header=BB39_2 Depth=1
	s_waitcnt lgkmcnt(0)
	v_lshlrev_b32_e32 v114, 2, v115
	ds_read_b32 v117, v114 offset:4
	v_mov_b32_e32 v114, v112
.LBB39_162:                             ;   in Loop: Header=BB39_2 Depth=1
	s_or_b64 exec, exec, s[30:31]
	v_add_u32_e32 v118, 1, v116
	v_cndmask_b32_e64 v112, v112, v113, s[28:29]
	v_add_u32_e32 v113, 1, v115
	v_cndmask_b32_e64 v118, v118, v116, s[28:29]
	v_cndmask_b32_e64 v113, v115, v113, s[28:29]
	;; [unrolled: 1-line block ×6, first 2 shown]
	v_cmp_ge_i32_e64 s[18:19], v118, v34
	s_waitcnt lgkmcnt(0)
	v_cmp_lt_i32_e64 s[20:21], v117, v114
	v_cndmask_b32_e64 v89, v89, v91, s[16:17]
	v_cndmask_b32_e64 v88, v90, v88, s[16:17]
	v_cmp_lt_i32_e64 s[16:17], v113, v35
	s_or_b64 s[18:19], s[18:19], s[20:21]
	s_and_b64 s[16:17], s[16:17], s[18:19]
	v_cndmask_b32_e64 v115, v116, v115, s[28:29]
	v_cndmask_b32_e64 v108, v108, v109, s[26:27]
	;; [unrolled: 1-line block ×8, first 2 shown]
	s_barrier
	ds_write2_b32 v2, v80, v81 offset1:1
	ds_write2_b32 v2, v82, v83 offset0:2 offset1:3
	ds_write2_b32 v2, v84, v85 offset0:4 offset1:5
	;; [unrolled: 1-line block ×3, first 2 shown]
	v_lshlrev_b32_e32 v80, 2, v88
	v_lshlrev_b32_e32 v81, 2, v93
	;; [unrolled: 1-line block ×8, first 2 shown]
	s_waitcnt lgkmcnt(0)
	s_barrier
	ds_read_b32 v80, v80
	ds_read_b32 v81, v81
	;; [unrolled: 1-line block ×8, first 2 shown]
	v_cndmask_b32_e64 v90, v114, v117, s[16:17]
	s_waitcnt lgkmcnt(0)
	s_barrier
	ds_write2_b32 v2, v89, v92 offset1:1
	ds_write2_b32 v2, v96, v100 offset0:2 offset1:3
	ds_write2_b32 v2, v104, v108 offset0:4 offset1:5
	;; [unrolled: 1-line block ×3, first 2 shown]
	v_mov_b32_e32 v90, v42
	s_waitcnt lgkmcnt(0)
	s_barrier
	s_and_saveexec_b64 s[18:19], s[8:9]
	s_cbranch_execz .LBB39_166
; %bb.163:                              ;   in Loop: Header=BB39_2 Depth=1
	s_mov_b64 s[20:21], 0
	v_mov_b32_e32 v90, v42
	v_mov_b32_e32 v88, v43
.LBB39_164:                             ;   Parent Loop BB39_2 Depth=1
                                        ; =>  This Inner Loop Header: Depth=2
	v_sub_u32_e32 v89, v88, v90
	v_lshrrev_b32_e32 v91, 31, v89
	v_add_u32_e32 v89, v89, v91
	v_ashrrev_i32_e32 v89, 1, v89
	v_add_u32_e32 v89, v89, v90
	v_xad_u32 v92, v89, -1, v39
	v_lshl_add_u32 v91, v89, 2, v69
	v_lshl_add_u32 v92, v92, 2, v70
	ds_read_b32 v91, v91
	ds_read_b32 v92, v92
	v_add_u32_e32 v93, 1, v89
	s_waitcnt lgkmcnt(0)
	v_cmp_lt_i32_e64 s[16:17], v92, v91
	s_nop 1
	v_cndmask_b32_e64 v88, v88, v89, s[16:17]
	v_cndmask_b32_e64 v90, v93, v90, s[16:17]
	v_cmp_ge_i32_e64 s[16:17], v90, v88
	s_or_b64 s[20:21], s[16:17], s[20:21]
	s_andn2_b64 exec, exec, s[20:21]
	s_cbranch_execnz .LBB39_164
; %bb.165:                              ;   in Loop: Header=BB39_2 Depth=1
	s_or_b64 exec, exec, s[20:21]
.LBB39_166:                             ;   in Loop: Header=BB39_2 Depth=1
	s_or_b64 exec, exec, s[18:19]
	v_sub_u32_e32 v88, v71, v90
	v_lshl_add_u32 v95, v90, 2, v69
	v_lshlrev_b32_e32 v94, 2, v88
	ds_read_b32 v89, v95
	ds_read_b32 v91, v94
	v_add_u32_e32 v90, v90, v38
	v_cmp_le_i32_e64 s[18:19], v40, v90
	v_cmp_gt_i32_e64 s[16:17], v41, v88
                                        ; implicit-def: $vgpr92
                                        ; implicit-def: $vgpr93
	s_waitcnt lgkmcnt(0)
	v_cmp_lt_i32_e64 s[20:21], v91, v89
	s_or_b64 s[18:19], s[18:19], s[20:21]
	s_and_b64 s[16:17], s[16:17], s[18:19]
	s_xor_b64 s[18:19], s[16:17], -1
	s_and_saveexec_b64 s[20:21], s[18:19]
	s_xor_b64 s[18:19], exec, s[20:21]
	s_cbranch_execz .LBB39_168
; %bb.167:                              ;   in Loop: Header=BB39_2 Depth=1
	ds_read_b32 v93, v95 offset:4
	v_mov_b32_e32 v92, v91
                                        ; implicit-def: $vgpr94
.LBB39_168:                             ;   in Loop: Header=BB39_2 Depth=1
	s_andn2_saveexec_b64 s[18:19], s[18:19]
	s_cbranch_execz .LBB39_170
; %bb.169:                              ;   in Loop: Header=BB39_2 Depth=1
	ds_read_b32 v92, v94 offset:4
	s_waitcnt lgkmcnt(1)
	v_mov_b32_e32 v93, v89
.LBB39_170:                             ;   in Loop: Header=BB39_2 Depth=1
	s_or_b64 exec, exec, s[18:19]
	v_add_u32_e32 v95, 1, v90
	v_add_u32_e32 v94, 1, v88
	v_cndmask_b32_e64 v95, v95, v90, s[16:17]
	v_cndmask_b32_e64 v94, v88, v94, s[16:17]
	v_cmp_ge_i32_e64 s[20:21], v95, v40
	s_waitcnt lgkmcnt(0)
	v_cmp_lt_i32_e64 s[22:23], v92, v93
	v_cmp_lt_i32_e64 s[18:19], v94, v41
	s_or_b64 s[20:21], s[20:21], s[22:23]
	s_and_b64 s[18:19], s[18:19], s[20:21]
	s_xor_b64 s[20:21], s[18:19], -1
                                        ; implicit-def: $vgpr96
	s_and_saveexec_b64 s[22:23], s[20:21]
	s_xor_b64 s[20:21], exec, s[22:23]
	s_cbranch_execz .LBB39_172
; %bb.171:                              ;   in Loop: Header=BB39_2 Depth=1
	v_lshlrev_b32_e32 v96, 2, v95
	ds_read_b32 v96, v96 offset:4
.LBB39_172:                             ;   in Loop: Header=BB39_2 Depth=1
	s_or_saveexec_b64 s[20:21], s[20:21]
	v_mov_b32_e32 v97, v92
	s_xor_b64 exec, exec, s[20:21]
	s_cbranch_execz .LBB39_174
; %bb.173:                              ;   in Loop: Header=BB39_2 Depth=1
	s_waitcnt lgkmcnt(0)
	v_lshlrev_b32_e32 v96, 2, v94
	ds_read_b32 v97, v96 offset:4
	v_mov_b32_e32 v96, v93
.LBB39_174:                             ;   in Loop: Header=BB39_2 Depth=1
	s_or_b64 exec, exec, s[20:21]
	v_add_u32_e32 v99, 1, v95
	v_add_u32_e32 v98, 1, v94
	v_cndmask_b32_e64 v99, v99, v95, s[18:19]
	v_cndmask_b32_e64 v98, v94, v98, s[18:19]
	v_cmp_ge_i32_e64 s[22:23], v99, v40
	s_waitcnt lgkmcnt(0)
	v_cmp_lt_i32_e64 s[24:25], v97, v96
	v_cmp_lt_i32_e64 s[20:21], v98, v41
	s_or_b64 s[22:23], s[22:23], s[24:25]
	s_and_b64 s[20:21], s[20:21], s[22:23]
	s_xor_b64 s[22:23], s[20:21], -1
                                        ; implicit-def: $vgpr100
	s_and_saveexec_b64 s[24:25], s[22:23]
	s_xor_b64 s[22:23], exec, s[24:25]
	s_cbranch_execz .LBB39_176
; %bb.175:                              ;   in Loop: Header=BB39_2 Depth=1
	v_lshlrev_b32_e32 v100, 2, v99
	ds_read_b32 v100, v100 offset:4
.LBB39_176:                             ;   in Loop: Header=BB39_2 Depth=1
	s_or_saveexec_b64 s[22:23], s[22:23]
	v_mov_b32_e32 v101, v97
	s_xor_b64 exec, exec, s[22:23]
	s_cbranch_execz .LBB39_178
; %bb.177:                              ;   in Loop: Header=BB39_2 Depth=1
	s_waitcnt lgkmcnt(0)
	v_lshlrev_b32_e32 v100, 2, v98
	ds_read_b32 v101, v100 offset:4
	v_mov_b32_e32 v100, v96
.LBB39_178:                             ;   in Loop: Header=BB39_2 Depth=1
	s_or_b64 exec, exec, s[22:23]
	v_add_u32_e32 v103, 1, v99
	v_add_u32_e32 v102, 1, v98
	v_cndmask_b32_e64 v103, v103, v99, s[20:21]
	v_cndmask_b32_e64 v102, v98, v102, s[20:21]
	v_cmp_ge_i32_e64 s[24:25], v103, v40
	s_waitcnt lgkmcnt(0)
	v_cmp_lt_i32_e64 s[26:27], v101, v100
	v_cmp_lt_i32_e64 s[22:23], v102, v41
	s_or_b64 s[24:25], s[24:25], s[26:27]
	s_and_b64 s[22:23], s[22:23], s[24:25]
	s_xor_b64 s[24:25], s[22:23], -1
                                        ; implicit-def: $vgpr104
	s_and_saveexec_b64 s[26:27], s[24:25]
	s_xor_b64 s[24:25], exec, s[26:27]
	s_cbranch_execz .LBB39_180
; %bb.179:                              ;   in Loop: Header=BB39_2 Depth=1
	v_lshlrev_b32_e32 v104, 2, v103
	ds_read_b32 v104, v104 offset:4
.LBB39_180:                             ;   in Loop: Header=BB39_2 Depth=1
	s_or_saveexec_b64 s[24:25], s[24:25]
	v_mov_b32_e32 v105, v101
	s_xor_b64 exec, exec, s[24:25]
	s_cbranch_execz .LBB39_182
; %bb.181:                              ;   in Loop: Header=BB39_2 Depth=1
	s_waitcnt lgkmcnt(0)
	v_lshlrev_b32_e32 v104, 2, v102
	ds_read_b32 v105, v104 offset:4
	v_mov_b32_e32 v104, v100
.LBB39_182:                             ;   in Loop: Header=BB39_2 Depth=1
	s_or_b64 exec, exec, s[24:25]
	v_add_u32_e32 v107, 1, v103
	v_add_u32_e32 v106, 1, v102
	v_cndmask_b32_e64 v107, v107, v103, s[22:23]
	v_cndmask_b32_e64 v106, v102, v106, s[22:23]
	v_cmp_ge_i32_e64 s[26:27], v107, v40
	s_waitcnt lgkmcnt(0)
	v_cmp_lt_i32_e64 s[28:29], v105, v104
	v_cmp_lt_i32_e64 s[24:25], v106, v41
	s_or_b64 s[26:27], s[26:27], s[28:29]
	s_and_b64 s[24:25], s[24:25], s[26:27]
	s_xor_b64 s[26:27], s[24:25], -1
                                        ; implicit-def: $vgpr108
	s_and_saveexec_b64 s[28:29], s[26:27]
	s_xor_b64 s[26:27], exec, s[28:29]
	s_cbranch_execz .LBB39_184
; %bb.183:                              ;   in Loop: Header=BB39_2 Depth=1
	v_lshlrev_b32_e32 v108, 2, v107
	ds_read_b32 v108, v108 offset:4
.LBB39_184:                             ;   in Loop: Header=BB39_2 Depth=1
	s_or_saveexec_b64 s[26:27], s[26:27]
	v_mov_b32_e32 v109, v105
	s_xor_b64 exec, exec, s[26:27]
	s_cbranch_execz .LBB39_186
; %bb.185:                              ;   in Loop: Header=BB39_2 Depth=1
	s_waitcnt lgkmcnt(0)
	v_lshlrev_b32_e32 v108, 2, v106
	ds_read_b32 v109, v108 offset:4
	v_mov_b32_e32 v108, v104
.LBB39_186:                             ;   in Loop: Header=BB39_2 Depth=1
	s_or_b64 exec, exec, s[26:27]
	v_add_u32_e32 v111, 1, v107
	v_add_u32_e32 v110, 1, v106
	v_cndmask_b32_e64 v111, v111, v107, s[24:25]
	v_cndmask_b32_e64 v110, v106, v110, s[24:25]
	v_cmp_ge_i32_e64 s[28:29], v111, v40
	s_waitcnt lgkmcnt(0)
	v_cmp_lt_i32_e64 s[30:31], v109, v108
	v_cmp_lt_i32_e64 s[26:27], v110, v41
	s_or_b64 s[28:29], s[28:29], s[30:31]
	s_and_b64 s[26:27], s[26:27], s[28:29]
	s_xor_b64 s[28:29], s[26:27], -1
                                        ; implicit-def: $vgpr112
	s_and_saveexec_b64 s[30:31], s[28:29]
	s_xor_b64 s[28:29], exec, s[30:31]
	s_cbranch_execz .LBB39_188
; %bb.187:                              ;   in Loop: Header=BB39_2 Depth=1
	v_lshlrev_b32_e32 v112, 2, v111
	ds_read_b32 v112, v112 offset:4
.LBB39_188:                             ;   in Loop: Header=BB39_2 Depth=1
	s_or_saveexec_b64 s[28:29], s[28:29]
	v_mov_b32_e32 v113, v109
	s_xor_b64 exec, exec, s[28:29]
	s_cbranch_execz .LBB39_190
; %bb.189:                              ;   in Loop: Header=BB39_2 Depth=1
	s_waitcnt lgkmcnt(0)
	v_lshlrev_b32_e32 v112, 2, v110
	ds_read_b32 v113, v112 offset:4
	v_mov_b32_e32 v112, v108
.LBB39_190:                             ;   in Loop: Header=BB39_2 Depth=1
	s_or_b64 exec, exec, s[28:29]
	v_add_u32_e32 v116, 1, v111
	v_add_u32_e32 v114, 1, v110
	v_cndmask_b32_e64 v116, v116, v111, s[26:27]
	v_cndmask_b32_e64 v115, v110, v114, s[26:27]
	v_cmp_ge_i32_e64 s[30:31], v116, v40
	s_waitcnt lgkmcnt(0)
	v_cmp_lt_i32_e64 s[34:35], v113, v112
	v_cmp_lt_i32_e64 s[28:29], v115, v41
	s_or_b64 s[30:31], s[30:31], s[34:35]
	s_and_b64 s[28:29], s[28:29], s[30:31]
	s_xor_b64 s[30:31], s[28:29], -1
                                        ; implicit-def: $vgpr114
	s_and_saveexec_b64 s[34:35], s[30:31]
	s_xor_b64 s[30:31], exec, s[34:35]
	s_cbranch_execz .LBB39_192
; %bb.191:                              ;   in Loop: Header=BB39_2 Depth=1
	v_lshlrev_b32_e32 v114, 2, v116
	ds_read_b32 v114, v114 offset:4
.LBB39_192:                             ;   in Loop: Header=BB39_2 Depth=1
	s_or_saveexec_b64 s[30:31], s[30:31]
	v_mov_b32_e32 v117, v113
	s_xor_b64 exec, exec, s[30:31]
	s_cbranch_execz .LBB39_194
; %bb.193:                              ;   in Loop: Header=BB39_2 Depth=1
	s_waitcnt lgkmcnt(0)
	v_lshlrev_b32_e32 v114, 2, v115
	ds_read_b32 v117, v114 offset:4
	v_mov_b32_e32 v114, v112
.LBB39_194:                             ;   in Loop: Header=BB39_2 Depth=1
	s_or_b64 exec, exec, s[30:31]
	v_add_u32_e32 v118, 1, v116
	v_cndmask_b32_e64 v112, v112, v113, s[28:29]
	v_add_u32_e32 v113, 1, v115
	v_cndmask_b32_e64 v118, v118, v116, s[28:29]
	v_cndmask_b32_e64 v113, v115, v113, s[28:29]
	;; [unrolled: 1-line block ×6, first 2 shown]
	v_cmp_ge_i32_e64 s[18:19], v118, v40
	s_waitcnt lgkmcnt(0)
	v_cmp_lt_i32_e64 s[20:21], v117, v114
	v_cndmask_b32_e64 v89, v89, v91, s[16:17]
	v_cndmask_b32_e64 v88, v90, v88, s[16:17]
	v_cmp_lt_i32_e64 s[16:17], v113, v41
	s_or_b64 s[18:19], s[18:19], s[20:21]
	s_and_b64 s[16:17], s[16:17], s[18:19]
	v_cndmask_b32_e64 v115, v116, v115, s[28:29]
	v_cndmask_b32_e64 v108, v108, v109, s[26:27]
	;; [unrolled: 1-line block ×8, first 2 shown]
	s_barrier
	ds_write2_b32 v2, v80, v81 offset1:1
	ds_write2_b32 v2, v82, v83 offset0:2 offset1:3
	ds_write2_b32 v2, v84, v85 offset0:4 offset1:5
	;; [unrolled: 1-line block ×3, first 2 shown]
	v_lshlrev_b32_e32 v80, 2, v88
	v_lshlrev_b32_e32 v81, 2, v93
	;; [unrolled: 1-line block ×8, first 2 shown]
	s_waitcnt lgkmcnt(0)
	s_barrier
	ds_read_b32 v80, v80
	ds_read_b32 v81, v81
	;; [unrolled: 1-line block ×8, first 2 shown]
	v_cndmask_b32_e64 v90, v114, v117, s[16:17]
	s_waitcnt lgkmcnt(0)
	s_barrier
	ds_write2_b32 v2, v89, v92 offset1:1
	ds_write2_b32 v2, v96, v100 offset0:2 offset1:3
	ds_write2_b32 v2, v104, v108 offset0:4 offset1:5
	;; [unrolled: 1-line block ×3, first 2 shown]
	v_mov_b32_e32 v90, v48
	s_waitcnt lgkmcnt(0)
	s_barrier
	s_and_saveexec_b64 s[18:19], s[10:11]
	s_cbranch_execz .LBB39_198
; %bb.195:                              ;   in Loop: Header=BB39_2 Depth=1
	s_mov_b64 s[20:21], 0
	v_mov_b32_e32 v90, v48
	v_mov_b32_e32 v88, v49
.LBB39_196:                             ;   Parent Loop BB39_2 Depth=1
                                        ; =>  This Inner Loop Header: Depth=2
	v_sub_u32_e32 v89, v88, v90
	v_lshrrev_b32_e32 v91, 31, v89
	v_add_u32_e32 v89, v89, v91
	v_ashrrev_i32_e32 v89, 1, v89
	v_add_u32_e32 v89, v89, v90
	v_xad_u32 v92, v89, -1, v45
	v_lshl_add_u32 v91, v89, 2, v72
	v_lshl_add_u32 v92, v92, 2, v73
	ds_read_b32 v91, v91
	ds_read_b32 v92, v92
	v_add_u32_e32 v93, 1, v89
	s_waitcnt lgkmcnt(0)
	v_cmp_lt_i32_e64 s[16:17], v92, v91
	s_nop 1
	v_cndmask_b32_e64 v88, v88, v89, s[16:17]
	v_cndmask_b32_e64 v90, v93, v90, s[16:17]
	v_cmp_ge_i32_e64 s[16:17], v90, v88
	s_or_b64 s[20:21], s[16:17], s[20:21]
	s_andn2_b64 exec, exec, s[20:21]
	s_cbranch_execnz .LBB39_196
; %bb.197:                              ;   in Loop: Header=BB39_2 Depth=1
	s_or_b64 exec, exec, s[20:21]
.LBB39_198:                             ;   in Loop: Header=BB39_2 Depth=1
	s_or_b64 exec, exec, s[18:19]
	v_sub_u32_e32 v88, v74, v90
	v_lshl_add_u32 v95, v90, 2, v72
	v_lshlrev_b32_e32 v94, 2, v88
	ds_read_b32 v89, v95
	ds_read_b32 v91, v94
	v_add_u32_e32 v90, v90, v44
	v_cmp_le_i32_e64 s[18:19], v46, v90
	v_cmp_gt_i32_e64 s[16:17], v47, v88
                                        ; implicit-def: $vgpr92
                                        ; implicit-def: $vgpr93
	s_waitcnt lgkmcnt(0)
	v_cmp_lt_i32_e64 s[20:21], v91, v89
	s_or_b64 s[18:19], s[18:19], s[20:21]
	s_and_b64 s[16:17], s[16:17], s[18:19]
	s_xor_b64 s[18:19], s[16:17], -1
	s_and_saveexec_b64 s[20:21], s[18:19]
	s_xor_b64 s[18:19], exec, s[20:21]
	s_cbranch_execz .LBB39_200
; %bb.199:                              ;   in Loop: Header=BB39_2 Depth=1
	ds_read_b32 v93, v95 offset:4
	v_mov_b32_e32 v92, v91
                                        ; implicit-def: $vgpr94
.LBB39_200:                             ;   in Loop: Header=BB39_2 Depth=1
	s_andn2_saveexec_b64 s[18:19], s[18:19]
	s_cbranch_execz .LBB39_202
; %bb.201:                              ;   in Loop: Header=BB39_2 Depth=1
	ds_read_b32 v92, v94 offset:4
	s_waitcnt lgkmcnt(1)
	v_mov_b32_e32 v93, v89
.LBB39_202:                             ;   in Loop: Header=BB39_2 Depth=1
	s_or_b64 exec, exec, s[18:19]
	v_add_u32_e32 v95, 1, v90
	v_add_u32_e32 v94, 1, v88
	v_cndmask_b32_e64 v95, v95, v90, s[16:17]
	v_cndmask_b32_e64 v94, v88, v94, s[16:17]
	v_cmp_ge_i32_e64 s[20:21], v95, v46
	s_waitcnt lgkmcnt(0)
	v_cmp_lt_i32_e64 s[22:23], v92, v93
	v_cmp_lt_i32_e64 s[18:19], v94, v47
	s_or_b64 s[20:21], s[20:21], s[22:23]
	s_and_b64 s[18:19], s[18:19], s[20:21]
	s_xor_b64 s[20:21], s[18:19], -1
                                        ; implicit-def: $vgpr96
	s_and_saveexec_b64 s[22:23], s[20:21]
	s_xor_b64 s[20:21], exec, s[22:23]
	s_cbranch_execz .LBB39_204
; %bb.203:                              ;   in Loop: Header=BB39_2 Depth=1
	v_lshlrev_b32_e32 v96, 2, v95
	ds_read_b32 v96, v96 offset:4
.LBB39_204:                             ;   in Loop: Header=BB39_2 Depth=1
	s_or_saveexec_b64 s[20:21], s[20:21]
	v_mov_b32_e32 v97, v92
	s_xor_b64 exec, exec, s[20:21]
	s_cbranch_execz .LBB39_206
; %bb.205:                              ;   in Loop: Header=BB39_2 Depth=1
	s_waitcnt lgkmcnt(0)
	v_lshlrev_b32_e32 v96, 2, v94
	ds_read_b32 v97, v96 offset:4
	v_mov_b32_e32 v96, v93
.LBB39_206:                             ;   in Loop: Header=BB39_2 Depth=1
	s_or_b64 exec, exec, s[20:21]
	v_add_u32_e32 v99, 1, v95
	v_add_u32_e32 v98, 1, v94
	v_cndmask_b32_e64 v99, v99, v95, s[18:19]
	v_cndmask_b32_e64 v98, v94, v98, s[18:19]
	v_cmp_ge_i32_e64 s[22:23], v99, v46
	s_waitcnt lgkmcnt(0)
	v_cmp_lt_i32_e64 s[24:25], v97, v96
	v_cmp_lt_i32_e64 s[20:21], v98, v47
	s_or_b64 s[22:23], s[22:23], s[24:25]
	s_and_b64 s[20:21], s[20:21], s[22:23]
	s_xor_b64 s[22:23], s[20:21], -1
                                        ; implicit-def: $vgpr100
	s_and_saveexec_b64 s[24:25], s[22:23]
	s_xor_b64 s[22:23], exec, s[24:25]
	s_cbranch_execz .LBB39_208
; %bb.207:                              ;   in Loop: Header=BB39_2 Depth=1
	v_lshlrev_b32_e32 v100, 2, v99
	ds_read_b32 v100, v100 offset:4
.LBB39_208:                             ;   in Loop: Header=BB39_2 Depth=1
	s_or_saveexec_b64 s[22:23], s[22:23]
	v_mov_b32_e32 v101, v97
	s_xor_b64 exec, exec, s[22:23]
	s_cbranch_execz .LBB39_210
; %bb.209:                              ;   in Loop: Header=BB39_2 Depth=1
	s_waitcnt lgkmcnt(0)
	v_lshlrev_b32_e32 v100, 2, v98
	ds_read_b32 v101, v100 offset:4
	v_mov_b32_e32 v100, v96
.LBB39_210:                             ;   in Loop: Header=BB39_2 Depth=1
	s_or_b64 exec, exec, s[22:23]
	v_add_u32_e32 v103, 1, v99
	v_add_u32_e32 v102, 1, v98
	v_cndmask_b32_e64 v103, v103, v99, s[20:21]
	v_cndmask_b32_e64 v102, v98, v102, s[20:21]
	v_cmp_ge_i32_e64 s[24:25], v103, v46
	s_waitcnt lgkmcnt(0)
	v_cmp_lt_i32_e64 s[26:27], v101, v100
	v_cmp_lt_i32_e64 s[22:23], v102, v47
	s_or_b64 s[24:25], s[24:25], s[26:27]
	s_and_b64 s[22:23], s[22:23], s[24:25]
	s_xor_b64 s[24:25], s[22:23], -1
                                        ; implicit-def: $vgpr104
	s_and_saveexec_b64 s[26:27], s[24:25]
	s_xor_b64 s[24:25], exec, s[26:27]
	s_cbranch_execz .LBB39_212
; %bb.211:                              ;   in Loop: Header=BB39_2 Depth=1
	v_lshlrev_b32_e32 v104, 2, v103
	ds_read_b32 v104, v104 offset:4
.LBB39_212:                             ;   in Loop: Header=BB39_2 Depth=1
	s_or_saveexec_b64 s[24:25], s[24:25]
	v_mov_b32_e32 v105, v101
	s_xor_b64 exec, exec, s[24:25]
	s_cbranch_execz .LBB39_214
; %bb.213:                              ;   in Loop: Header=BB39_2 Depth=1
	s_waitcnt lgkmcnt(0)
	v_lshlrev_b32_e32 v104, 2, v102
	ds_read_b32 v105, v104 offset:4
	v_mov_b32_e32 v104, v100
.LBB39_214:                             ;   in Loop: Header=BB39_2 Depth=1
	s_or_b64 exec, exec, s[24:25]
	v_add_u32_e32 v107, 1, v103
	v_add_u32_e32 v106, 1, v102
	v_cndmask_b32_e64 v107, v107, v103, s[22:23]
	v_cndmask_b32_e64 v106, v102, v106, s[22:23]
	v_cmp_ge_i32_e64 s[26:27], v107, v46
	s_waitcnt lgkmcnt(0)
	v_cmp_lt_i32_e64 s[28:29], v105, v104
	v_cmp_lt_i32_e64 s[24:25], v106, v47
	s_or_b64 s[26:27], s[26:27], s[28:29]
	s_and_b64 s[24:25], s[24:25], s[26:27]
	s_xor_b64 s[26:27], s[24:25], -1
                                        ; implicit-def: $vgpr108
	s_and_saveexec_b64 s[28:29], s[26:27]
	s_xor_b64 s[26:27], exec, s[28:29]
	s_cbranch_execz .LBB39_216
; %bb.215:                              ;   in Loop: Header=BB39_2 Depth=1
	v_lshlrev_b32_e32 v108, 2, v107
	ds_read_b32 v108, v108 offset:4
.LBB39_216:                             ;   in Loop: Header=BB39_2 Depth=1
	s_or_saveexec_b64 s[26:27], s[26:27]
	v_mov_b32_e32 v109, v105
	s_xor_b64 exec, exec, s[26:27]
	s_cbranch_execz .LBB39_218
; %bb.217:                              ;   in Loop: Header=BB39_2 Depth=1
	s_waitcnt lgkmcnt(0)
	v_lshlrev_b32_e32 v108, 2, v106
	ds_read_b32 v109, v108 offset:4
	v_mov_b32_e32 v108, v104
.LBB39_218:                             ;   in Loop: Header=BB39_2 Depth=1
	s_or_b64 exec, exec, s[26:27]
	v_add_u32_e32 v111, 1, v107
	v_add_u32_e32 v110, 1, v106
	v_cndmask_b32_e64 v111, v111, v107, s[24:25]
	v_cndmask_b32_e64 v110, v106, v110, s[24:25]
	v_cmp_ge_i32_e64 s[28:29], v111, v46
	s_waitcnt lgkmcnt(0)
	v_cmp_lt_i32_e64 s[30:31], v109, v108
	v_cmp_lt_i32_e64 s[26:27], v110, v47
	s_or_b64 s[28:29], s[28:29], s[30:31]
	s_and_b64 s[26:27], s[26:27], s[28:29]
	s_xor_b64 s[28:29], s[26:27], -1
                                        ; implicit-def: $vgpr112
	s_and_saveexec_b64 s[30:31], s[28:29]
	s_xor_b64 s[28:29], exec, s[30:31]
	s_cbranch_execz .LBB39_220
; %bb.219:                              ;   in Loop: Header=BB39_2 Depth=1
	v_lshlrev_b32_e32 v112, 2, v111
	ds_read_b32 v112, v112 offset:4
.LBB39_220:                             ;   in Loop: Header=BB39_2 Depth=1
	s_or_saveexec_b64 s[28:29], s[28:29]
	v_mov_b32_e32 v113, v109
	s_xor_b64 exec, exec, s[28:29]
	s_cbranch_execz .LBB39_222
; %bb.221:                              ;   in Loop: Header=BB39_2 Depth=1
	s_waitcnt lgkmcnt(0)
	v_lshlrev_b32_e32 v112, 2, v110
	ds_read_b32 v113, v112 offset:4
	v_mov_b32_e32 v112, v108
.LBB39_222:                             ;   in Loop: Header=BB39_2 Depth=1
	s_or_b64 exec, exec, s[28:29]
	v_add_u32_e32 v116, 1, v111
	v_add_u32_e32 v114, 1, v110
	v_cndmask_b32_e64 v116, v116, v111, s[26:27]
	v_cndmask_b32_e64 v115, v110, v114, s[26:27]
	v_cmp_ge_i32_e64 s[30:31], v116, v46
	s_waitcnt lgkmcnt(0)
	v_cmp_lt_i32_e64 s[34:35], v113, v112
	v_cmp_lt_i32_e64 s[28:29], v115, v47
	s_or_b64 s[30:31], s[30:31], s[34:35]
	s_and_b64 s[28:29], s[28:29], s[30:31]
	s_xor_b64 s[30:31], s[28:29], -1
                                        ; implicit-def: $vgpr114
	s_and_saveexec_b64 s[34:35], s[30:31]
	s_xor_b64 s[30:31], exec, s[34:35]
	s_cbranch_execz .LBB39_224
; %bb.223:                              ;   in Loop: Header=BB39_2 Depth=1
	v_lshlrev_b32_e32 v114, 2, v116
	ds_read_b32 v114, v114 offset:4
.LBB39_224:                             ;   in Loop: Header=BB39_2 Depth=1
	s_or_saveexec_b64 s[30:31], s[30:31]
	v_mov_b32_e32 v117, v113
	s_xor_b64 exec, exec, s[30:31]
	s_cbranch_execz .LBB39_226
; %bb.225:                              ;   in Loop: Header=BB39_2 Depth=1
	s_waitcnt lgkmcnt(0)
	v_lshlrev_b32_e32 v114, 2, v115
	ds_read_b32 v117, v114 offset:4
	v_mov_b32_e32 v114, v112
.LBB39_226:                             ;   in Loop: Header=BB39_2 Depth=1
	s_or_b64 exec, exec, s[30:31]
	v_add_u32_e32 v118, 1, v116
	v_cndmask_b32_e64 v112, v112, v113, s[28:29]
	v_add_u32_e32 v113, 1, v115
	v_cndmask_b32_e64 v118, v118, v116, s[28:29]
	v_cndmask_b32_e64 v113, v115, v113, s[28:29]
	;; [unrolled: 1-line block ×6, first 2 shown]
	v_cmp_ge_i32_e64 s[18:19], v118, v46
	s_waitcnt lgkmcnt(0)
	v_cmp_lt_i32_e64 s[20:21], v117, v114
	v_cndmask_b32_e64 v89, v89, v91, s[16:17]
	v_cndmask_b32_e64 v88, v90, v88, s[16:17]
	v_cmp_lt_i32_e64 s[16:17], v113, v47
	s_or_b64 s[18:19], s[18:19], s[20:21]
	s_and_b64 s[16:17], s[16:17], s[18:19]
	v_cndmask_b32_e64 v115, v116, v115, s[28:29]
	v_cndmask_b32_e64 v108, v108, v109, s[26:27]
	;; [unrolled: 1-line block ×8, first 2 shown]
	s_barrier
	ds_write2_b32 v2, v80, v81 offset1:1
	ds_write2_b32 v2, v82, v83 offset0:2 offset1:3
	ds_write2_b32 v2, v84, v85 offset0:4 offset1:5
	;; [unrolled: 1-line block ×3, first 2 shown]
	v_lshlrev_b32_e32 v80, 2, v88
	v_lshlrev_b32_e32 v81, 2, v93
	;; [unrolled: 1-line block ×8, first 2 shown]
	s_waitcnt lgkmcnt(0)
	s_barrier
	ds_read_b32 v80, v80
	ds_read_b32 v81, v81
	;; [unrolled: 1-line block ×8, first 2 shown]
	v_cndmask_b32_e64 v90, v114, v117, s[16:17]
	s_waitcnt lgkmcnt(0)
	s_barrier
	ds_write2_b32 v2, v89, v92 offset1:1
	ds_write2_b32 v2, v96, v100 offset0:2 offset1:3
	ds_write2_b32 v2, v104, v108 offset0:4 offset1:5
	;; [unrolled: 1-line block ×3, first 2 shown]
	v_mov_b32_e32 v90, v55
	s_waitcnt lgkmcnt(0)
	s_barrier
	s_and_saveexec_b64 s[18:19], s[12:13]
	s_cbranch_execz .LBB39_230
; %bb.227:                              ;   in Loop: Header=BB39_2 Depth=1
	s_mov_b64 s[20:21], 0
	v_mov_b32_e32 v90, v55
	v_mov_b32_e32 v88, v56
.LBB39_228:                             ;   Parent Loop BB39_2 Depth=1
                                        ; =>  This Inner Loop Header: Depth=2
	v_sub_u32_e32 v89, v88, v90
	v_lshrrev_b32_e32 v91, 31, v89
	v_add_u32_e32 v89, v89, v91
	v_ashrrev_i32_e32 v89, 1, v89
	v_add_u32_e32 v89, v89, v90
	v_xad_u32 v92, v89, -1, v52
	v_lshl_add_u32 v91, v89, 2, v75
	v_lshl_add_u32 v92, v92, 2, v76
	ds_read_b32 v91, v91
	ds_read_b32 v92, v92
	v_add_u32_e32 v93, 1, v89
	s_waitcnt lgkmcnt(0)
	v_cmp_lt_i32_e64 s[16:17], v92, v91
	s_nop 1
	v_cndmask_b32_e64 v88, v88, v89, s[16:17]
	v_cndmask_b32_e64 v90, v93, v90, s[16:17]
	v_cmp_ge_i32_e64 s[16:17], v90, v88
	s_or_b64 s[20:21], s[16:17], s[20:21]
	s_andn2_b64 exec, exec, s[20:21]
	s_cbranch_execnz .LBB39_228
; %bb.229:                              ;   in Loop: Header=BB39_2 Depth=1
	s_or_b64 exec, exec, s[20:21]
.LBB39_230:                             ;   in Loop: Header=BB39_2 Depth=1
	s_or_b64 exec, exec, s[18:19]
	v_sub_u32_e32 v88, v77, v90
	v_lshl_add_u32 v95, v90, 2, v75
	v_lshlrev_b32_e32 v94, 2, v88
	ds_read_b32 v89, v95
	ds_read_b32 v91, v94
	v_add_u32_e32 v90, v90, v51
	v_cmp_le_i32_e64 s[18:19], v53, v90
	v_cmp_gt_i32_e64 s[16:17], v54, v88
                                        ; implicit-def: $vgpr92
                                        ; implicit-def: $vgpr93
	s_waitcnt lgkmcnt(0)
	v_cmp_lt_i32_e64 s[20:21], v91, v89
	s_or_b64 s[18:19], s[18:19], s[20:21]
	s_and_b64 s[16:17], s[16:17], s[18:19]
	s_xor_b64 s[18:19], s[16:17], -1
	s_and_saveexec_b64 s[20:21], s[18:19]
	s_xor_b64 s[18:19], exec, s[20:21]
	s_cbranch_execz .LBB39_232
; %bb.231:                              ;   in Loop: Header=BB39_2 Depth=1
	ds_read_b32 v93, v95 offset:4
	v_mov_b32_e32 v92, v91
                                        ; implicit-def: $vgpr94
.LBB39_232:                             ;   in Loop: Header=BB39_2 Depth=1
	s_andn2_saveexec_b64 s[18:19], s[18:19]
	s_cbranch_execz .LBB39_234
; %bb.233:                              ;   in Loop: Header=BB39_2 Depth=1
	ds_read_b32 v92, v94 offset:4
	s_waitcnt lgkmcnt(1)
	v_mov_b32_e32 v93, v89
.LBB39_234:                             ;   in Loop: Header=BB39_2 Depth=1
	s_or_b64 exec, exec, s[18:19]
	v_add_u32_e32 v95, 1, v90
	v_add_u32_e32 v94, 1, v88
	v_cndmask_b32_e64 v95, v95, v90, s[16:17]
	v_cndmask_b32_e64 v94, v88, v94, s[16:17]
	v_cmp_ge_i32_e64 s[20:21], v95, v53
	s_waitcnt lgkmcnt(0)
	v_cmp_lt_i32_e64 s[22:23], v92, v93
	v_cmp_lt_i32_e64 s[18:19], v94, v54
	s_or_b64 s[20:21], s[20:21], s[22:23]
	s_and_b64 s[18:19], s[18:19], s[20:21]
	s_xor_b64 s[20:21], s[18:19], -1
                                        ; implicit-def: $vgpr96
	s_and_saveexec_b64 s[22:23], s[20:21]
	s_xor_b64 s[20:21], exec, s[22:23]
	s_cbranch_execz .LBB39_236
; %bb.235:                              ;   in Loop: Header=BB39_2 Depth=1
	v_lshlrev_b32_e32 v96, 2, v95
	ds_read_b32 v96, v96 offset:4
.LBB39_236:                             ;   in Loop: Header=BB39_2 Depth=1
	s_or_saveexec_b64 s[20:21], s[20:21]
	v_mov_b32_e32 v97, v92
	s_xor_b64 exec, exec, s[20:21]
	s_cbranch_execz .LBB39_238
; %bb.237:                              ;   in Loop: Header=BB39_2 Depth=1
	s_waitcnt lgkmcnt(0)
	v_lshlrev_b32_e32 v96, 2, v94
	ds_read_b32 v97, v96 offset:4
	v_mov_b32_e32 v96, v93
.LBB39_238:                             ;   in Loop: Header=BB39_2 Depth=1
	s_or_b64 exec, exec, s[20:21]
	v_add_u32_e32 v99, 1, v95
	v_add_u32_e32 v98, 1, v94
	v_cndmask_b32_e64 v99, v99, v95, s[18:19]
	v_cndmask_b32_e64 v98, v94, v98, s[18:19]
	v_cmp_ge_i32_e64 s[22:23], v99, v53
	s_waitcnt lgkmcnt(0)
	v_cmp_lt_i32_e64 s[24:25], v97, v96
	v_cmp_lt_i32_e64 s[20:21], v98, v54
	s_or_b64 s[22:23], s[22:23], s[24:25]
	s_and_b64 s[20:21], s[20:21], s[22:23]
	s_xor_b64 s[22:23], s[20:21], -1
                                        ; implicit-def: $vgpr100
	s_and_saveexec_b64 s[24:25], s[22:23]
	s_xor_b64 s[22:23], exec, s[24:25]
	s_cbranch_execz .LBB39_240
; %bb.239:                              ;   in Loop: Header=BB39_2 Depth=1
	v_lshlrev_b32_e32 v100, 2, v99
	ds_read_b32 v100, v100 offset:4
.LBB39_240:                             ;   in Loop: Header=BB39_2 Depth=1
	s_or_saveexec_b64 s[22:23], s[22:23]
	v_mov_b32_e32 v101, v97
	s_xor_b64 exec, exec, s[22:23]
	s_cbranch_execz .LBB39_242
; %bb.241:                              ;   in Loop: Header=BB39_2 Depth=1
	s_waitcnt lgkmcnt(0)
	v_lshlrev_b32_e32 v100, 2, v98
	ds_read_b32 v101, v100 offset:4
	v_mov_b32_e32 v100, v96
.LBB39_242:                             ;   in Loop: Header=BB39_2 Depth=1
	s_or_b64 exec, exec, s[22:23]
	v_add_u32_e32 v103, 1, v99
	v_add_u32_e32 v102, 1, v98
	v_cndmask_b32_e64 v103, v103, v99, s[20:21]
	v_cndmask_b32_e64 v102, v98, v102, s[20:21]
	v_cmp_ge_i32_e64 s[24:25], v103, v53
	s_waitcnt lgkmcnt(0)
	v_cmp_lt_i32_e64 s[26:27], v101, v100
	v_cmp_lt_i32_e64 s[22:23], v102, v54
	s_or_b64 s[24:25], s[24:25], s[26:27]
	s_and_b64 s[22:23], s[22:23], s[24:25]
	s_xor_b64 s[24:25], s[22:23], -1
                                        ; implicit-def: $vgpr104
	s_and_saveexec_b64 s[26:27], s[24:25]
	s_xor_b64 s[24:25], exec, s[26:27]
	s_cbranch_execz .LBB39_244
; %bb.243:                              ;   in Loop: Header=BB39_2 Depth=1
	v_lshlrev_b32_e32 v104, 2, v103
	ds_read_b32 v104, v104 offset:4
.LBB39_244:                             ;   in Loop: Header=BB39_2 Depth=1
	s_or_saveexec_b64 s[24:25], s[24:25]
	v_mov_b32_e32 v105, v101
	s_xor_b64 exec, exec, s[24:25]
	s_cbranch_execz .LBB39_246
; %bb.245:                              ;   in Loop: Header=BB39_2 Depth=1
	s_waitcnt lgkmcnt(0)
	v_lshlrev_b32_e32 v104, 2, v102
	ds_read_b32 v105, v104 offset:4
	v_mov_b32_e32 v104, v100
.LBB39_246:                             ;   in Loop: Header=BB39_2 Depth=1
	s_or_b64 exec, exec, s[24:25]
	v_add_u32_e32 v107, 1, v103
	v_add_u32_e32 v106, 1, v102
	v_cndmask_b32_e64 v107, v107, v103, s[22:23]
	v_cndmask_b32_e64 v106, v102, v106, s[22:23]
	v_cmp_ge_i32_e64 s[26:27], v107, v53
	s_waitcnt lgkmcnt(0)
	v_cmp_lt_i32_e64 s[28:29], v105, v104
	v_cmp_lt_i32_e64 s[24:25], v106, v54
	s_or_b64 s[26:27], s[26:27], s[28:29]
	s_and_b64 s[24:25], s[24:25], s[26:27]
	s_xor_b64 s[26:27], s[24:25], -1
                                        ; implicit-def: $vgpr108
	s_and_saveexec_b64 s[28:29], s[26:27]
	s_xor_b64 s[26:27], exec, s[28:29]
	s_cbranch_execz .LBB39_248
; %bb.247:                              ;   in Loop: Header=BB39_2 Depth=1
	v_lshlrev_b32_e32 v108, 2, v107
	ds_read_b32 v108, v108 offset:4
.LBB39_248:                             ;   in Loop: Header=BB39_2 Depth=1
	s_or_saveexec_b64 s[26:27], s[26:27]
	v_mov_b32_e32 v109, v105
	s_xor_b64 exec, exec, s[26:27]
	s_cbranch_execz .LBB39_250
; %bb.249:                              ;   in Loop: Header=BB39_2 Depth=1
	s_waitcnt lgkmcnt(0)
	v_lshlrev_b32_e32 v108, 2, v106
	ds_read_b32 v109, v108 offset:4
	v_mov_b32_e32 v108, v104
.LBB39_250:                             ;   in Loop: Header=BB39_2 Depth=1
	s_or_b64 exec, exec, s[26:27]
	v_add_u32_e32 v111, 1, v107
	v_add_u32_e32 v110, 1, v106
	v_cndmask_b32_e64 v111, v111, v107, s[24:25]
	v_cndmask_b32_e64 v110, v106, v110, s[24:25]
	v_cmp_ge_i32_e64 s[28:29], v111, v53
	s_waitcnt lgkmcnt(0)
	v_cmp_lt_i32_e64 s[30:31], v109, v108
	v_cmp_lt_i32_e64 s[26:27], v110, v54
	s_or_b64 s[28:29], s[28:29], s[30:31]
	s_and_b64 s[26:27], s[26:27], s[28:29]
	s_xor_b64 s[28:29], s[26:27], -1
                                        ; implicit-def: $vgpr112
	s_and_saveexec_b64 s[30:31], s[28:29]
	s_xor_b64 s[28:29], exec, s[30:31]
	s_cbranch_execz .LBB39_252
; %bb.251:                              ;   in Loop: Header=BB39_2 Depth=1
	v_lshlrev_b32_e32 v112, 2, v111
	ds_read_b32 v112, v112 offset:4
.LBB39_252:                             ;   in Loop: Header=BB39_2 Depth=1
	s_or_saveexec_b64 s[28:29], s[28:29]
	v_mov_b32_e32 v113, v109
	s_xor_b64 exec, exec, s[28:29]
	s_cbranch_execz .LBB39_254
; %bb.253:                              ;   in Loop: Header=BB39_2 Depth=1
	s_waitcnt lgkmcnt(0)
	v_lshlrev_b32_e32 v112, 2, v110
	ds_read_b32 v113, v112 offset:4
	v_mov_b32_e32 v112, v108
.LBB39_254:                             ;   in Loop: Header=BB39_2 Depth=1
	s_or_b64 exec, exec, s[28:29]
	v_add_u32_e32 v116, 1, v111
	v_add_u32_e32 v114, 1, v110
	v_cndmask_b32_e64 v116, v116, v111, s[26:27]
	v_cndmask_b32_e64 v115, v110, v114, s[26:27]
	v_cmp_ge_i32_e64 s[30:31], v116, v53
	s_waitcnt lgkmcnt(0)
	v_cmp_lt_i32_e64 s[34:35], v113, v112
	v_cmp_lt_i32_e64 s[28:29], v115, v54
	s_or_b64 s[30:31], s[30:31], s[34:35]
	s_and_b64 s[28:29], s[28:29], s[30:31]
	s_xor_b64 s[30:31], s[28:29], -1
                                        ; implicit-def: $vgpr114
	s_and_saveexec_b64 s[34:35], s[30:31]
	s_xor_b64 s[30:31], exec, s[34:35]
	s_cbranch_execz .LBB39_256
; %bb.255:                              ;   in Loop: Header=BB39_2 Depth=1
	v_lshlrev_b32_e32 v114, 2, v116
	ds_read_b32 v114, v114 offset:4
.LBB39_256:                             ;   in Loop: Header=BB39_2 Depth=1
	s_or_saveexec_b64 s[30:31], s[30:31]
	v_mov_b32_e32 v117, v113
	s_xor_b64 exec, exec, s[30:31]
	s_cbranch_execz .LBB39_258
; %bb.257:                              ;   in Loop: Header=BB39_2 Depth=1
	s_waitcnt lgkmcnt(0)
	v_lshlrev_b32_e32 v114, 2, v115
	ds_read_b32 v117, v114 offset:4
	v_mov_b32_e32 v114, v112
.LBB39_258:                             ;   in Loop: Header=BB39_2 Depth=1
	s_or_b64 exec, exec, s[30:31]
	v_add_u32_e32 v118, 1, v116
	v_cndmask_b32_e64 v112, v112, v113, s[28:29]
	v_add_u32_e32 v113, 1, v115
	v_cndmask_b32_e64 v118, v118, v116, s[28:29]
	v_cndmask_b32_e64 v113, v115, v113, s[28:29]
	;; [unrolled: 1-line block ×6, first 2 shown]
	v_cmp_ge_i32_e64 s[18:19], v118, v53
	s_waitcnt lgkmcnt(0)
	v_cmp_lt_i32_e64 s[20:21], v117, v114
	v_cndmask_b32_e64 v89, v89, v91, s[16:17]
	v_cndmask_b32_e64 v88, v90, v88, s[16:17]
	v_cmp_lt_i32_e64 s[16:17], v113, v54
	s_or_b64 s[18:19], s[18:19], s[20:21]
	s_and_b64 s[16:17], s[16:17], s[18:19]
	v_cndmask_b32_e64 v115, v116, v115, s[28:29]
	v_cndmask_b32_e64 v108, v108, v109, s[26:27]
	v_cndmask_b32_e64 v109, v111, v110, s[26:27]
	v_cndmask_b32_e64 v104, v104, v105, s[24:25]
	v_cndmask_b32_e64 v105, v107, v106, s[24:25]
	v_cndmask_b32_e64 v100, v100, v101, s[22:23]
	v_cndmask_b32_e64 v101, v103, v102, s[22:23]
	v_cndmask_b32_e64 v91, v118, v113, s[16:17]
	s_barrier
	ds_write2_b32 v2, v80, v81 offset1:1
	ds_write2_b32 v2, v82, v83 offset0:2 offset1:3
	ds_write2_b32 v2, v84, v85 offset0:4 offset1:5
	;; [unrolled: 1-line block ×3, first 2 shown]
	v_lshlrev_b32_e32 v80, 2, v88
	v_lshlrev_b32_e32 v81, 2, v93
	;; [unrolled: 1-line block ×8, first 2 shown]
	s_waitcnt lgkmcnt(0)
	s_barrier
	ds_read_b32 v80, v80
	ds_read_b32 v81, v81
	;; [unrolled: 1-line block ×8, first 2 shown]
	v_mov_b32_e32 v88, v57
	v_cndmask_b32_e64 v90, v114, v117, s[16:17]
	s_waitcnt lgkmcnt(0)
	s_barrier
	ds_write2_b32 v2, v89, v92 offset1:1
	ds_write2_b32 v2, v96, v100 offset0:2 offset1:3
	ds_write2_b32 v2, v104, v108 offset0:4 offset1:5
	;; [unrolled: 1-line block ×3, first 2 shown]
	s_waitcnt lgkmcnt(0)
	s_barrier
	s_and_saveexec_b64 s[18:19], s[14:15]
	s_cbranch_execz .LBB39_262
; %bb.259:                              ;   in Loop: Header=BB39_2 Depth=1
	s_mov_b64 s[20:21], 0
	v_mov_b32_e32 v88, v57
	v_mov_b32_e32 v89, v58
.LBB39_260:                             ;   Parent Loop BB39_2 Depth=1
                                        ; =>  This Inner Loop Header: Depth=2
	v_sub_u32_e32 v90, v89, v88
	v_lshrrev_b32_e32 v91, 31, v90
	v_add_u32_e32 v90, v90, v91
	v_ashrrev_i32_e32 v90, 1, v90
	v_add_u32_e32 v90, v90, v88
	v_xad_u32 v92, v90, -1, v1
	v_lshlrev_b32_e32 v91, 2, v90
	v_lshl_add_u32 v92, v92, 2, v78
	ds_read_b32 v91, v91
	ds_read_b32 v92, v92
	v_add_u32_e32 v93, 1, v90
	s_waitcnt lgkmcnt(0)
	v_cmp_lt_i32_e64 s[16:17], v92, v91
	s_nop 1
	v_cndmask_b32_e64 v89, v89, v90, s[16:17]
	v_cndmask_b32_e64 v88, v93, v88, s[16:17]
	v_cmp_ge_i32_e64 s[16:17], v88, v89
	s_or_b64 s[20:21], s[16:17], s[20:21]
	s_andn2_b64 exec, exec, s[20:21]
	s_cbranch_execnz .LBB39_260
; %bb.261:                              ;   in Loop: Header=BB39_2 Depth=1
	s_or_b64 exec, exec, s[20:21]
.LBB39_262:                             ;   in Loop: Header=BB39_2 Depth=1
	s_or_b64 exec, exec, s[18:19]
	v_sub_u32_e32 v89, v79, v88
	v_lshlrev_b32_e32 v95, 2, v88
	v_lshlrev_b32_e32 v93, 2, v89
	ds_read_b32 v90, v95
	ds_read_b32 v91, v93
	v_cmp_le_i32_e64 s[18:19], v50, v88
	v_cmp_gt_i32_e64 s[16:17], s33, v89
                                        ; implicit-def: $vgpr92
                                        ; implicit-def: $vgpr94
	s_waitcnt lgkmcnt(0)
	v_cmp_lt_i32_e64 s[20:21], v91, v90
	s_or_b64 s[18:19], s[18:19], s[20:21]
	s_and_b64 s[16:17], s[16:17], s[18:19]
	s_xor_b64 s[18:19], s[16:17], -1
	s_and_saveexec_b64 s[20:21], s[18:19]
	s_xor_b64 s[18:19], exec, s[20:21]
	s_cbranch_execz .LBB39_264
; %bb.263:                              ;   in Loop: Header=BB39_2 Depth=1
	ds_read_b32 v94, v95 offset:4
	v_mov_b32_e32 v92, v91
                                        ; implicit-def: $vgpr93
.LBB39_264:                             ;   in Loop: Header=BB39_2 Depth=1
	s_andn2_saveexec_b64 s[18:19], s[18:19]
	s_cbranch_execz .LBB39_266
; %bb.265:                              ;   in Loop: Header=BB39_2 Depth=1
	ds_read_b32 v92, v93 offset:4
	s_waitcnt lgkmcnt(1)
	v_mov_b32_e32 v94, v90
.LBB39_266:                             ;   in Loop: Header=BB39_2 Depth=1
	s_or_b64 exec, exec, s[18:19]
	v_add_u32_e32 v96, 1, v88
	v_add_u32_e32 v93, 1, v89
	v_cndmask_b32_e64 v96, v96, v88, s[16:17]
	v_cndmask_b32_e64 v95, v89, v93, s[16:17]
	v_cmp_ge_i32_e64 s[20:21], v96, v50
	s_waitcnt lgkmcnt(0)
	v_cmp_lt_i32_e64 s[22:23], v92, v94
	v_cmp_gt_i32_e64 s[18:19], s33, v95
	s_or_b64 s[20:21], s[20:21], s[22:23]
	s_and_b64 s[18:19], s[18:19], s[20:21]
	s_xor_b64 s[20:21], s[18:19], -1
                                        ; implicit-def: $vgpr97
	s_and_saveexec_b64 s[22:23], s[20:21]
	s_xor_b64 s[20:21], exec, s[22:23]
	s_cbranch_execz .LBB39_268
; %bb.267:                              ;   in Loop: Header=BB39_2 Depth=1
	v_lshlrev_b32_e32 v93, 2, v96
	ds_read_b32 v97, v93 offset:4
.LBB39_268:                             ;   in Loop: Header=BB39_2 Depth=1
	s_or_saveexec_b64 s[20:21], s[20:21]
	v_mov_b32_e32 v98, v92
	s_xor_b64 exec, exec, s[20:21]
	s_cbranch_execz .LBB39_270
; %bb.269:                              ;   in Loop: Header=BB39_2 Depth=1
	v_lshlrev_b32_e32 v93, 2, v95
	ds_read_b32 v98, v93 offset:4
	s_waitcnt lgkmcnt(1)
	v_mov_b32_e32 v97, v94
.LBB39_270:                             ;   in Loop: Header=BB39_2 Depth=1
	s_or_b64 exec, exec, s[20:21]
	v_add_u32_e32 v100, 1, v96
	v_add_u32_e32 v93, 1, v95
	v_cndmask_b32_e64 v100, v100, v96, s[18:19]
	v_cndmask_b32_e64 v99, v95, v93, s[18:19]
	v_cmp_ge_i32_e64 s[22:23], v100, v50
	s_waitcnt lgkmcnt(0)
	v_cmp_lt_i32_e64 s[24:25], v98, v97
	v_cmp_gt_i32_e64 s[20:21], s33, v99
	s_or_b64 s[22:23], s[22:23], s[24:25]
	s_and_b64 s[20:21], s[20:21], s[22:23]
	s_xor_b64 s[22:23], s[20:21], -1
                                        ; implicit-def: $vgpr101
	s_and_saveexec_b64 s[24:25], s[22:23]
	s_xor_b64 s[22:23], exec, s[24:25]
	s_cbranch_execz .LBB39_272
; %bb.271:                              ;   in Loop: Header=BB39_2 Depth=1
	v_lshlrev_b32_e32 v93, 2, v100
	ds_read_b32 v101, v93 offset:4
.LBB39_272:                             ;   in Loop: Header=BB39_2 Depth=1
	s_or_saveexec_b64 s[22:23], s[22:23]
	v_mov_b32_e32 v102, v98
	s_xor_b64 exec, exec, s[22:23]
	s_cbranch_execz .LBB39_274
; %bb.273:                              ;   in Loop: Header=BB39_2 Depth=1
	v_lshlrev_b32_e32 v93, 2, v99
	ds_read_b32 v102, v93 offset:4
	s_waitcnt lgkmcnt(1)
	v_mov_b32_e32 v101, v97
.LBB39_274:                             ;   in Loop: Header=BB39_2 Depth=1
	s_or_b64 exec, exec, s[22:23]
	v_add_u32_e32 v104, 1, v100
	v_add_u32_e32 v93, 1, v99
	v_cndmask_b32_e64 v104, v104, v100, s[20:21]
	v_cndmask_b32_e64 v103, v99, v93, s[20:21]
	v_cmp_ge_i32_e64 s[24:25], v104, v50
	s_waitcnt lgkmcnt(0)
	v_cmp_lt_i32_e64 s[26:27], v102, v101
	v_cmp_gt_i32_e64 s[22:23], s33, v103
	s_or_b64 s[24:25], s[24:25], s[26:27]
	s_and_b64 s[22:23], s[22:23], s[24:25]
	s_xor_b64 s[24:25], s[22:23], -1
                                        ; implicit-def: $vgpr106
	s_and_saveexec_b64 s[26:27], s[24:25]
	s_xor_b64 s[24:25], exec, s[26:27]
	s_cbranch_execz .LBB39_276
; %bb.275:                              ;   in Loop: Header=BB39_2 Depth=1
	v_lshlrev_b32_e32 v93, 2, v104
	ds_read_b32 v106, v93 offset:4
.LBB39_276:                             ;   in Loop: Header=BB39_2 Depth=1
	s_or_saveexec_b64 s[24:25], s[24:25]
	v_mov_b32_e32 v108, v102
	s_xor_b64 exec, exec, s[24:25]
	s_cbranch_execz .LBB39_278
; %bb.277:                              ;   in Loop: Header=BB39_2 Depth=1
	v_lshlrev_b32_e32 v93, 2, v103
	ds_read_b32 v108, v93 offset:4
	s_waitcnt lgkmcnt(1)
	v_mov_b32_e32 v106, v101
.LBB39_278:                             ;   in Loop: Header=BB39_2 Depth=1
	s_or_b64 exec, exec, s[24:25]
	v_add_u32_e32 v105, 1, v104
	v_add_u32_e32 v93, 1, v103
	v_cndmask_b32_e64 v110, v105, v104, s[22:23]
	v_cndmask_b32_e64 v109, v103, v93, s[22:23]
	v_cmp_ge_i32_e64 s[26:27], v110, v50
	s_waitcnt lgkmcnt(0)
	v_cmp_lt_i32_e64 s[28:29], v108, v106
	v_cmp_gt_i32_e64 s[24:25], s33, v109
	s_or_b64 s[26:27], s[26:27], s[28:29]
	s_and_b64 s[26:27], s[24:25], s[26:27]
	s_xor_b64 s[24:25], s[26:27], -1
                                        ; implicit-def: $vgpr105
	s_and_saveexec_b64 s[28:29], s[24:25]
	s_xor_b64 s[24:25], exec, s[28:29]
	s_cbranch_execz .LBB39_280
; %bb.279:                              ;   in Loop: Header=BB39_2 Depth=1
	v_lshlrev_b32_e32 v93, 2, v110
	ds_read_b32 v105, v93 offset:4
.LBB39_280:                             ;   in Loop: Header=BB39_2 Depth=1
	s_or_saveexec_b64 s[24:25], s[24:25]
	v_mov_b32_e32 v107, v108
	s_xor_b64 exec, exec, s[24:25]
	s_cbranch_execz .LBB39_282
; %bb.281:                              ;   in Loop: Header=BB39_2 Depth=1
	v_lshlrev_b32_e32 v93, 2, v109
	ds_read_b32 v107, v93 offset:4
	s_waitcnt lgkmcnt(1)
	v_mov_b32_e32 v105, v106
.LBB39_282:                             ;   in Loop: Header=BB39_2 Depth=1
	s_or_b64 exec, exec, s[24:25]
	v_add_u32_e32 v111, 1, v110
	v_add_u32_e32 v93, 1, v109
	v_cndmask_b32_e64 v114, v111, v110, s[26:27]
	v_cndmask_b32_e64 v113, v109, v93, s[26:27]
	v_cmp_ge_i32_e64 s[28:29], v114, v50
	s_waitcnt lgkmcnt(0)
	v_cmp_lt_i32_e64 s[30:31], v107, v105
	v_cmp_gt_i32_e64 s[24:25], s33, v113
	s_or_b64 s[28:29], s[28:29], s[30:31]
	s_and_b64 s[24:25], s[24:25], s[28:29]
	s_xor_b64 s[28:29], s[24:25], -1
                                        ; implicit-def: $vgpr111
	s_and_saveexec_b64 s[30:31], s[28:29]
	s_xor_b64 s[28:29], exec, s[30:31]
	s_cbranch_execz .LBB39_284
; %bb.283:                              ;   in Loop: Header=BB39_2 Depth=1
	v_lshlrev_b32_e32 v93, 2, v114
	ds_read_b32 v111, v93 offset:4
.LBB39_284:                             ;   in Loop: Header=BB39_2 Depth=1
	s_or_saveexec_b64 s[28:29], s[28:29]
	v_mov_b32_e32 v112, v107
	s_xor_b64 exec, exec, s[28:29]
	s_cbranch_execz .LBB39_286
; %bb.285:                              ;   in Loop: Header=BB39_2 Depth=1
	v_lshlrev_b32_e32 v93, 2, v113
	ds_read_b32 v112, v93 offset:4
	s_waitcnt lgkmcnt(1)
	v_mov_b32_e32 v111, v105
.LBB39_286:                             ;   in Loop: Header=BB39_2 Depth=1
	s_or_b64 exec, exec, s[28:29]
	v_add_u32_e32 v93, 1, v113
	v_add_u32_e32 v116, 1, v114
	v_cndmask_b32_e64 v115, v113, v93, s[24:25]
	v_cndmask_b32_e64 v93, v116, v114, s[24:25]
	v_cmp_ge_i32_e64 s[30:31], v93, v50
	s_waitcnt lgkmcnt(0)
	v_cmp_lt_i32_e64 s[34:35], v112, v111
	v_cmp_gt_i32_e64 s[28:29], s33, v115
	s_or_b64 s[30:31], s[30:31], s[34:35]
	s_and_b64 s[28:29], s[28:29], s[30:31]
	s_xor_b64 s[30:31], s[28:29], -1
                                        ; implicit-def: $vgpr118
                                        ; implicit-def: $vgpr117
	s_and_saveexec_b64 s[34:35], s[30:31]
	s_xor_b64 s[30:31], exec, s[34:35]
	s_cbranch_execz .LBB39_288
; %bb.287:                              ;   in Loop: Header=BB39_2 Depth=1
	v_lshlrev_b32_e32 v116, 2, v93
	ds_read_b32 v118, v116 offset:4
	v_add_u32_e32 v117, 1, v93
.LBB39_288:                             ;   in Loop: Header=BB39_2 Depth=1
	s_or_saveexec_b64 s[30:31], s[30:31]
	v_mov_b32_e32 v116, v93
	v_mov_b32_e32 v119, v112
	s_xor_b64 exec, exec, s[30:31]
	s_cbranch_execz .LBB39_1
; %bb.289:                              ;   in Loop: Header=BB39_2 Depth=1
	v_lshlrev_b32_e32 v116, 2, v115
	ds_read_b32 v119, v116 offset:4
	s_waitcnt lgkmcnt(1)
	v_add_u32_e32 v118, 1, v115
	v_mov_b32_e32 v116, v115
	v_mov_b32_e32 v117, v93
	;; [unrolled: 1-line block ×4, first 2 shown]
	s_branch .LBB39_1
.LBB39_290:
	s_add_u32 s0, s94, s96
	s_waitcnt lgkmcnt(7)
	v_add_u32_e32 v4, v93, v80
	s_addc_u32 s1, s95, s97
	v_lshlrev_b32_e32 v0, 2, v0
	v_mov_b32_e32 v1, 0
	s_waitcnt lgkmcnt(6)
	v_add_u32_e32 v5, v94, v84
	v_lshl_add_u64 v[2:3], s[0:1], 0, v[0:1]
	global_store_dword v0, v4, s[0:1]
	global_store_dword v0, v5, s[0:1] offset:2048
	s_movk_i32 s0, 0x1000
	v_add_co_u32_e32 v0, vcc, s0, v2
	s_waitcnt lgkmcnt(5)
	v_add_u32_e32 v6, v92, v81
	v_addc_co_u32_e32 v1, vcc, 0, v3, vcc
	s_waitcnt lgkmcnt(4)
	v_add_u32_e32 v7, v90, v85
	global_store_dword v[0:1], v6, off
	global_store_dword v[0:1], v7, off offset:2048
	v_add_co_u32_e32 v0, vcc, 0x2000, v2
	s_waitcnt lgkmcnt(3)
	v_add_u32_e32 v8, v91, v82
	v_addc_co_u32_e32 v1, vcc, 0, v3, vcc
	s_waitcnt lgkmcnt(2)
	v_add_u32_e32 v9, v89, v86
	global_store_dword v[0:1], v8, off
	global_store_dword v[0:1], v9, off offset:2048
	;; [unrolled: 8-line block ×3, first 2 shown]
	s_endpgm
	.section	.rodata,"a",@progbits
	.p2align	6, 0x0
	.amdhsa_kernel _Z17sort_pairs_kernelIiLj512ELj8EN10test_utils4lessELj10EEvPKT_PS2_T2_
		.amdhsa_group_segment_fixed_size 16388
		.amdhsa_private_segment_fixed_size 0
		.amdhsa_kernarg_size 20
		.amdhsa_user_sgpr_count 2
		.amdhsa_user_sgpr_dispatch_ptr 0
		.amdhsa_user_sgpr_queue_ptr 0
		.amdhsa_user_sgpr_kernarg_segment_ptr 1
		.amdhsa_user_sgpr_dispatch_id 0
		.amdhsa_user_sgpr_kernarg_preload_length 0
		.amdhsa_user_sgpr_kernarg_preload_offset 0
		.amdhsa_user_sgpr_private_segment_size 0
		.amdhsa_uses_dynamic_stack 0
		.amdhsa_enable_private_segment 0
		.amdhsa_system_sgpr_workgroup_id_x 1
		.amdhsa_system_sgpr_workgroup_id_y 0
		.amdhsa_system_sgpr_workgroup_id_z 0
		.amdhsa_system_sgpr_workgroup_info 0
		.amdhsa_system_vgpr_workitem_id 0
		.amdhsa_next_free_vgpr 120
		.amdhsa_next_free_sgpr 100
		.amdhsa_accum_offset 120
		.amdhsa_reserve_vcc 1
		.amdhsa_float_round_mode_32 0
		.amdhsa_float_round_mode_16_64 0
		.amdhsa_float_denorm_mode_32 3
		.amdhsa_float_denorm_mode_16_64 3
		.amdhsa_dx10_clamp 1
		.amdhsa_ieee_mode 1
		.amdhsa_fp16_overflow 0
		.amdhsa_tg_split 0
		.amdhsa_exception_fp_ieee_invalid_op 0
		.amdhsa_exception_fp_denorm_src 0
		.amdhsa_exception_fp_ieee_div_zero 0
		.amdhsa_exception_fp_ieee_overflow 0
		.amdhsa_exception_fp_ieee_underflow 0
		.amdhsa_exception_fp_ieee_inexact 0
		.amdhsa_exception_int_div_zero 0
	.end_amdhsa_kernel
	.section	.text._Z17sort_pairs_kernelIiLj512ELj8EN10test_utils4lessELj10EEvPKT_PS2_T2_,"axG",@progbits,_Z17sort_pairs_kernelIiLj512ELj8EN10test_utils4lessELj10EEvPKT_PS2_T2_,comdat
.Lfunc_end39:
	.size	_Z17sort_pairs_kernelIiLj512ELj8EN10test_utils4lessELj10EEvPKT_PS2_T2_, .Lfunc_end39-_Z17sort_pairs_kernelIiLj512ELj8EN10test_utils4lessELj10EEvPKT_PS2_T2_
                                        ; -- End function
	.section	.AMDGPU.csdata,"",@progbits
; Kernel info:
; codeLenInByte = 14972
; NumSgprs: 106
; NumVgprs: 120
; NumAgprs: 0
; TotalNumVgprs: 120
; ScratchSize: 0
; MemoryBound: 0
; FloatMode: 240
; IeeeMode: 1
; LDSByteSize: 16388 bytes/workgroup (compile time only)
; SGPRBlocks: 13
; VGPRBlocks: 14
; NumSGPRsForWavesPerEU: 106
; NumVGPRsForWavesPerEU: 120
; AccumOffset: 120
; Occupancy: 4
; WaveLimiterHint : 1
; COMPUTE_PGM_RSRC2:SCRATCH_EN: 0
; COMPUTE_PGM_RSRC2:USER_SGPR: 2
; COMPUTE_PGM_RSRC2:TRAP_HANDLER: 0
; COMPUTE_PGM_RSRC2:TGID_X_EN: 1
; COMPUTE_PGM_RSRC2:TGID_Y_EN: 0
; COMPUTE_PGM_RSRC2:TGID_Z_EN: 0
; COMPUTE_PGM_RSRC2:TIDIG_COMP_CNT: 0
; COMPUTE_PGM_RSRC3_GFX90A:ACCUM_OFFSET: 29
; COMPUTE_PGM_RSRC3_GFX90A:TG_SPLIT: 0
	.section	.text._Z16sort_keys_kernelIaLj64ELj1EN10test_utils4lessELj10EEvPKT_PS2_T2_,"axG",@progbits,_Z16sort_keys_kernelIaLj64ELj1EN10test_utils4lessELj10EEvPKT_PS2_T2_,comdat
	.protected	_Z16sort_keys_kernelIaLj64ELj1EN10test_utils4lessELj10EEvPKT_PS2_T2_ ; -- Begin function _Z16sort_keys_kernelIaLj64ELj1EN10test_utils4lessELj10EEvPKT_PS2_T2_
	.globl	_Z16sort_keys_kernelIaLj64ELj1EN10test_utils4lessELj10EEvPKT_PS2_T2_
	.p2align	8
	.type	_Z16sort_keys_kernelIaLj64ELj1EN10test_utils4lessELj10EEvPKT_PS2_T2_,@function
_Z16sort_keys_kernelIaLj64ELj1EN10test_utils4lessELj10EEvPKT_PS2_T2_: ; @_Z16sort_keys_kernelIaLj64ELj1EN10test_utils4lessELj10EEvPKT_PS2_T2_
; %bb.0:
	s_load_dwordx4 s[12:15], s[0:1], 0x0
	s_lshl_b32 s18, s2, 6
	v_and_b32_e32 v9, 60, v0
	v_and_b32_e32 v17, 56, v0
	;; [unrolled: 1-line block ×3, first 2 shown]
	s_waitcnt lgkmcnt(0)
	s_add_u32 s0, s12, s18
	s_addc_u32 s1, s13, 0
	global_load_ubyte v44, v0, s[0:1]
	v_and_b32_e32 v33, 32, v0
	v_and_b32_e32 v2, 62, v0
	v_or_b32_e32 v11, 2, v9
	v_add_u32_e32 v12, 4, v9
	v_or_b32_e32 v19, 4, v17
	v_add_u32_e32 v20, 8, v17
	;; [unrolled: 2-line block ×4, first 2 shown]
	v_and_b32_e32 v3, 1, v0
	v_or_b32_e32 v4, 1, v2
	v_and_b32_e32 v10, 3, v0
	v_sub_u32_e32 v14, v12, v11
	v_and_b32_e32 v18, 7, v0
	v_sub_u32_e32 v22, v20, v19
	;; [unrolled: 2-line block ×4, first 2 shown]
	v_sub_u32_e32 v5, v4, v2
	v_add_u32_e32 v6, -1, v3
	v_cmp_lt_i32_e32 vcc, 0, v3
	v_sub_u32_e32 v13, v11, v9
	v_sub_u32_e32 v15, v10, v14
	v_cmp_ge_i32_e64 s[0:1], v10, v14
	v_sub_u32_e32 v21, v19, v17
	v_sub_u32_e32 v23, v18, v22
	v_cmp_ge_i32_e64 s[2:3], v18, v22
	;; [unrolled: 3-line block ×4, first 2 shown]
	v_cndmask_b32_e32 v6, 0, v6, vcc
	v_min_i32_e32 v7, v3, v5
	v_cndmask_b32_e64 v14, 0, v15, s[0:1]
	v_min_i32_e32 v15, v10, v13
	v_cndmask_b32_e64 v22, 0, v23, s[2:3]
	;; [unrolled: 2-line block ×4, first 2 shown]
	v_min_i32_e32 v39, v34, v37
	v_sub_u32_e64 v41, v0, 32 clamp
	v_min_i32_e32 v42, 32, v0
	s_mov_b32 s19, 0
	v_mov_b32_e32 v1, 0
	v_cmp_lt_i32_e32 vcc, v6, v7
	v_add_u32_e32 v8, v4, v3
	v_cmp_lt_i32_e64 s[0:1], v14, v15
	v_add_u32_e32 v16, v11, v10
	v_cmp_lt_i32_e64 s[2:3], v22, v23
	v_add_u32_e32 v24, v19, v18
	v_cmp_lt_i32_e64 s[4:5], v30, v31
	v_add_u32_e32 v32, v27, v26
	v_cmp_lt_i32_e64 s[6:7], v38, v39
	v_add_u32_e32 v40, v35, v34
	v_cmp_lt_i32_e64 s[8:9], v41, v42
	v_add_u32_e32 v43, 32, v0
	s_branch .LBB40_2
.LBB40_1:                               ;   in Loop: Header=BB40_2 Depth=1
	s_or_b64 exec, exec, s[12:13]
	v_sub_u32_e32 v45, v43, v44
	ds_read_u8 v46, v44
	ds_read_u8 v47, v45
	v_cmp_le_i32_e64 s[10:11], 32, v44
	v_cmp_gt_i32_e64 s[12:13], 64, v45
	s_add_i32 s19, s19, 1
	s_waitcnt lgkmcnt(0)
	v_cmp_lt_i16_sdwa s[16:17], sext(v47), sext(v46) src0_sel:BYTE_0 src1_sel:BYTE_0
	s_or_b64 s[10:11], s[10:11], s[16:17]
	s_and_b64 s[10:11], s[12:13], s[10:11]
	s_cmp_eq_u32 s19, 10
	v_cndmask_b32_e64 v44, v46, v47, s[10:11]
	s_cbranch_scc1 .LBB40_26
.LBB40_2:                               ; =>This Loop Header: Depth=1
                                        ;     Child Loop BB40_4 Depth 2
                                        ;     Child Loop BB40_8 Depth 2
	;; [unrolled: 1-line block ×6, first 2 shown]
	s_waitcnt lgkmcnt(0)
	; wave barrier
	s_waitcnt vmcnt(0)
	ds_write_b8 v0, v44
	v_mov_b32_e32 v44, v6
	s_waitcnt lgkmcnt(0)
	; wave barrier
	s_waitcnt lgkmcnt(0)
	s_and_saveexec_b64 s[12:13], vcc
	s_cbranch_execz .LBB40_6
; %bb.3:                                ;   in Loop: Header=BB40_2 Depth=1
	s_mov_b64 s[16:17], 0
	v_mov_b32_e32 v44, v6
	v_mov_b32_e32 v45, v7
.LBB40_4:                               ;   Parent Loop BB40_2 Depth=1
                                        ; =>  This Inner Loop Header: Depth=2
	v_sub_u32_e32 v46, v45, v44
	v_lshrrev_b32_e32 v47, 31, v46
	v_add_u32_e32 v46, v46, v47
	v_ashrrev_i32_e32 v46, 1, v46
	v_add_u32_e32 v46, v46, v44
	v_not_b32_e32 v48, v46
	v_add_u32_e32 v47, v2, v46
	v_add3_u32 v48, v3, v48, v4
	ds_read_i8 v47, v47
	ds_read_i8 v48, v48
	v_add_u32_e32 v49, 1, v46
	s_waitcnt lgkmcnt(0)
	v_cmp_lt_i16_e64 s[10:11], v48, v47
	s_nop 1
	v_cndmask_b32_e64 v45, v45, v46, s[10:11]
	v_cndmask_b32_e64 v44, v49, v44, s[10:11]
	v_cmp_ge_i32_e64 s[10:11], v44, v45
	s_or_b64 s[16:17], s[10:11], s[16:17]
	s_andn2_b64 exec, exec, s[16:17]
	s_cbranch_execnz .LBB40_4
; %bb.5:                                ;   in Loop: Header=BB40_2 Depth=1
	s_or_b64 exec, exec, s[16:17]
.LBB40_6:                               ;   in Loop: Header=BB40_2 Depth=1
	s_or_b64 exec, exec, s[12:13]
	v_add_u32_e32 v46, v2, v44
	v_sub_u32_e32 v45, v8, v44
	ds_read_u8 v46, v46
	ds_read_u8 v47, v45
	v_cmp_ge_i32_e64 s[10:11], v44, v5
	v_cmp_ge_i32_e64 s[12:13], v4, v45
	s_waitcnt lgkmcnt(0)
	; wave barrier
	s_waitcnt lgkmcnt(0)
	v_cmp_lt_i16_sdwa s[16:17], sext(v47), sext(v46) src0_sel:BYTE_0 src1_sel:BYTE_0
	s_or_b64 s[10:11], s[10:11], s[16:17]
	s_and_b64 s[10:11], s[12:13], s[10:11]
	v_cndmask_b32_e64 v44, v46, v47, s[10:11]
	ds_write_b8 v0, v44
	v_mov_b32_e32 v44, v14
	s_waitcnt lgkmcnt(0)
	; wave barrier
	s_waitcnt lgkmcnt(0)
	s_and_saveexec_b64 s[12:13], s[0:1]
	s_cbranch_execz .LBB40_10
; %bb.7:                                ;   in Loop: Header=BB40_2 Depth=1
	s_mov_b64 s[16:17], 0
	v_mov_b32_e32 v44, v14
	v_mov_b32_e32 v45, v15
.LBB40_8:                               ;   Parent Loop BB40_2 Depth=1
                                        ; =>  This Inner Loop Header: Depth=2
	v_sub_u32_e32 v46, v45, v44
	v_lshrrev_b32_e32 v47, 31, v46
	v_add_u32_e32 v46, v46, v47
	v_ashrrev_i32_e32 v46, 1, v46
	v_add_u32_e32 v46, v46, v44
	v_not_b32_e32 v48, v46
	v_add_u32_e32 v47, v9, v46
	v_add3_u32 v48, v10, v48, v11
	ds_read_i8 v47, v47
	ds_read_i8 v48, v48
	v_add_u32_e32 v49, 1, v46
	s_waitcnt lgkmcnt(0)
	v_cmp_lt_i16_e64 s[10:11], v48, v47
	s_nop 1
	v_cndmask_b32_e64 v45, v45, v46, s[10:11]
	v_cndmask_b32_e64 v44, v49, v44, s[10:11]
	v_cmp_ge_i32_e64 s[10:11], v44, v45
	s_or_b64 s[16:17], s[10:11], s[16:17]
	s_andn2_b64 exec, exec, s[16:17]
	s_cbranch_execnz .LBB40_8
; %bb.9:                                ;   in Loop: Header=BB40_2 Depth=1
	s_or_b64 exec, exec, s[16:17]
.LBB40_10:                              ;   in Loop: Header=BB40_2 Depth=1
	s_or_b64 exec, exec, s[12:13]
	v_add_u32_e32 v46, v9, v44
	v_sub_u32_e32 v45, v16, v44
	ds_read_u8 v46, v46
	ds_read_u8 v47, v45
	v_cmp_ge_i32_e64 s[10:11], v44, v13
	v_cmp_gt_i32_e64 s[12:13], v12, v45
	s_waitcnt lgkmcnt(0)
	; wave barrier
	s_waitcnt lgkmcnt(0)
	v_cmp_lt_i16_sdwa s[16:17], sext(v47), sext(v46) src0_sel:BYTE_0 src1_sel:BYTE_0
	s_or_b64 s[10:11], s[10:11], s[16:17]
	s_and_b64 s[10:11], s[12:13], s[10:11]
	v_cndmask_b32_e64 v44, v46, v47, s[10:11]
	ds_write_b8 v0, v44
	v_mov_b32_e32 v44, v22
	s_waitcnt lgkmcnt(0)
	; wave barrier
	s_waitcnt lgkmcnt(0)
	s_and_saveexec_b64 s[12:13], s[2:3]
	s_cbranch_execz .LBB40_14
; %bb.11:                               ;   in Loop: Header=BB40_2 Depth=1
	s_mov_b64 s[16:17], 0
	v_mov_b32_e32 v44, v22
	v_mov_b32_e32 v45, v23
.LBB40_12:                              ;   Parent Loop BB40_2 Depth=1
                                        ; =>  This Inner Loop Header: Depth=2
	v_sub_u32_e32 v46, v45, v44
	v_lshrrev_b32_e32 v47, 31, v46
	v_add_u32_e32 v46, v46, v47
	v_ashrrev_i32_e32 v46, 1, v46
	v_add_u32_e32 v46, v46, v44
	v_not_b32_e32 v48, v46
	v_add_u32_e32 v47, v17, v46
	v_add3_u32 v48, v18, v48, v19
	ds_read_i8 v47, v47
	ds_read_i8 v48, v48
	v_add_u32_e32 v49, 1, v46
	s_waitcnt lgkmcnt(0)
	v_cmp_lt_i16_e64 s[10:11], v48, v47
	s_nop 1
	v_cndmask_b32_e64 v45, v45, v46, s[10:11]
	v_cndmask_b32_e64 v44, v49, v44, s[10:11]
	v_cmp_ge_i32_e64 s[10:11], v44, v45
	s_or_b64 s[16:17], s[10:11], s[16:17]
	s_andn2_b64 exec, exec, s[16:17]
	s_cbranch_execnz .LBB40_12
; %bb.13:                               ;   in Loop: Header=BB40_2 Depth=1
	s_or_b64 exec, exec, s[16:17]
.LBB40_14:                              ;   in Loop: Header=BB40_2 Depth=1
	s_or_b64 exec, exec, s[12:13]
	v_add_u32_e32 v46, v17, v44
	v_sub_u32_e32 v45, v24, v44
	ds_read_u8 v46, v46
	ds_read_u8 v47, v45
	v_cmp_ge_i32_e64 s[10:11], v44, v21
	v_cmp_gt_i32_e64 s[12:13], v20, v45
	s_waitcnt lgkmcnt(0)
	; wave barrier
	s_waitcnt lgkmcnt(0)
	v_cmp_lt_i16_sdwa s[16:17], sext(v47), sext(v46) src0_sel:BYTE_0 src1_sel:BYTE_0
	s_or_b64 s[10:11], s[10:11], s[16:17]
	s_and_b64 s[10:11], s[12:13], s[10:11]
	v_cndmask_b32_e64 v44, v46, v47, s[10:11]
	ds_write_b8 v0, v44
	v_mov_b32_e32 v44, v30
	s_waitcnt lgkmcnt(0)
	; wave barrier
	s_waitcnt lgkmcnt(0)
	s_and_saveexec_b64 s[12:13], s[4:5]
	s_cbranch_execz .LBB40_18
; %bb.15:                               ;   in Loop: Header=BB40_2 Depth=1
	s_mov_b64 s[16:17], 0
	v_mov_b32_e32 v44, v30
	v_mov_b32_e32 v45, v31
.LBB40_16:                              ;   Parent Loop BB40_2 Depth=1
                                        ; =>  This Inner Loop Header: Depth=2
	v_sub_u32_e32 v46, v45, v44
	v_lshrrev_b32_e32 v47, 31, v46
	v_add_u32_e32 v46, v46, v47
	v_ashrrev_i32_e32 v46, 1, v46
	v_add_u32_e32 v46, v46, v44
	v_not_b32_e32 v48, v46
	v_add_u32_e32 v47, v25, v46
	v_add3_u32 v48, v26, v48, v27
	ds_read_i8 v47, v47
	ds_read_i8 v48, v48
	v_add_u32_e32 v49, 1, v46
	s_waitcnt lgkmcnt(0)
	v_cmp_lt_i16_e64 s[10:11], v48, v47
	s_nop 1
	v_cndmask_b32_e64 v45, v45, v46, s[10:11]
	v_cndmask_b32_e64 v44, v49, v44, s[10:11]
	v_cmp_ge_i32_e64 s[10:11], v44, v45
	s_or_b64 s[16:17], s[10:11], s[16:17]
	s_andn2_b64 exec, exec, s[16:17]
	s_cbranch_execnz .LBB40_16
; %bb.17:                               ;   in Loop: Header=BB40_2 Depth=1
	s_or_b64 exec, exec, s[16:17]
.LBB40_18:                              ;   in Loop: Header=BB40_2 Depth=1
	;; [unrolled: 50-line block ×3, first 2 shown]
	s_or_b64 exec, exec, s[12:13]
	v_add_u32_e32 v46, v33, v44
	v_sub_u32_e32 v45, v40, v44
	ds_read_u8 v46, v46
	ds_read_u8 v47, v45
	v_cmp_ge_i32_e64 s[10:11], v44, v37
	v_cmp_gt_i32_e64 s[12:13], v36, v45
	s_waitcnt lgkmcnt(0)
	; wave barrier
	s_waitcnt lgkmcnt(0)
	v_cmp_lt_i16_sdwa s[16:17], sext(v47), sext(v46) src0_sel:BYTE_0 src1_sel:BYTE_0
	s_or_b64 s[10:11], s[10:11], s[16:17]
	s_and_b64 s[10:11], s[12:13], s[10:11]
	v_cndmask_b32_e64 v44, v46, v47, s[10:11]
	ds_write_b8 v0, v44
	v_mov_b32_e32 v44, v41
	s_waitcnt lgkmcnt(0)
	; wave barrier
	s_waitcnt lgkmcnt(0)
	s_and_saveexec_b64 s[12:13], s[8:9]
	s_cbranch_execz .LBB40_1
; %bb.23:                               ;   in Loop: Header=BB40_2 Depth=1
	s_mov_b64 s[16:17], 0
	v_mov_b32_e32 v44, v41
	v_mov_b32_e32 v45, v42
.LBB40_24:                              ;   Parent Loop BB40_2 Depth=1
                                        ; =>  This Inner Loop Header: Depth=2
	v_sub_u32_e32 v46, v45, v44
	v_lshrrev_b32_e32 v47, 31, v46
	v_add_u32_e32 v46, v46, v47
	v_ashrrev_i32_e32 v46, 1, v46
	v_add_u32_e32 v46, v46, v44
	v_not_b32_e32 v47, v46
	v_add3_u32 v47, v0, v47, 32
	ds_read_i8 v48, v46
	ds_read_i8 v47, v47
	v_add_u32_e32 v49, 1, v46
	s_waitcnt lgkmcnt(0)
	v_cmp_lt_i16_e64 s[10:11], v47, v48
	s_nop 1
	v_cndmask_b32_e64 v45, v45, v46, s[10:11]
	v_cndmask_b32_e64 v44, v49, v44, s[10:11]
	v_cmp_ge_i32_e64 s[10:11], v44, v45
	s_or_b64 s[16:17], s[10:11], s[16:17]
	s_andn2_b64 exec, exec, s[16:17]
	s_cbranch_execnz .LBB40_24
; %bb.25:                               ;   in Loop: Header=BB40_2 Depth=1
	s_or_b64 exec, exec, s[16:17]
	s_branch .LBB40_1
.LBB40_26:
	s_add_u32 s0, s14, s18
	s_addc_u32 s1, s15, 0
	v_lshl_add_u64 v[0:1], s[0:1], 0, v[0:1]
	global_store_byte v[0:1], v44, off
	s_endpgm
	.section	.rodata,"a",@progbits
	.p2align	6, 0x0
	.amdhsa_kernel _Z16sort_keys_kernelIaLj64ELj1EN10test_utils4lessELj10EEvPKT_PS2_T2_
		.amdhsa_group_segment_fixed_size 65
		.amdhsa_private_segment_fixed_size 0
		.amdhsa_kernarg_size 20
		.amdhsa_user_sgpr_count 2
		.amdhsa_user_sgpr_dispatch_ptr 0
		.amdhsa_user_sgpr_queue_ptr 0
		.amdhsa_user_sgpr_kernarg_segment_ptr 1
		.amdhsa_user_sgpr_dispatch_id 0
		.amdhsa_user_sgpr_kernarg_preload_length 0
		.amdhsa_user_sgpr_kernarg_preload_offset 0
		.amdhsa_user_sgpr_private_segment_size 0
		.amdhsa_uses_dynamic_stack 0
		.amdhsa_enable_private_segment 0
		.amdhsa_system_sgpr_workgroup_id_x 1
		.amdhsa_system_sgpr_workgroup_id_y 0
		.amdhsa_system_sgpr_workgroup_id_z 0
		.amdhsa_system_sgpr_workgroup_info 0
		.amdhsa_system_vgpr_workitem_id 0
		.amdhsa_next_free_vgpr 50
		.amdhsa_next_free_sgpr 20
		.amdhsa_accum_offset 52
		.amdhsa_reserve_vcc 1
		.amdhsa_float_round_mode_32 0
		.amdhsa_float_round_mode_16_64 0
		.amdhsa_float_denorm_mode_32 3
		.amdhsa_float_denorm_mode_16_64 3
		.amdhsa_dx10_clamp 1
		.amdhsa_ieee_mode 1
		.amdhsa_fp16_overflow 0
		.amdhsa_tg_split 0
		.amdhsa_exception_fp_ieee_invalid_op 0
		.amdhsa_exception_fp_denorm_src 0
		.amdhsa_exception_fp_ieee_div_zero 0
		.amdhsa_exception_fp_ieee_overflow 0
		.amdhsa_exception_fp_ieee_underflow 0
		.amdhsa_exception_fp_ieee_inexact 0
		.amdhsa_exception_int_div_zero 0
	.end_amdhsa_kernel
	.section	.text._Z16sort_keys_kernelIaLj64ELj1EN10test_utils4lessELj10EEvPKT_PS2_T2_,"axG",@progbits,_Z16sort_keys_kernelIaLj64ELj1EN10test_utils4lessELj10EEvPKT_PS2_T2_,comdat
.Lfunc_end40:
	.size	_Z16sort_keys_kernelIaLj64ELj1EN10test_utils4lessELj10EEvPKT_PS2_T2_, .Lfunc_end40-_Z16sort_keys_kernelIaLj64ELj1EN10test_utils4lessELj10EEvPKT_PS2_T2_
                                        ; -- End function
	.section	.AMDGPU.csdata,"",@progbits
; Kernel info:
; codeLenInByte = 1756
; NumSgprs: 26
; NumVgprs: 50
; NumAgprs: 0
; TotalNumVgprs: 50
; ScratchSize: 0
; MemoryBound: 0
; FloatMode: 240
; IeeeMode: 1
; LDSByteSize: 65 bytes/workgroup (compile time only)
; SGPRBlocks: 3
; VGPRBlocks: 6
; NumSGPRsForWavesPerEU: 26
; NumVGPRsForWavesPerEU: 50
; AccumOffset: 52
; Occupancy: 8
; WaveLimiterHint : 0
; COMPUTE_PGM_RSRC2:SCRATCH_EN: 0
; COMPUTE_PGM_RSRC2:USER_SGPR: 2
; COMPUTE_PGM_RSRC2:TRAP_HANDLER: 0
; COMPUTE_PGM_RSRC2:TGID_X_EN: 1
; COMPUTE_PGM_RSRC2:TGID_Y_EN: 0
; COMPUTE_PGM_RSRC2:TGID_Z_EN: 0
; COMPUTE_PGM_RSRC2:TIDIG_COMP_CNT: 0
; COMPUTE_PGM_RSRC3_GFX90A:ACCUM_OFFSET: 12
; COMPUTE_PGM_RSRC3_GFX90A:TG_SPLIT: 0
	.section	.text._Z17sort_pairs_kernelIaLj64ELj1EN10test_utils4lessELj10EEvPKT_PS2_T2_,"axG",@progbits,_Z17sort_pairs_kernelIaLj64ELj1EN10test_utils4lessELj10EEvPKT_PS2_T2_,comdat
	.protected	_Z17sort_pairs_kernelIaLj64ELj1EN10test_utils4lessELj10EEvPKT_PS2_T2_ ; -- Begin function _Z17sort_pairs_kernelIaLj64ELj1EN10test_utils4lessELj10EEvPKT_PS2_T2_
	.globl	_Z17sort_pairs_kernelIaLj64ELj1EN10test_utils4lessELj10EEvPKT_PS2_T2_
	.p2align	8
	.type	_Z17sort_pairs_kernelIaLj64ELj1EN10test_utils4lessELj10EEvPKT_PS2_T2_,@function
_Z17sort_pairs_kernelIaLj64ELj1EN10test_utils4lessELj10EEvPKT_PS2_T2_: ; @_Z17sort_pairs_kernelIaLj64ELj1EN10test_utils4lessELj10EEvPKT_PS2_T2_
; %bb.0:
	s_load_dwordx4 s[12:15], s[0:1], 0x0
	s_lshl_b32 s18, s2, 6
	v_and_b32_e32 v4, 60, v0
	v_and_b32_e32 v6, 56, v0
	v_or_b32_e32 v15, 2, v4
	s_waitcnt lgkmcnt(0)
	s_add_u32 s0, s12, s18
	s_addc_u32 s1, s13, 0
	global_load_ubyte v39, v0, s[0:1]
	v_add_u32_e32 v16, 4, v4
	v_and_b32_e32 v5, 3, v0
	v_and_b32_e32 v8, 48, v0
	v_or_b32_e32 v17, 4, v6
	v_add_u32_e32 v18, 8, v6
	v_sub_u32_e32 v34, v16, v15
	v_and_b32_e32 v7, 7, v0
	v_and_b32_e32 v10, 32, v0
	v_or_b32_e32 v19, 8, v8
	v_add_u32_e32 v20, 16, v8
	v_sub_u32_e32 v35, v18, v17
	v_sub_u32_e32 v38, v5, v34
	v_cmp_ge_i32_e64 s[2:3], v5, v34
	v_and_b32_e32 v2, 62, v0
	v_and_b32_e32 v9, 15, v0
	v_or_b32_e32 v21, 16, v10
	v_add_u32_e32 v22, 32, v10
	v_sub_u32_e32 v36, v20, v19
	v_sub_u32_e32 v40, v7, v35
	v_cndmask_b32_e64 v34, 0, v38, s[2:3]
	v_cmp_ge_i32_e64 s[2:3], v7, v35
	v_and_b32_e32 v3, 1, v0
	v_and_b32_e32 v11, 31, v0
	v_or_b32_e32 v14, 1, v2
	v_sub_u32_e32 v37, v22, v21
	v_sub_u32_e32 v41, v9, v36
	v_cndmask_b32_e64 v35, 0, v40, s[2:3]
	v_cmp_ge_i32_e64 s[2:3], v9, v36
	v_add_u32_e32 v23, -1, v3
	v_sub_u32_e32 v29, v14, v2
	v_cmp_lt_i32_e64 s[0:1], 0, v3
	v_sub_u32_e32 v30, v15, v4
	v_sub_u32_e32 v31, v17, v6
	;; [unrolled: 1-line block ×5, first 2 shown]
	v_cndmask_b32_e64 v36, 0, v41, s[2:3]
	v_cmp_ge_i32_e64 s[2:3], v11, v37
	v_sub_u32_e64 v12, v0, 32 clamp
	v_min_i32_e32 v13, 32, v0
	v_cndmask_b32_e64 v23, 0, v23, s[0:1]
	v_min_i32_e32 v29, v3, v29
	v_min_i32_e32 v30, v5, v30
	;; [unrolled: 1-line block ×5, first 2 shown]
	v_cndmask_b32_e64 v37, 0, v42, s[2:3]
	s_mov_b32 s19, 0
	v_mov_b32_e32 v1, 0
	v_cmp_lt_i32_e32 vcc, v12, v13
	v_add_u32_e32 v24, v14, v3
	v_add_u32_e32 v25, v15, v5
	;; [unrolled: 1-line block ×5, first 2 shown]
	v_cmp_lt_i32_e64 s[0:1], v23, v29
	v_cmp_lt_i32_e64 s[2:3], v34, v30
	;; [unrolled: 1-line block ×5, first 2 shown]
	v_add_u32_e32 v38, 32, v0
	s_waitcnt vmcnt(0)
	v_add_u16_e32 v40, 1, v39
	s_branch .LBB41_2
.LBB41_1:                               ;   in Loop: Header=BB41_2 Depth=1
	s_or_b64 exec, exec, s[12:13]
	v_sub_u32_e32 v42, v38, v41
	ds_read_u8 v39, v41
	ds_read_u8 v43, v42
	v_cmp_le_i32_e64 s[10:11], 32, v41
	v_cmp_gt_i32_e64 s[12:13], 64, v42
	s_waitcnt lgkmcnt(0)
	; wave barrier
	s_waitcnt lgkmcnt(0)
	v_cmp_lt_i16_sdwa s[16:17], sext(v43), sext(v39) src0_sel:BYTE_0 src1_sel:BYTE_0
	s_or_b64 s[10:11], s[10:11], s[16:17]
	s_and_b64 s[10:11], s[12:13], s[10:11]
	v_cndmask_b32_e64 v41, v41, v42, s[10:11]
	ds_write_b8 v0, v40
	s_waitcnt lgkmcnt(0)
	; wave barrier
	s_waitcnt lgkmcnt(0)
	ds_read_u8 v40, v41
	s_add_i32 s19, s19, 1
	v_cndmask_b32_e64 v39, v39, v43, s[10:11]
	s_cmp_lg_u32 s19, 10
	s_cbranch_scc0 .LBB41_26
.LBB41_2:                               ; =>This Loop Header: Depth=1
                                        ;     Child Loop BB41_4 Depth 2
                                        ;     Child Loop BB41_8 Depth 2
	;; [unrolled: 1-line block ×6, first 2 shown]
	s_waitcnt lgkmcnt(0)
	; wave barrier
	ds_write_b8 v0, v39
	v_mov_b32_e32 v39, v23
	s_waitcnt lgkmcnt(0)
	; wave barrier
	s_waitcnt lgkmcnt(0)
	s_and_saveexec_b64 s[12:13], s[0:1]
	s_cbranch_execz .LBB41_6
; %bb.3:                                ;   in Loop: Header=BB41_2 Depth=1
	s_mov_b64 s[16:17], 0
	v_mov_b32_e32 v39, v23
	v_mov_b32_e32 v41, v29
.LBB41_4:                               ;   Parent Loop BB41_2 Depth=1
                                        ; =>  This Inner Loop Header: Depth=2
	v_sub_u32_e32 v42, v41, v39
	v_lshrrev_b32_e32 v43, 31, v42
	v_add_u32_e32 v42, v42, v43
	v_ashrrev_i32_e32 v42, 1, v42
	v_add_u32_e32 v42, v42, v39
	v_not_b32_e32 v44, v42
	v_add_u32_e32 v43, v2, v42
	v_add3_u32 v44, v3, v44, v14
	ds_read_i8 v43, v43
	ds_read_i8 v44, v44
	v_add_u32_e32 v45, 1, v42
	s_waitcnt lgkmcnt(0)
	v_cmp_lt_i16_e64 s[10:11], v44, v43
	s_nop 1
	v_cndmask_b32_e64 v41, v41, v42, s[10:11]
	v_cndmask_b32_e64 v39, v45, v39, s[10:11]
	v_cmp_ge_i32_e64 s[10:11], v39, v41
	s_or_b64 s[16:17], s[10:11], s[16:17]
	s_andn2_b64 exec, exec, s[16:17]
	s_cbranch_execnz .LBB41_4
; %bb.5:                                ;   in Loop: Header=BB41_2 Depth=1
	s_or_b64 exec, exec, s[16:17]
.LBB41_6:                               ;   in Loop: Header=BB41_2 Depth=1
	s_or_b64 exec, exec, s[12:13]
	v_add_u32_e32 v41, v39, v2
	v_sub_u32_e32 v39, v24, v39
	ds_read_u8 v42, v41
	ds_read_u8 v43, v39
	v_cmp_le_i32_e64 s[12:13], v14, v41
	v_cmp_ge_i32_e64 s[10:11], v14, v39
	s_waitcnt lgkmcnt(0)
	; wave barrier
	s_waitcnt lgkmcnt(0)
	v_cmp_lt_i16_sdwa s[16:17], sext(v43), sext(v42) src0_sel:BYTE_0 src1_sel:BYTE_0
	s_or_b64 s[12:13], s[12:13], s[16:17]
	s_and_b64 s[10:11], s[10:11], s[12:13]
	v_cndmask_b32_e64 v39, v41, v39, s[10:11]
	ds_write_b8 v0, v40
	s_waitcnt lgkmcnt(0)
	; wave barrier
	s_waitcnt lgkmcnt(0)
	ds_read_u8 v39, v39
	v_cndmask_b32_e64 v42, v42, v43, s[10:11]
	v_mov_b32_e32 v40, v34
	s_waitcnt lgkmcnt(0)
	; wave barrier
	s_waitcnt lgkmcnt(0)
	ds_write_b8 v0, v42
	s_waitcnt lgkmcnt(0)
	; wave barrier
	s_waitcnt lgkmcnt(0)
	s_and_saveexec_b64 s[12:13], s[2:3]
	s_cbranch_execz .LBB41_10
; %bb.7:                                ;   in Loop: Header=BB41_2 Depth=1
	s_mov_b64 s[16:17], 0
	v_mov_b32_e32 v40, v34
	v_mov_b32_e32 v41, v30
.LBB41_8:                               ;   Parent Loop BB41_2 Depth=1
                                        ; =>  This Inner Loop Header: Depth=2
	v_sub_u32_e32 v42, v41, v40
	v_lshrrev_b32_e32 v43, 31, v42
	v_add_u32_e32 v42, v42, v43
	v_ashrrev_i32_e32 v42, 1, v42
	v_add_u32_e32 v42, v42, v40
	v_not_b32_e32 v44, v42
	v_add_u32_e32 v43, v4, v42
	v_add3_u32 v44, v5, v44, v15
	ds_read_i8 v43, v43
	ds_read_i8 v44, v44
	v_add_u32_e32 v45, 1, v42
	s_waitcnt lgkmcnt(0)
	v_cmp_lt_i16_e64 s[10:11], v44, v43
	s_nop 1
	v_cndmask_b32_e64 v41, v41, v42, s[10:11]
	v_cndmask_b32_e64 v40, v45, v40, s[10:11]
	v_cmp_ge_i32_e64 s[10:11], v40, v41
	s_or_b64 s[16:17], s[10:11], s[16:17]
	s_andn2_b64 exec, exec, s[16:17]
	s_cbranch_execnz .LBB41_8
; %bb.9:                                ;   in Loop: Header=BB41_2 Depth=1
	s_or_b64 exec, exec, s[16:17]
.LBB41_10:                              ;   in Loop: Header=BB41_2 Depth=1
	s_or_b64 exec, exec, s[12:13]
	v_add_u32_e32 v41, v40, v4
	v_sub_u32_e32 v40, v25, v40
	ds_read_u8 v42, v41
	ds_read_u8 v43, v40
	v_cmp_le_i32_e64 s[12:13], v15, v41
	v_cmp_gt_i32_e64 s[10:11], v16, v40
	s_waitcnt lgkmcnt(0)
	; wave barrier
	s_waitcnt lgkmcnt(0)
	v_cmp_lt_i16_sdwa s[16:17], sext(v43), sext(v42) src0_sel:BYTE_0 src1_sel:BYTE_0
	s_or_b64 s[12:13], s[12:13], s[16:17]
	s_and_b64 s[10:11], s[10:11], s[12:13]
	v_cndmask_b32_e64 v40, v41, v40, s[10:11]
	ds_write_b8 v0, v39
	s_waitcnt lgkmcnt(0)
	; wave barrier
	s_waitcnt lgkmcnt(0)
	ds_read_u8 v39, v40
	v_cndmask_b32_e64 v42, v42, v43, s[10:11]
	v_mov_b32_e32 v40, v35
	s_waitcnt lgkmcnt(0)
	; wave barrier
	s_waitcnt lgkmcnt(0)
	ds_write_b8 v0, v42
	s_waitcnt lgkmcnt(0)
	; wave barrier
	s_waitcnt lgkmcnt(0)
	s_and_saveexec_b64 s[12:13], s[4:5]
	s_cbranch_execz .LBB41_14
; %bb.11:                               ;   in Loop: Header=BB41_2 Depth=1
	s_mov_b64 s[16:17], 0
	v_mov_b32_e32 v40, v35
	v_mov_b32_e32 v41, v31
.LBB41_12:                              ;   Parent Loop BB41_2 Depth=1
                                        ; =>  This Inner Loop Header: Depth=2
	v_sub_u32_e32 v42, v41, v40
	v_lshrrev_b32_e32 v43, 31, v42
	v_add_u32_e32 v42, v42, v43
	v_ashrrev_i32_e32 v42, 1, v42
	v_add_u32_e32 v42, v42, v40
	v_not_b32_e32 v44, v42
	v_add_u32_e32 v43, v6, v42
	v_add3_u32 v44, v7, v44, v17
	ds_read_i8 v43, v43
	ds_read_i8 v44, v44
	v_add_u32_e32 v45, 1, v42
	s_waitcnt lgkmcnt(0)
	v_cmp_lt_i16_e64 s[10:11], v44, v43
	s_nop 1
	v_cndmask_b32_e64 v41, v41, v42, s[10:11]
	v_cndmask_b32_e64 v40, v45, v40, s[10:11]
	v_cmp_ge_i32_e64 s[10:11], v40, v41
	s_or_b64 s[16:17], s[10:11], s[16:17]
	s_andn2_b64 exec, exec, s[16:17]
	s_cbranch_execnz .LBB41_12
; %bb.13:                               ;   in Loop: Header=BB41_2 Depth=1
	s_or_b64 exec, exec, s[16:17]
.LBB41_14:                              ;   in Loop: Header=BB41_2 Depth=1
	s_or_b64 exec, exec, s[12:13]
	v_add_u32_e32 v41, v40, v6
	v_sub_u32_e32 v40, v26, v40
	ds_read_u8 v42, v41
	ds_read_u8 v43, v40
	v_cmp_le_i32_e64 s[12:13], v17, v41
	v_cmp_gt_i32_e64 s[10:11], v18, v40
	s_waitcnt lgkmcnt(0)
	; wave barrier
	s_waitcnt lgkmcnt(0)
	v_cmp_lt_i16_sdwa s[16:17], sext(v43), sext(v42) src0_sel:BYTE_0 src1_sel:BYTE_0
	s_or_b64 s[12:13], s[12:13], s[16:17]
	s_and_b64 s[10:11], s[10:11], s[12:13]
	v_cndmask_b32_e64 v40, v41, v40, s[10:11]
	ds_write_b8 v0, v39
	s_waitcnt lgkmcnt(0)
	; wave barrier
	s_waitcnt lgkmcnt(0)
	ds_read_u8 v39, v40
	v_cndmask_b32_e64 v42, v42, v43, s[10:11]
	v_mov_b32_e32 v40, v36
	s_waitcnt lgkmcnt(0)
	; wave barrier
	s_waitcnt lgkmcnt(0)
	ds_write_b8 v0, v42
	s_waitcnt lgkmcnt(0)
	; wave barrier
	s_waitcnt lgkmcnt(0)
	s_and_saveexec_b64 s[12:13], s[6:7]
	s_cbranch_execz .LBB41_18
; %bb.15:                               ;   in Loop: Header=BB41_2 Depth=1
	s_mov_b64 s[16:17], 0
	v_mov_b32_e32 v40, v36
	v_mov_b32_e32 v41, v32
.LBB41_16:                              ;   Parent Loop BB41_2 Depth=1
                                        ; =>  This Inner Loop Header: Depth=2
	v_sub_u32_e32 v42, v41, v40
	v_lshrrev_b32_e32 v43, 31, v42
	v_add_u32_e32 v42, v42, v43
	v_ashrrev_i32_e32 v42, 1, v42
	v_add_u32_e32 v42, v42, v40
	v_not_b32_e32 v44, v42
	v_add_u32_e32 v43, v8, v42
	v_add3_u32 v44, v9, v44, v19
	ds_read_i8 v43, v43
	ds_read_i8 v44, v44
	v_add_u32_e32 v45, 1, v42
	s_waitcnt lgkmcnt(0)
	v_cmp_lt_i16_e64 s[10:11], v44, v43
	s_nop 1
	v_cndmask_b32_e64 v41, v41, v42, s[10:11]
	v_cndmask_b32_e64 v40, v45, v40, s[10:11]
	v_cmp_ge_i32_e64 s[10:11], v40, v41
	s_or_b64 s[16:17], s[10:11], s[16:17]
	s_andn2_b64 exec, exec, s[16:17]
	s_cbranch_execnz .LBB41_16
; %bb.17:                               ;   in Loop: Header=BB41_2 Depth=1
	s_or_b64 exec, exec, s[16:17]
.LBB41_18:                              ;   in Loop: Header=BB41_2 Depth=1
	;; [unrolled: 59-line block ×3, first 2 shown]
	s_or_b64 exec, exec, s[12:13]
	v_add_u32_e32 v41, v40, v10
	v_sub_u32_e32 v40, v28, v40
	ds_read_u8 v42, v41
	ds_read_u8 v43, v40
	v_cmp_le_i32_e64 s[12:13], v21, v41
	v_cmp_gt_i32_e64 s[10:11], v22, v40
	s_waitcnt lgkmcnt(0)
	; wave barrier
	s_waitcnt lgkmcnt(0)
	v_cmp_lt_i16_sdwa s[16:17], sext(v43), sext(v42) src0_sel:BYTE_0 src1_sel:BYTE_0
	s_or_b64 s[12:13], s[12:13], s[16:17]
	s_and_b64 s[10:11], s[10:11], s[12:13]
	v_cndmask_b32_e64 v40, v41, v40, s[10:11]
	ds_write_b8 v0, v39
	s_waitcnt lgkmcnt(0)
	; wave barrier
	s_waitcnt lgkmcnt(0)
	ds_read_u8 v40, v40
	v_cndmask_b32_e64 v42, v42, v43, s[10:11]
	v_mov_b32_e32 v41, v12
	s_waitcnt lgkmcnt(0)
	; wave barrier
	s_waitcnt lgkmcnt(0)
	ds_write_b8 v0, v42
	s_waitcnt lgkmcnt(0)
	; wave barrier
	s_waitcnt lgkmcnt(0)
	s_and_saveexec_b64 s[12:13], vcc
	s_cbranch_execz .LBB41_1
; %bb.23:                               ;   in Loop: Header=BB41_2 Depth=1
	s_mov_b64 s[16:17], 0
	v_mov_b32_e32 v41, v12
	v_mov_b32_e32 v39, v13
.LBB41_24:                              ;   Parent Loop BB41_2 Depth=1
                                        ; =>  This Inner Loop Header: Depth=2
	v_sub_u32_e32 v42, v39, v41
	v_lshrrev_b32_e32 v43, 31, v42
	v_add_u32_e32 v42, v42, v43
	v_ashrrev_i32_e32 v42, 1, v42
	v_add_u32_e32 v42, v42, v41
	v_not_b32_e32 v43, v42
	v_add3_u32 v43, v0, v43, 32
	ds_read_i8 v44, v42
	ds_read_i8 v43, v43
	v_add_u32_e32 v45, 1, v42
	s_waitcnt lgkmcnt(0)
	v_cmp_lt_i16_e64 s[10:11], v43, v44
	s_nop 1
	v_cndmask_b32_e64 v39, v39, v42, s[10:11]
	v_cndmask_b32_e64 v41, v45, v41, s[10:11]
	v_cmp_ge_i32_e64 s[10:11], v41, v39
	s_or_b64 s[16:17], s[10:11], s[16:17]
	s_andn2_b64 exec, exec, s[16:17]
	s_cbranch_execnz .LBB41_24
; %bb.25:                               ;   in Loop: Header=BB41_2 Depth=1
	s_or_b64 exec, exec, s[16:17]
	s_branch .LBB41_1
.LBB41_26:
	s_add_u32 s0, s14, s18
	s_addc_u32 s1, s15, 0
	s_waitcnt lgkmcnt(0)
	v_add_u16_e32 v2, v39, v40
	v_lshl_add_u64 v[0:1], s[0:1], 0, v[0:1]
	global_store_byte v[0:1], v2, off
	s_endpgm
	.section	.rodata,"a",@progbits
	.p2align	6, 0x0
	.amdhsa_kernel _Z17sort_pairs_kernelIaLj64ELj1EN10test_utils4lessELj10EEvPKT_PS2_T2_
		.amdhsa_group_segment_fixed_size 65
		.amdhsa_private_segment_fixed_size 0
		.amdhsa_kernarg_size 20
		.amdhsa_user_sgpr_count 2
		.amdhsa_user_sgpr_dispatch_ptr 0
		.amdhsa_user_sgpr_queue_ptr 0
		.amdhsa_user_sgpr_kernarg_segment_ptr 1
		.amdhsa_user_sgpr_dispatch_id 0
		.amdhsa_user_sgpr_kernarg_preload_length 0
		.amdhsa_user_sgpr_kernarg_preload_offset 0
		.amdhsa_user_sgpr_private_segment_size 0
		.amdhsa_uses_dynamic_stack 0
		.amdhsa_enable_private_segment 0
		.amdhsa_system_sgpr_workgroup_id_x 1
		.amdhsa_system_sgpr_workgroup_id_y 0
		.amdhsa_system_sgpr_workgroup_id_z 0
		.amdhsa_system_sgpr_workgroup_info 0
		.amdhsa_system_vgpr_workitem_id 0
		.amdhsa_next_free_vgpr 46
		.amdhsa_next_free_sgpr 20
		.amdhsa_accum_offset 48
		.amdhsa_reserve_vcc 1
		.amdhsa_float_round_mode_32 0
		.amdhsa_float_round_mode_16_64 0
		.amdhsa_float_denorm_mode_32 3
		.amdhsa_float_denorm_mode_16_64 3
		.amdhsa_dx10_clamp 1
		.amdhsa_ieee_mode 1
		.amdhsa_fp16_overflow 0
		.amdhsa_tg_split 0
		.amdhsa_exception_fp_ieee_invalid_op 0
		.amdhsa_exception_fp_denorm_src 0
		.amdhsa_exception_fp_ieee_div_zero 0
		.amdhsa_exception_fp_ieee_overflow 0
		.amdhsa_exception_fp_ieee_underflow 0
		.amdhsa_exception_fp_ieee_inexact 0
		.amdhsa_exception_int_div_zero 0
	.end_amdhsa_kernel
	.section	.text._Z17sort_pairs_kernelIaLj64ELj1EN10test_utils4lessELj10EEvPKT_PS2_T2_,"axG",@progbits,_Z17sort_pairs_kernelIaLj64ELj1EN10test_utils4lessELj10EEvPKT_PS2_T2_,comdat
.Lfunc_end41:
	.size	_Z17sort_pairs_kernelIaLj64ELj1EN10test_utils4lessELj10EEvPKT_PS2_T2_, .Lfunc_end41-_Z17sort_pairs_kernelIaLj64ELj1EN10test_utils4lessELj10EEvPKT_PS2_T2_
                                        ; -- End function
	.section	.AMDGPU.csdata,"",@progbits
; Kernel info:
; codeLenInByte = 2012
; NumSgprs: 26
; NumVgprs: 46
; NumAgprs: 0
; TotalNumVgprs: 46
; ScratchSize: 0
; MemoryBound: 0
; FloatMode: 240
; IeeeMode: 1
; LDSByteSize: 65 bytes/workgroup (compile time only)
; SGPRBlocks: 3
; VGPRBlocks: 5
; NumSGPRsForWavesPerEU: 26
; NumVGPRsForWavesPerEU: 46
; AccumOffset: 48
; Occupancy: 8
; WaveLimiterHint : 0
; COMPUTE_PGM_RSRC2:SCRATCH_EN: 0
; COMPUTE_PGM_RSRC2:USER_SGPR: 2
; COMPUTE_PGM_RSRC2:TRAP_HANDLER: 0
; COMPUTE_PGM_RSRC2:TGID_X_EN: 1
; COMPUTE_PGM_RSRC2:TGID_Y_EN: 0
; COMPUTE_PGM_RSRC2:TGID_Z_EN: 0
; COMPUTE_PGM_RSRC2:TIDIG_COMP_CNT: 0
; COMPUTE_PGM_RSRC3_GFX90A:ACCUM_OFFSET: 11
; COMPUTE_PGM_RSRC3_GFX90A:TG_SPLIT: 0
	.section	.text._Z16sort_keys_kernelIaLj64ELj2EN10test_utils4lessELj10EEvPKT_PS2_T2_,"axG",@progbits,_Z16sort_keys_kernelIaLj64ELj2EN10test_utils4lessELj10EEvPKT_PS2_T2_,comdat
	.protected	_Z16sort_keys_kernelIaLj64ELj2EN10test_utils4lessELj10EEvPKT_PS2_T2_ ; -- Begin function _Z16sort_keys_kernelIaLj64ELj2EN10test_utils4lessELj10EEvPKT_PS2_T2_
	.globl	_Z16sort_keys_kernelIaLj64ELj2EN10test_utils4lessELj10EEvPKT_PS2_T2_
	.p2align	8
	.type	_Z16sort_keys_kernelIaLj64ELj2EN10test_utils4lessELj10EEvPKT_PS2_T2_,@function
_Z16sort_keys_kernelIaLj64ELj2EN10test_utils4lessELj10EEvPKT_PS2_T2_: ; @_Z16sort_keys_kernelIaLj64ELj2EN10test_utils4lessELj10EEvPKT_PS2_T2_
; %bb.0:
	s_load_dwordx4 s[16:19], s[0:1], 0x0
	s_lshl_b32 s20, s2, 7
	v_lshlrev_b32_e32 v2, 1, v0
	v_and_b32_e32 v3, 0x7c, v2
	v_and_b32_e32 v5, 0x78, v2
	s_waitcnt lgkmcnt(0)
	s_add_u32 s0, s16, s20
	s_addc_u32 s1, s17, 0
	global_load_ubyte v41, v0, s[0:1] offset:64
	global_load_ubyte v42, v0, s[0:1]
	v_or_b32_e32 v16, 2, v3
	v_add_u32_e32 v17, 4, v3
	v_and_b32_e32 v4, 2, v2
	v_and_b32_e32 v7, 0x70, v2
	v_or_b32_e32 v18, 4, v5
	v_add_u32_e32 v19, 8, v5
	v_sub_u32_e32 v36, v17, v16
	v_and_b32_e32 v6, 6, v2
	v_and_b32_e32 v9, 0x60, v2
	v_or_b32_e32 v20, 8, v7
	v_add_u32_e32 v21, 16, v7
	v_sub_u32_e32 v37, v19, v18
	v_sub_u32_e32 v43, v4, v36
	v_cmp_ge_i32_e64 s[0:1], v4, v36
	v_and_b32_e32 v8, 14, v2
	v_and_b32_e32 v11, 64, v2
	v_or_b32_e32 v22, 16, v9
	v_add_u32_e32 v23, 32, v9
	v_sub_u32_e32 v38, v21, v20
	v_sub_u32_e32 v44, v6, v37
	v_cndmask_b32_e64 v36, 0, v43, s[0:1]
	v_cmp_ge_i32_e64 s[0:1], v6, v37
	v_and_b32_e32 v10, 30, v2
	v_or_b32_e32 v24, 32, v11
	v_add_u32_e32 v25, 64, v11
	v_sub_u32_e32 v39, v23, v22
	v_sub_u32_e32 v45, v8, v38
	v_cndmask_b32_e64 v37, 0, v44, s[0:1]
	v_cmp_ge_i32_e64 s[0:1], v8, v38
	v_and_b32_e32 v12, 62, v2
	v_sub_u32_e32 v40, v25, v24
	v_sub_u32_e32 v46, v10, v39
	v_cndmask_b32_e64 v38, 0, v45, s[0:1]
	v_cmp_ge_i32_e64 s[0:1], v10, v39
	v_sub_u32_e32 v31, v16, v3
	v_sub_u32_e32 v32, v18, v5
	;; [unrolled: 1-line block ×6, first 2 shown]
	v_cndmask_b32_e64 v39, 0, v46, s[0:1]
	v_cmp_ge_i32_e64 s[0:1], v12, v40
	v_sub_u32_e64 v13, v2, 64 clamp
	v_min_i32_e32 v14, 64, v2
	v_min_i32_e32 v31, v4, v31
	;; [unrolled: 1-line block ×6, first 2 shown]
	v_cndmask_b32_e64 v40, 0, v47, s[0:1]
	s_mov_b32 s16, 0
	v_mov_b32_e32 v1, 0
	s_mov_b32 s17, 0xc0c0001
	v_add_u32_e32 v15, 64, v2
	v_cmp_lt_i32_e32 vcc, v13, v14
	v_add_u32_e32 v26, v16, v4
	v_add_u32_e32 v27, v18, v6
	;; [unrolled: 1-line block ×5, first 2 shown]
	v_cmp_lt_i32_e64 s[0:1], v36, v31
	v_cmp_lt_i32_e64 s[2:3], v37, v32
	;; [unrolled: 1-line block ×5, first 2 shown]
	s_movk_i32 s21, 0x80
	s_waitcnt vmcnt(1)
	v_lshlrev_b16_e32 v41, 8, v41
	s_waitcnt vmcnt(0)
	v_or_b32_e32 v41, v42, v41
	v_and_b32_e32 v43, 0xffff, v41
	s_branch .LBB42_2
.LBB42_1:                               ;   in Loop: Header=BB42_2 Depth=1
	s_or_b64 exec, exec, s[12:13]
	v_cmp_le_i32_e64 s[12:13], 64, v46
	s_waitcnt lgkmcnt(0)
	v_cmp_lt_i16_sdwa s[14:15], sext(v47), sext(v45) src0_sel:BYTE_0 src1_sel:BYTE_0
	v_cndmask_b32_e64 v41, v43, v44, s[10:11]
	v_cmp_gt_i32_e64 s[10:11], s21, v42
	s_or_b64 s[12:13], s[12:13], s[14:15]
	s_and_b64 s[10:11], s[10:11], s[12:13]
	v_cndmask_b32_e64 v42, v45, v47, s[10:11]
	v_lshlrev_b16_e32 v43, 8, v42
	v_or_b32_sdwa v43, v41, v43 dst_sel:DWORD dst_unused:UNUSED_PAD src0_sel:BYTE_0 src1_sel:DWORD
	s_add_i32 s16, s16, 1
	s_cmp_eq_u32 s16, 10
	v_and_b32_e32 v43, 0xffff, v43
	s_cbranch_scc1 .LBB42_50
.LBB42_2:                               ; =>This Loop Header: Depth=1
                                        ;     Child Loop BB42_4 Depth 2
                                        ;     Child Loop BB42_12 Depth 2
	;; [unrolled: 1-line block ×6, first 2 shown]
	v_perm_b32 v41, 0, v43, s17
	v_cmp_lt_i16_sdwa s[10:11], sext(v43), sext(v43) src0_sel:BYTE_1 src1_sel:BYTE_0
	s_waitcnt lgkmcnt(0)
	; wave barrier
	s_nop 0
	v_cndmask_b32_e64 v41, v43, v41, s[10:11]
	ds_write_b8 v2, v41
	v_lshrrev_b16_e32 v41, 8, v41
	v_mov_b32_e32 v42, v36
	ds_write_b8 v2, v41 offset:1
	s_waitcnt lgkmcnt(0)
	; wave barrier
	s_waitcnt lgkmcnt(0)
	s_and_saveexec_b64 s[12:13], s[0:1]
	s_cbranch_execz .LBB42_6
; %bb.3:                                ;   in Loop: Header=BB42_2 Depth=1
	s_mov_b64 s[14:15], 0
	v_mov_b32_e32 v42, v36
	v_mov_b32_e32 v41, v31
.LBB42_4:                               ;   Parent Loop BB42_2 Depth=1
                                        ; =>  This Inner Loop Header: Depth=2
	v_sub_u32_e32 v43, v41, v42
	v_lshrrev_b32_e32 v44, 31, v43
	v_add_u32_e32 v43, v43, v44
	v_ashrrev_i32_e32 v43, 1, v43
	v_add_u32_e32 v43, v43, v42
	v_not_b32_e32 v45, v43
	v_add_u32_e32 v44, v3, v43
	v_add3_u32 v45, v4, v45, v16
	ds_read_i8 v44, v44
	ds_read_i8 v45, v45
	v_add_u32_e32 v46, 1, v43
	s_waitcnt lgkmcnt(0)
	v_cmp_lt_i16_e64 s[10:11], v45, v44
	s_nop 1
	v_cndmask_b32_e64 v41, v41, v43, s[10:11]
	v_cndmask_b32_e64 v42, v46, v42, s[10:11]
	v_cmp_ge_i32_e64 s[10:11], v42, v41
	s_or_b64 s[14:15], s[10:11], s[14:15]
	s_andn2_b64 exec, exec, s[14:15]
	s_cbranch_execnz .LBB42_4
; %bb.5:                                ;   in Loop: Header=BB42_2 Depth=1
	s_or_b64 exec, exec, s[14:15]
.LBB42_6:                               ;   in Loop: Header=BB42_2 Depth=1
	s_or_b64 exec, exec, s[12:13]
	v_add_u32_e32 v41, v42, v3
	v_sub_u32_e32 v42, v26, v42
	ds_read_u8 v43, v41
	ds_read_u8 v44, v42
	v_cmp_le_i32_e64 s[12:13], v16, v41
	v_cmp_gt_i32_e64 s[10:11], v17, v42
                                        ; implicit-def: $vgpr45
	s_waitcnt lgkmcnt(1)
	v_bfe_i32 v43, v43, 0, 8
	s_waitcnt lgkmcnt(0)
	v_bfe_i32 v44, v44, 0, 8
	v_cmp_lt_i16_e64 s[14:15], v44, v43
	s_or_b64 s[12:13], s[12:13], s[14:15]
	s_and_b64 s[10:11], s[10:11], s[12:13]
	s_xor_b64 s[12:13], s[10:11], -1
	s_and_saveexec_b64 s[14:15], s[12:13]
	s_xor_b64 s[12:13], exec, s[14:15]
	s_cbranch_execz .LBB42_8
; %bb.7:                                ;   in Loop: Header=BB42_2 Depth=1
	ds_read_u8 v45, v41 offset:1
.LBB42_8:                               ;   in Loop: Header=BB42_2 Depth=1
	s_or_saveexec_b64 s[12:13], s[12:13]
	v_mov_b32_e32 v46, v44
	s_xor_b64 exec, exec, s[12:13]
	s_cbranch_execz .LBB42_10
; %bb.9:                                ;   in Loop: Header=BB42_2 Depth=1
	ds_read_u8 v46, v42 offset:1
	s_waitcnt lgkmcnt(1)
	v_mov_b32_e32 v45, v43
.LBB42_10:                              ;   in Loop: Header=BB42_2 Depth=1
	s_or_b64 exec, exec, s[12:13]
	v_add_u32_e32 v47, 1, v41
	v_cndmask_b32_e64 v43, v43, v44, s[10:11]
	v_add_u32_e32 v44, 1, v42
	v_cndmask_b32_e64 v41, v47, v41, s[10:11]
	v_cndmask_b32_e64 v42, v42, v44, s[10:11]
	v_cmp_ge_i32_e64 s[12:13], v41, v16
	s_waitcnt lgkmcnt(0)
	v_cmp_lt_i16_sdwa s[14:15], sext(v46), sext(v45) src0_sel:BYTE_0 src1_sel:BYTE_0
	v_cmp_lt_i32_e64 s[10:11], v42, v17
	s_or_b64 s[12:13], s[12:13], s[14:15]
	s_and_b64 s[10:11], s[10:11], s[12:13]
	v_mov_b32_e32 v42, v37
	v_cndmask_b32_e64 v41, v45, v46, s[10:11]
	s_waitcnt lgkmcnt(0)
	; wave barrier
	ds_write_b8 v2, v43
	ds_write_b8 v2, v41 offset:1
	s_waitcnt lgkmcnt(0)
	; wave barrier
	s_waitcnt lgkmcnt(0)
	s_and_saveexec_b64 s[12:13], s[2:3]
	s_cbranch_execz .LBB42_14
; %bb.11:                               ;   in Loop: Header=BB42_2 Depth=1
	s_mov_b64 s[14:15], 0
	v_mov_b32_e32 v42, v37
	v_mov_b32_e32 v41, v32
.LBB42_12:                              ;   Parent Loop BB42_2 Depth=1
                                        ; =>  This Inner Loop Header: Depth=2
	v_sub_u32_e32 v43, v41, v42
	v_lshrrev_b32_e32 v44, 31, v43
	v_add_u32_e32 v43, v43, v44
	v_ashrrev_i32_e32 v43, 1, v43
	v_add_u32_e32 v43, v43, v42
	v_not_b32_e32 v45, v43
	v_add_u32_e32 v44, v5, v43
	v_add3_u32 v45, v6, v45, v18
	ds_read_i8 v44, v44
	ds_read_i8 v45, v45
	v_add_u32_e32 v46, 1, v43
	s_waitcnt lgkmcnt(0)
	v_cmp_lt_i16_e64 s[10:11], v45, v44
	s_nop 1
	v_cndmask_b32_e64 v41, v41, v43, s[10:11]
	v_cndmask_b32_e64 v42, v46, v42, s[10:11]
	v_cmp_ge_i32_e64 s[10:11], v42, v41
	s_or_b64 s[14:15], s[10:11], s[14:15]
	s_andn2_b64 exec, exec, s[14:15]
	s_cbranch_execnz .LBB42_12
; %bb.13:                               ;   in Loop: Header=BB42_2 Depth=1
	s_or_b64 exec, exec, s[14:15]
.LBB42_14:                              ;   in Loop: Header=BB42_2 Depth=1
	s_or_b64 exec, exec, s[12:13]
	v_add_u32_e32 v41, v42, v5
	v_sub_u32_e32 v42, v27, v42
	ds_read_u8 v43, v41
	ds_read_u8 v44, v42
	v_cmp_le_i32_e64 s[12:13], v18, v41
	v_cmp_gt_i32_e64 s[10:11], v19, v42
                                        ; implicit-def: $vgpr45
	s_waitcnt lgkmcnt(1)
	v_bfe_i32 v43, v43, 0, 8
	s_waitcnt lgkmcnt(0)
	v_bfe_i32 v44, v44, 0, 8
	v_cmp_lt_i16_e64 s[14:15], v44, v43
	s_or_b64 s[12:13], s[12:13], s[14:15]
	s_and_b64 s[10:11], s[10:11], s[12:13]
	s_xor_b64 s[12:13], s[10:11], -1
	s_and_saveexec_b64 s[14:15], s[12:13]
	s_xor_b64 s[12:13], exec, s[14:15]
	s_cbranch_execz .LBB42_16
; %bb.15:                               ;   in Loop: Header=BB42_2 Depth=1
	ds_read_u8 v45, v41 offset:1
.LBB42_16:                              ;   in Loop: Header=BB42_2 Depth=1
	s_or_saveexec_b64 s[12:13], s[12:13]
	v_mov_b32_e32 v46, v44
	s_xor_b64 exec, exec, s[12:13]
	s_cbranch_execz .LBB42_18
; %bb.17:                               ;   in Loop: Header=BB42_2 Depth=1
	ds_read_u8 v46, v42 offset:1
	s_waitcnt lgkmcnt(1)
	v_mov_b32_e32 v45, v43
.LBB42_18:                              ;   in Loop: Header=BB42_2 Depth=1
	s_or_b64 exec, exec, s[12:13]
	v_add_u32_e32 v47, 1, v41
	v_cndmask_b32_e64 v43, v43, v44, s[10:11]
	v_add_u32_e32 v44, 1, v42
	v_cndmask_b32_e64 v41, v47, v41, s[10:11]
	v_cndmask_b32_e64 v42, v42, v44, s[10:11]
	v_cmp_ge_i32_e64 s[12:13], v41, v18
	s_waitcnt lgkmcnt(0)
	v_cmp_lt_i16_sdwa s[14:15], sext(v46), sext(v45) src0_sel:BYTE_0 src1_sel:BYTE_0
	v_cmp_lt_i32_e64 s[10:11], v42, v19
	s_or_b64 s[12:13], s[12:13], s[14:15]
	s_and_b64 s[10:11], s[10:11], s[12:13]
	v_mov_b32_e32 v42, v38
	v_cndmask_b32_e64 v41, v45, v46, s[10:11]
	s_waitcnt lgkmcnt(0)
	; wave barrier
	ds_write_b8 v2, v43
	ds_write_b8 v2, v41 offset:1
	s_waitcnt lgkmcnt(0)
	; wave barrier
	s_waitcnt lgkmcnt(0)
	s_and_saveexec_b64 s[12:13], s[4:5]
	s_cbranch_execz .LBB42_22
; %bb.19:                               ;   in Loop: Header=BB42_2 Depth=1
	s_mov_b64 s[14:15], 0
	v_mov_b32_e32 v42, v38
	v_mov_b32_e32 v41, v33
.LBB42_20:                              ;   Parent Loop BB42_2 Depth=1
                                        ; =>  This Inner Loop Header: Depth=2
	v_sub_u32_e32 v43, v41, v42
	v_lshrrev_b32_e32 v44, 31, v43
	v_add_u32_e32 v43, v43, v44
	v_ashrrev_i32_e32 v43, 1, v43
	v_add_u32_e32 v43, v43, v42
	v_not_b32_e32 v45, v43
	v_add_u32_e32 v44, v7, v43
	v_add3_u32 v45, v8, v45, v20
	ds_read_i8 v44, v44
	ds_read_i8 v45, v45
	v_add_u32_e32 v46, 1, v43
	s_waitcnt lgkmcnt(0)
	v_cmp_lt_i16_e64 s[10:11], v45, v44
	s_nop 1
	v_cndmask_b32_e64 v41, v41, v43, s[10:11]
	v_cndmask_b32_e64 v42, v46, v42, s[10:11]
	v_cmp_ge_i32_e64 s[10:11], v42, v41
	s_or_b64 s[14:15], s[10:11], s[14:15]
	s_andn2_b64 exec, exec, s[14:15]
	s_cbranch_execnz .LBB42_20
; %bb.21:                               ;   in Loop: Header=BB42_2 Depth=1
	s_or_b64 exec, exec, s[14:15]
.LBB42_22:                              ;   in Loop: Header=BB42_2 Depth=1
	s_or_b64 exec, exec, s[12:13]
	v_add_u32_e32 v41, v42, v7
	v_sub_u32_e32 v42, v28, v42
	ds_read_u8 v43, v41
	ds_read_u8 v44, v42
	v_cmp_le_i32_e64 s[12:13], v20, v41
	v_cmp_gt_i32_e64 s[10:11], v21, v42
                                        ; implicit-def: $vgpr45
	s_waitcnt lgkmcnt(1)
	v_bfe_i32 v43, v43, 0, 8
	s_waitcnt lgkmcnt(0)
	v_bfe_i32 v44, v44, 0, 8
	v_cmp_lt_i16_e64 s[14:15], v44, v43
	s_or_b64 s[12:13], s[12:13], s[14:15]
	s_and_b64 s[10:11], s[10:11], s[12:13]
	s_xor_b64 s[12:13], s[10:11], -1
	s_and_saveexec_b64 s[14:15], s[12:13]
	s_xor_b64 s[12:13], exec, s[14:15]
	s_cbranch_execz .LBB42_24
; %bb.23:                               ;   in Loop: Header=BB42_2 Depth=1
	ds_read_u8 v45, v41 offset:1
.LBB42_24:                              ;   in Loop: Header=BB42_2 Depth=1
	s_or_saveexec_b64 s[12:13], s[12:13]
	v_mov_b32_e32 v46, v44
	s_xor_b64 exec, exec, s[12:13]
	s_cbranch_execz .LBB42_26
; %bb.25:                               ;   in Loop: Header=BB42_2 Depth=1
	ds_read_u8 v46, v42 offset:1
	s_waitcnt lgkmcnt(1)
	v_mov_b32_e32 v45, v43
.LBB42_26:                              ;   in Loop: Header=BB42_2 Depth=1
	s_or_b64 exec, exec, s[12:13]
	v_add_u32_e32 v47, 1, v41
	v_cndmask_b32_e64 v43, v43, v44, s[10:11]
	v_add_u32_e32 v44, 1, v42
	v_cndmask_b32_e64 v41, v47, v41, s[10:11]
	v_cndmask_b32_e64 v42, v42, v44, s[10:11]
	v_cmp_ge_i32_e64 s[12:13], v41, v20
	s_waitcnt lgkmcnt(0)
	v_cmp_lt_i16_sdwa s[14:15], sext(v46), sext(v45) src0_sel:BYTE_0 src1_sel:BYTE_0
	v_cmp_lt_i32_e64 s[10:11], v42, v21
	s_or_b64 s[12:13], s[12:13], s[14:15]
	s_and_b64 s[10:11], s[10:11], s[12:13]
	v_mov_b32_e32 v42, v39
	v_cndmask_b32_e64 v41, v45, v46, s[10:11]
	s_waitcnt lgkmcnt(0)
	; wave barrier
	ds_write_b8 v2, v43
	ds_write_b8 v2, v41 offset:1
	s_waitcnt lgkmcnt(0)
	; wave barrier
	s_waitcnt lgkmcnt(0)
	s_and_saveexec_b64 s[12:13], s[6:7]
	s_cbranch_execz .LBB42_30
; %bb.27:                               ;   in Loop: Header=BB42_2 Depth=1
	s_mov_b64 s[14:15], 0
	v_mov_b32_e32 v42, v39
	v_mov_b32_e32 v41, v34
.LBB42_28:                              ;   Parent Loop BB42_2 Depth=1
                                        ; =>  This Inner Loop Header: Depth=2
	v_sub_u32_e32 v43, v41, v42
	v_lshrrev_b32_e32 v44, 31, v43
	v_add_u32_e32 v43, v43, v44
	v_ashrrev_i32_e32 v43, 1, v43
	v_add_u32_e32 v43, v43, v42
	v_not_b32_e32 v45, v43
	v_add_u32_e32 v44, v9, v43
	v_add3_u32 v45, v10, v45, v22
	ds_read_i8 v44, v44
	ds_read_i8 v45, v45
	v_add_u32_e32 v46, 1, v43
	s_waitcnt lgkmcnt(0)
	v_cmp_lt_i16_e64 s[10:11], v45, v44
	s_nop 1
	v_cndmask_b32_e64 v41, v41, v43, s[10:11]
	v_cndmask_b32_e64 v42, v46, v42, s[10:11]
	v_cmp_ge_i32_e64 s[10:11], v42, v41
	s_or_b64 s[14:15], s[10:11], s[14:15]
	s_andn2_b64 exec, exec, s[14:15]
	s_cbranch_execnz .LBB42_28
; %bb.29:                               ;   in Loop: Header=BB42_2 Depth=1
	s_or_b64 exec, exec, s[14:15]
.LBB42_30:                              ;   in Loop: Header=BB42_2 Depth=1
	s_or_b64 exec, exec, s[12:13]
	v_add_u32_e32 v41, v42, v9
	v_sub_u32_e32 v42, v29, v42
	ds_read_u8 v43, v41
	ds_read_u8 v44, v42
	v_cmp_le_i32_e64 s[12:13], v22, v41
	v_cmp_gt_i32_e64 s[10:11], v23, v42
                                        ; implicit-def: $vgpr45
	s_waitcnt lgkmcnt(1)
	v_bfe_i32 v43, v43, 0, 8
	s_waitcnt lgkmcnt(0)
	v_bfe_i32 v44, v44, 0, 8
	v_cmp_lt_i16_e64 s[14:15], v44, v43
	s_or_b64 s[12:13], s[12:13], s[14:15]
	s_and_b64 s[10:11], s[10:11], s[12:13]
	s_xor_b64 s[12:13], s[10:11], -1
	s_and_saveexec_b64 s[14:15], s[12:13]
	s_xor_b64 s[12:13], exec, s[14:15]
	s_cbranch_execz .LBB42_32
; %bb.31:                               ;   in Loop: Header=BB42_2 Depth=1
	ds_read_u8 v45, v41 offset:1
.LBB42_32:                              ;   in Loop: Header=BB42_2 Depth=1
	s_or_saveexec_b64 s[12:13], s[12:13]
	v_mov_b32_e32 v46, v44
	s_xor_b64 exec, exec, s[12:13]
	s_cbranch_execz .LBB42_34
; %bb.33:                               ;   in Loop: Header=BB42_2 Depth=1
	ds_read_u8 v46, v42 offset:1
	s_waitcnt lgkmcnt(1)
	v_mov_b32_e32 v45, v43
.LBB42_34:                              ;   in Loop: Header=BB42_2 Depth=1
	s_or_b64 exec, exec, s[12:13]
	v_add_u32_e32 v47, 1, v41
	v_cndmask_b32_e64 v43, v43, v44, s[10:11]
	v_add_u32_e32 v44, 1, v42
	v_cndmask_b32_e64 v41, v47, v41, s[10:11]
	v_cndmask_b32_e64 v42, v42, v44, s[10:11]
	v_cmp_ge_i32_e64 s[12:13], v41, v22
	s_waitcnt lgkmcnt(0)
	v_cmp_lt_i16_sdwa s[14:15], sext(v46), sext(v45) src0_sel:BYTE_0 src1_sel:BYTE_0
	v_cmp_lt_i32_e64 s[10:11], v42, v23
	s_or_b64 s[12:13], s[12:13], s[14:15]
	s_and_b64 s[10:11], s[10:11], s[12:13]
	v_mov_b32_e32 v42, v40
	v_cndmask_b32_e64 v41, v45, v46, s[10:11]
	s_waitcnt lgkmcnt(0)
	; wave barrier
	ds_write_b8 v2, v43
	ds_write_b8 v2, v41 offset:1
	s_waitcnt lgkmcnt(0)
	; wave barrier
	s_waitcnt lgkmcnt(0)
	s_and_saveexec_b64 s[12:13], s[8:9]
	s_cbranch_execz .LBB42_38
; %bb.35:                               ;   in Loop: Header=BB42_2 Depth=1
	s_mov_b64 s[14:15], 0
	v_mov_b32_e32 v42, v40
	v_mov_b32_e32 v41, v35
.LBB42_36:                              ;   Parent Loop BB42_2 Depth=1
                                        ; =>  This Inner Loop Header: Depth=2
	v_sub_u32_e32 v43, v41, v42
	v_lshrrev_b32_e32 v44, 31, v43
	v_add_u32_e32 v43, v43, v44
	v_ashrrev_i32_e32 v43, 1, v43
	v_add_u32_e32 v43, v43, v42
	v_not_b32_e32 v45, v43
	v_add_u32_e32 v44, v11, v43
	v_add3_u32 v45, v12, v45, v24
	ds_read_i8 v44, v44
	ds_read_i8 v45, v45
	v_add_u32_e32 v46, 1, v43
	s_waitcnt lgkmcnt(0)
	v_cmp_lt_i16_e64 s[10:11], v45, v44
	s_nop 1
	v_cndmask_b32_e64 v41, v41, v43, s[10:11]
	v_cndmask_b32_e64 v42, v46, v42, s[10:11]
	v_cmp_ge_i32_e64 s[10:11], v42, v41
	s_or_b64 s[14:15], s[10:11], s[14:15]
	s_andn2_b64 exec, exec, s[14:15]
	s_cbranch_execnz .LBB42_36
; %bb.37:                               ;   in Loop: Header=BB42_2 Depth=1
	s_or_b64 exec, exec, s[14:15]
.LBB42_38:                              ;   in Loop: Header=BB42_2 Depth=1
	s_or_b64 exec, exec, s[12:13]
	v_add_u32_e32 v41, v42, v11
	v_sub_u32_e32 v42, v30, v42
	ds_read_u8 v43, v41
	ds_read_u8 v44, v42
	v_cmp_le_i32_e64 s[12:13], v24, v41
	v_cmp_gt_i32_e64 s[10:11], v25, v42
                                        ; implicit-def: $vgpr45
	s_waitcnt lgkmcnt(1)
	v_bfe_i32 v43, v43, 0, 8
	s_waitcnt lgkmcnt(0)
	v_bfe_i32 v44, v44, 0, 8
	v_cmp_lt_i16_e64 s[14:15], v44, v43
	s_or_b64 s[12:13], s[12:13], s[14:15]
	s_and_b64 s[10:11], s[10:11], s[12:13]
	s_xor_b64 s[12:13], s[10:11], -1
	s_and_saveexec_b64 s[14:15], s[12:13]
	s_xor_b64 s[12:13], exec, s[14:15]
	s_cbranch_execz .LBB42_40
; %bb.39:                               ;   in Loop: Header=BB42_2 Depth=1
	ds_read_u8 v45, v41 offset:1
.LBB42_40:                              ;   in Loop: Header=BB42_2 Depth=1
	s_or_saveexec_b64 s[12:13], s[12:13]
	v_mov_b32_e32 v46, v44
	s_xor_b64 exec, exec, s[12:13]
	s_cbranch_execz .LBB42_42
; %bb.41:                               ;   in Loop: Header=BB42_2 Depth=1
	ds_read_u8 v46, v42 offset:1
	s_waitcnt lgkmcnt(1)
	v_mov_b32_e32 v45, v43
.LBB42_42:                              ;   in Loop: Header=BB42_2 Depth=1
	s_or_b64 exec, exec, s[12:13]
	v_add_u32_e32 v47, 1, v41
	v_cndmask_b32_e64 v43, v43, v44, s[10:11]
	v_add_u32_e32 v44, 1, v42
	v_cndmask_b32_e64 v41, v47, v41, s[10:11]
	v_cndmask_b32_e64 v42, v42, v44, s[10:11]
	v_cmp_ge_i32_e64 s[12:13], v41, v24
	s_waitcnt lgkmcnt(0)
	v_cmp_lt_i16_sdwa s[14:15], sext(v46), sext(v45) src0_sel:BYTE_0 src1_sel:BYTE_0
	v_cmp_lt_i32_e64 s[10:11], v42, v25
	s_or_b64 s[12:13], s[12:13], s[14:15]
	s_and_b64 s[10:11], s[10:11], s[12:13]
	v_cndmask_b32_e64 v41, v45, v46, s[10:11]
	s_waitcnt lgkmcnt(0)
	; wave barrier
	ds_write_b8 v2, v43
	ds_write_b8 v2, v41 offset:1
	v_mov_b32_e32 v41, v13
	s_waitcnt lgkmcnt(0)
	; wave barrier
	s_waitcnt lgkmcnt(0)
	s_and_saveexec_b64 s[12:13], vcc
	s_cbranch_execz .LBB42_46
; %bb.43:                               ;   in Loop: Header=BB42_2 Depth=1
	s_mov_b64 s[14:15], 0
	v_mov_b32_e32 v41, v13
	v_mov_b32_e32 v42, v14
.LBB42_44:                              ;   Parent Loop BB42_2 Depth=1
                                        ; =>  This Inner Loop Header: Depth=2
	v_sub_u32_e32 v43, v42, v41
	v_lshrrev_b32_e32 v44, 31, v43
	v_add_u32_e32 v43, v43, v44
	v_ashrrev_i32_e32 v43, 1, v43
	v_add_u32_e32 v43, v43, v41
	v_not_b32_e32 v44, v43
	v_add3_u32 v44, v2, v44, 64
	ds_read_i8 v45, v43
	ds_read_i8 v44, v44
	v_add_u32_e32 v46, 1, v43
	s_waitcnt lgkmcnt(0)
	v_cmp_lt_i16_e64 s[10:11], v44, v45
	s_nop 1
	v_cndmask_b32_e64 v42, v42, v43, s[10:11]
	v_cndmask_b32_e64 v41, v46, v41, s[10:11]
	v_cmp_ge_i32_e64 s[10:11], v41, v42
	s_or_b64 s[14:15], s[10:11], s[14:15]
	s_andn2_b64 exec, exec, s[14:15]
	s_cbranch_execnz .LBB42_44
; %bb.45:                               ;   in Loop: Header=BB42_2 Depth=1
	s_or_b64 exec, exec, s[14:15]
.LBB42_46:                              ;   in Loop: Header=BB42_2 Depth=1
	s_or_b64 exec, exec, s[12:13]
	v_sub_u32_e32 v42, v15, v41
	ds_read_u8 v43, v41
	ds_read_u8 v44, v42
	v_cmp_le_i32_e64 s[12:13], 64, v41
	v_cmp_gt_i32_e64 s[10:11], s21, v42
                                        ; implicit-def: $vgpr45
                                        ; implicit-def: $vgpr46
	s_waitcnt lgkmcnt(1)
	v_bfe_i32 v43, v43, 0, 8
	s_waitcnt lgkmcnt(0)
	v_bfe_i32 v44, v44, 0, 8
	v_cmp_lt_i16_e64 s[14:15], v44, v43
	s_or_b64 s[12:13], s[12:13], s[14:15]
	s_and_b64 s[10:11], s[10:11], s[12:13]
	s_xor_b64 s[12:13], s[10:11], -1
	s_and_saveexec_b64 s[14:15], s[12:13]
	s_xor_b64 s[12:13], exec, s[14:15]
	s_cbranch_execz .LBB42_48
; %bb.47:                               ;   in Loop: Header=BB42_2 Depth=1
	ds_read_u8 v45, v41 offset:1
	v_add_u32_e32 v46, 1, v41
                                        ; implicit-def: $vgpr41
.LBB42_48:                              ;   in Loop: Header=BB42_2 Depth=1
	s_or_saveexec_b64 s[12:13], s[12:13]
	v_mov_b32_e32 v47, v44
	s_xor_b64 exec, exec, s[12:13]
	s_cbranch_execz .LBB42_1
; %bb.49:                               ;   in Loop: Header=BB42_2 Depth=1
	ds_read_u8 v47, v42 offset:1
	v_add_u32_e32 v42, 1, v42
	v_mov_b32_e32 v46, v41
	s_waitcnt lgkmcnt(1)
	v_mov_b32_e32 v45, v43
	s_branch .LBB42_1
.LBB42_50:
	s_add_u32 s0, s18, s20
	s_addc_u32 s1, s19, 0
	v_lshl_add_u64 v[0:1], s[0:1], 0, v[0:1]
	global_store_byte v[0:1], v41, off
	global_store_byte v[0:1], v42, off offset:64
	s_endpgm
	.section	.rodata,"a",@progbits
	.p2align	6, 0x0
	.amdhsa_kernel _Z16sort_keys_kernelIaLj64ELj2EN10test_utils4lessELj10EEvPKT_PS2_T2_
		.amdhsa_group_segment_fixed_size 129
		.amdhsa_private_segment_fixed_size 0
		.amdhsa_kernarg_size 20
		.amdhsa_user_sgpr_count 2
		.amdhsa_user_sgpr_dispatch_ptr 0
		.amdhsa_user_sgpr_queue_ptr 0
		.amdhsa_user_sgpr_kernarg_segment_ptr 1
		.amdhsa_user_sgpr_dispatch_id 0
		.amdhsa_user_sgpr_kernarg_preload_length 0
		.amdhsa_user_sgpr_kernarg_preload_offset 0
		.amdhsa_user_sgpr_private_segment_size 0
		.amdhsa_uses_dynamic_stack 0
		.amdhsa_enable_private_segment 0
		.amdhsa_system_sgpr_workgroup_id_x 1
		.amdhsa_system_sgpr_workgroup_id_y 0
		.amdhsa_system_sgpr_workgroup_id_z 0
		.amdhsa_system_sgpr_workgroup_info 0
		.amdhsa_system_vgpr_workitem_id 0
		.amdhsa_next_free_vgpr 48
		.amdhsa_next_free_sgpr 22
		.amdhsa_accum_offset 48
		.amdhsa_reserve_vcc 1
		.amdhsa_float_round_mode_32 0
		.amdhsa_float_round_mode_16_64 0
		.amdhsa_float_denorm_mode_32 3
		.amdhsa_float_denorm_mode_16_64 3
		.amdhsa_dx10_clamp 1
		.amdhsa_ieee_mode 1
		.amdhsa_fp16_overflow 0
		.amdhsa_tg_split 0
		.amdhsa_exception_fp_ieee_invalid_op 0
		.amdhsa_exception_fp_denorm_src 0
		.amdhsa_exception_fp_ieee_div_zero 0
		.amdhsa_exception_fp_ieee_overflow 0
		.amdhsa_exception_fp_ieee_underflow 0
		.amdhsa_exception_fp_ieee_inexact 0
		.amdhsa_exception_int_div_zero 0
	.end_amdhsa_kernel
	.section	.text._Z16sort_keys_kernelIaLj64ELj2EN10test_utils4lessELj10EEvPKT_PS2_T2_,"axG",@progbits,_Z16sort_keys_kernelIaLj64ELj2EN10test_utils4lessELj10EEvPKT_PS2_T2_,comdat
.Lfunc_end42:
	.size	_Z16sort_keys_kernelIaLj64ELj2EN10test_utils4lessELj10EEvPKT_PS2_T2_, .Lfunc_end42-_Z16sort_keys_kernelIaLj64ELj2EN10test_utils4lessELj10EEvPKT_PS2_T2_
                                        ; -- End function
	.section	.AMDGPU.csdata,"",@progbits
; Kernel info:
; codeLenInByte = 2816
; NumSgprs: 28
; NumVgprs: 48
; NumAgprs: 0
; TotalNumVgprs: 48
; ScratchSize: 0
; MemoryBound: 0
; FloatMode: 240
; IeeeMode: 1
; LDSByteSize: 129 bytes/workgroup (compile time only)
; SGPRBlocks: 3
; VGPRBlocks: 5
; NumSGPRsForWavesPerEU: 28
; NumVGPRsForWavesPerEU: 48
; AccumOffset: 48
; Occupancy: 8
; WaveLimiterHint : 0
; COMPUTE_PGM_RSRC2:SCRATCH_EN: 0
; COMPUTE_PGM_RSRC2:USER_SGPR: 2
; COMPUTE_PGM_RSRC2:TRAP_HANDLER: 0
; COMPUTE_PGM_RSRC2:TGID_X_EN: 1
; COMPUTE_PGM_RSRC2:TGID_Y_EN: 0
; COMPUTE_PGM_RSRC2:TGID_Z_EN: 0
; COMPUTE_PGM_RSRC2:TIDIG_COMP_CNT: 0
; COMPUTE_PGM_RSRC3_GFX90A:ACCUM_OFFSET: 11
; COMPUTE_PGM_RSRC3_GFX90A:TG_SPLIT: 0
	.section	.text._Z17sort_pairs_kernelIaLj64ELj2EN10test_utils4lessELj10EEvPKT_PS2_T2_,"axG",@progbits,_Z17sort_pairs_kernelIaLj64ELj2EN10test_utils4lessELj10EEvPKT_PS2_T2_,comdat
	.protected	_Z17sort_pairs_kernelIaLj64ELj2EN10test_utils4lessELj10EEvPKT_PS2_T2_ ; -- Begin function _Z17sort_pairs_kernelIaLj64ELj2EN10test_utils4lessELj10EEvPKT_PS2_T2_
	.globl	_Z17sort_pairs_kernelIaLj64ELj2EN10test_utils4lessELj10EEvPKT_PS2_T2_
	.p2align	8
	.type	_Z17sort_pairs_kernelIaLj64ELj2EN10test_utils4lessELj10EEvPKT_PS2_T2_,@function
_Z17sort_pairs_kernelIaLj64ELj2EN10test_utils4lessELj10EEvPKT_PS2_T2_: ; @_Z17sort_pairs_kernelIaLj64ELj2EN10test_utils4lessELj10EEvPKT_PS2_T2_
; %bb.0:
	s_load_dwordx4 s[16:19], s[0:1], 0x0
	s_lshl_b32 s20, s2, 7
	v_lshlrev_b32_e32 v5, 1, v0
	v_and_b32_e32 v6, 0x7c, v5
	v_and_b32_e32 v8, 0x78, v5
	s_waitcnt lgkmcnt(0)
	s_add_u32 s0, s16, s20
	s_addc_u32 s1, s17, 0
	global_load_ubyte v2, v0, s[0:1] offset:64
	global_load_ubyte v3, v0, s[0:1]
	v_or_b32_e32 v19, 2, v6
	v_add_u32_e32 v20, 4, v6
	v_and_b32_e32 v7, 2, v5
	v_and_b32_e32 v10, 0x70, v5
	v_or_b32_e32 v21, 4, v8
	v_add_u32_e32 v22, 8, v8
	v_sub_u32_e32 v39, v20, v19
	v_and_b32_e32 v9, 6, v5
	v_and_b32_e32 v12, 0x60, v5
	v_or_b32_e32 v23, 8, v10
	v_add_u32_e32 v24, 16, v10
	v_sub_u32_e32 v4, v19, v6
	v_sub_u32_e32 v40, v22, v21
	;; [unrolled: 1-line block ×3, first 2 shown]
	v_cmp_ge_i32_e64 s[0:1], v7, v39
	v_and_b32_e32 v11, 14, v5
	v_and_b32_e32 v14, 64, v5
	v_or_b32_e32 v25, 16, v12
	v_add_u32_e32 v26, 32, v12
	v_sub_u32_e32 v41, v24, v23
	v_min_i32_e32 v34, v7, v4
	v_sub_u32_e32 v4, v9, v40
	v_cndmask_b32_e64 v39, 0, v44, s[0:1]
	v_cmp_ge_i32_e64 s[0:1], v9, v40
	v_and_b32_e32 v13, 30, v5
	v_or_b32_e32 v27, 32, v14
	v_add_u32_e32 v28, 64, v14
	v_sub_u32_e32 v42, v26, v25
	v_sub_u32_e32 v45, v11, v41
	v_cndmask_b32_e64 v40, 0, v4, s[0:1]
	v_cmp_ge_i32_e64 s[0:1], v11, v41
	v_and_b32_e32 v15, 62, v5
	v_sub_u32_e32 v43, v28, v27
	v_sub_u32_e32 v46, v13, v42
	v_cndmask_b32_e64 v41, 0, v45, s[0:1]
	v_cmp_ge_i32_e64 s[0:1], v13, v42
	v_sub_u32_e32 v35, v21, v8
	v_sub_u32_e32 v36, v23, v10
	;; [unrolled: 1-line block ×5, first 2 shown]
	v_cndmask_b32_e64 v42, 0, v46, s[0:1]
	v_cmp_ge_i32_e64 s[0:1], v15, v43
	v_sub_u32_e64 v16, v5, 64 clamp
	v_min_i32_e32 v17, 64, v5
	v_min_i32_e32 v35, v9, v35
	;; [unrolled: 1-line block ×5, first 2 shown]
	v_cndmask_b32_e64 v43, 0, v47, s[0:1]
	s_mov_b32 s21, 0
	v_mov_b32_e32 v1, 0
	s_mov_b32 s22, 0xc0c0001
	v_add_u32_e32 v18, 64, v5
	v_cmp_lt_i32_e32 vcc, v16, v17
	v_add_u32_e32 v29, v19, v7
	v_add_u32_e32 v30, v21, v9
	;; [unrolled: 1-line block ×5, first 2 shown]
	v_cmp_lt_i32_e64 s[0:1], v39, v34
	v_cmp_lt_i32_e64 s[2:3], v40, v35
	;; [unrolled: 1-line block ×5, first 2 shown]
	s_movk_i32 s23, 0x80
	s_waitcnt vmcnt(1)
	v_lshlrev_b16_e32 v2, 8, v2
	s_waitcnt vmcnt(0)
	v_add_u16_e32 v4, 1, v3
	v_or_b32_e32 v3, v3, v2
	v_or_b32_sdwa v2, v2, v4 dst_sel:DWORD dst_unused:UNUSED_PAD src0_sel:DWORD src1_sel:BYTE_0
	v_and_b32_e32 v4, 0xffff, v3
	v_add_u16_e32 v2, 0x100, v2
	s_branch .LBB43_2
.LBB43_1:                               ;   in Loop: Header=BB43_2 Depth=1
	s_or_b64 exec, exec, s[12:13]
	v_cmp_le_i32_e64 s[14:15], 64, v48
	s_waitcnt lgkmcnt(0)
	v_cmp_lt_i16_sdwa s[16:17], sext(v49), sext(v3) src0_sel:BYTE_0 src1_sel:BYTE_0
	v_cmp_gt_i32_e64 s[12:13], s23, v4
	s_or_b64 s[14:15], s[14:15], s[16:17]
	s_and_b64 s[12:13], s[12:13], s[14:15]
	v_cndmask_b32_e64 v4, v48, v4, s[12:13]
	s_waitcnt lgkmcnt(0)
	; wave barrier
	ds_write_b8 v5, v44
	ds_write_b8 v5, v45 offset:1
	s_waitcnt lgkmcnt(0)
	; wave barrier
	s_waitcnt lgkmcnt(0)
	ds_read_u8 v44, v2
	ds_read_u8 v45, v4
	v_cndmask_b32_e64 v3, v3, v49, s[12:13]
	v_cndmask_b32_e64 v46, v46, v47, s[10:11]
	v_lshlrev_b16_e32 v2, 8, v3
	v_or_b32_sdwa v2, v46, v2 dst_sel:DWORD dst_unused:UNUSED_PAD src0_sel:BYTE_0 src1_sel:DWORD
	v_and_b32_e32 v4, 0xffff, v2
	s_waitcnt lgkmcnt(0)
	v_lshlrev_b16_e32 v2, 8, v45
	v_or_b32_e32 v2, v44, v2
	s_add_i32 s21, s21, 1
	s_cmp_eq_u32 s21, 10
	v_and_b32_e32 v2, 0xffff, v2
	s_cbranch_scc1 .LBB43_50
.LBB43_2:                               ; =>This Loop Header: Depth=1
                                        ;     Child Loop BB43_4 Depth 2
                                        ;     Child Loop BB43_12 Depth 2
	;; [unrolled: 1-line block ×6, first 2 shown]
	v_perm_b32 v3, 0, v4, s22
	v_cmp_lt_i16_sdwa s[10:11], sext(v4), sext(v4) src0_sel:BYTE_1 src1_sel:BYTE_0
	s_waitcnt lgkmcnt(0)
	; wave barrier
	s_nop 0
	v_cndmask_b32_e64 v3, v4, v3, s[10:11]
	ds_write_b8 v5, v3
	v_lshrrev_b16_e32 v3, 8, v3
	v_mov_b32_e32 v4, v39
	ds_write_b8 v5, v3 offset:1
	s_waitcnt lgkmcnt(0)
	; wave barrier
	s_waitcnt lgkmcnt(0)
	s_and_saveexec_b64 s[14:15], s[0:1]
	s_cbranch_execz .LBB43_6
; %bb.3:                                ;   in Loop: Header=BB43_2 Depth=1
	s_mov_b64 s[16:17], 0
	v_mov_b32_e32 v4, v39
	v_mov_b32_e32 v3, v34
.LBB43_4:                               ;   Parent Loop BB43_2 Depth=1
                                        ; =>  This Inner Loop Header: Depth=2
	v_sub_u32_e32 v44, v3, v4
	v_lshrrev_b32_e32 v45, 31, v44
	v_add_u32_e32 v44, v44, v45
	v_ashrrev_i32_e32 v44, 1, v44
	v_add_u32_e32 v44, v44, v4
	v_not_b32_e32 v46, v44
	v_add_u32_e32 v45, v6, v44
	v_add3_u32 v46, v7, v46, v19
	ds_read_i8 v45, v45
	ds_read_i8 v46, v46
	v_add_u32_e32 v47, 1, v44
	s_waitcnt lgkmcnt(0)
	v_cmp_lt_i16_e64 s[12:13], v46, v45
	s_nop 1
	v_cndmask_b32_e64 v3, v3, v44, s[12:13]
	v_cndmask_b32_e64 v4, v47, v4, s[12:13]
	v_cmp_ge_i32_e64 s[12:13], v4, v3
	s_or_b64 s[16:17], s[12:13], s[16:17]
	s_andn2_b64 exec, exec, s[16:17]
	s_cbranch_execnz .LBB43_4
; %bb.5:                                ;   in Loop: Header=BB43_2 Depth=1
	s_or_b64 exec, exec, s[16:17]
.LBB43_6:                               ;   in Loop: Header=BB43_2 Depth=1
	s_or_b64 exec, exec, s[14:15]
	v_add_u32_e32 v3, v4, v6
	v_sub_u32_e32 v4, v29, v4
	ds_read_u8 v44, v3
	ds_read_u8 v46, v4
	v_cmp_le_i32_e64 s[14:15], v19, v3
	v_cmp_gt_i32_e64 s[12:13], v20, v4
	s_waitcnt lgkmcnt(1)
	v_bfe_i32 v45, v44, 0, 8
	s_waitcnt lgkmcnt(0)
	v_bfe_i32 v46, v46, 0, 8
	v_cmp_lt_i16_e64 s[16:17], v46, v45
	s_or_b64 s[14:15], s[14:15], s[16:17]
	s_and_b64 s[12:13], s[12:13], s[14:15]
	s_xor_b64 s[14:15], s[12:13], -1
                                        ; implicit-def: $vgpr44
	s_and_saveexec_b64 s[16:17], s[14:15]
	s_xor_b64 s[14:15], exec, s[16:17]
	s_cbranch_execz .LBB43_8
; %bb.7:                                ;   in Loop: Header=BB43_2 Depth=1
	ds_read_u8 v44, v3 offset:1
.LBB43_8:                               ;   in Loop: Header=BB43_2 Depth=1
	s_or_saveexec_b64 s[14:15], s[14:15]
	v_mov_b32_e32 v47, v46
	s_xor_b64 exec, exec, s[14:15]
	s_cbranch_execz .LBB43_10
; %bb.9:                                ;   in Loop: Header=BB43_2 Depth=1
	ds_read_u8 v47, v4 offset:1
	s_waitcnt lgkmcnt(1)
	v_mov_b32_e32 v44, v45
.LBB43_10:                              ;   in Loop: Header=BB43_2 Depth=1
	s_or_b64 exec, exec, s[14:15]
	v_add_u32_e32 v49, 1, v3
	v_cndmask_b32_e64 v45, v45, v46, s[12:13]
	v_add_u32_e32 v46, 1, v4
	v_cndmask_b32_e64 v49, v49, v3, s[12:13]
	v_perm_b32 v48, 0, v2, s22
	v_cndmask_b32_e64 v46, v4, v46, s[12:13]
	v_cndmask_b32_e64 v3, v3, v4, s[12:13]
	v_cmp_ge_i32_e64 s[12:13], v49, v19
	s_waitcnt lgkmcnt(0)
	v_cmp_lt_i16_sdwa s[14:15], sext(v47), sext(v44) src0_sel:BYTE_0 src1_sel:BYTE_0
	v_cndmask_b32_e64 v2, v2, v48, s[10:11]
	v_cmp_lt_i32_e64 s[10:11], v46, v20
	s_or_b64 s[12:13], s[12:13], s[14:15]
	s_and_b64 s[10:11], s[10:11], s[12:13]
	s_waitcnt lgkmcnt(0)
	; wave barrier
	ds_write_b8 v5, v2
	v_lshrrev_b16_e32 v2, 8, v2
	v_cndmask_b32_e64 v4, v44, v47, s[10:11]
	v_cndmask_b32_e64 v44, v49, v46, s[10:11]
	ds_write_b8 v5, v2 offset:1
	s_waitcnt lgkmcnt(0)
	; wave barrier
	s_waitcnt lgkmcnt(0)
	ds_read_u8 v2, v3
	ds_read_u8 v3, v44
	v_mov_b32_e32 v44, v40
	s_waitcnt lgkmcnt(0)
	; wave barrier
	s_waitcnt lgkmcnt(0)
	ds_write_b8 v5, v45
	ds_write_b8 v5, v4 offset:1
	s_waitcnt lgkmcnt(0)
	; wave barrier
	s_waitcnt lgkmcnt(0)
	s_and_saveexec_b64 s[12:13], s[2:3]
	s_cbranch_execz .LBB43_14
; %bb.11:                               ;   in Loop: Header=BB43_2 Depth=1
	s_mov_b64 s[14:15], 0
	v_mov_b32_e32 v44, v40
	v_mov_b32_e32 v4, v35
.LBB43_12:                              ;   Parent Loop BB43_2 Depth=1
                                        ; =>  This Inner Loop Header: Depth=2
	v_sub_u32_e32 v45, v4, v44
	v_lshrrev_b32_e32 v46, 31, v45
	v_add_u32_e32 v45, v45, v46
	v_ashrrev_i32_e32 v45, 1, v45
	v_add_u32_e32 v45, v45, v44
	v_not_b32_e32 v47, v45
	v_add_u32_e32 v46, v8, v45
	v_add3_u32 v47, v9, v47, v21
	ds_read_i8 v46, v46
	ds_read_i8 v47, v47
	v_add_u32_e32 v48, 1, v45
	s_waitcnt lgkmcnt(0)
	v_cmp_lt_i16_e64 s[10:11], v47, v46
	s_nop 1
	v_cndmask_b32_e64 v4, v4, v45, s[10:11]
	v_cndmask_b32_e64 v44, v48, v44, s[10:11]
	v_cmp_ge_i32_e64 s[10:11], v44, v4
	s_or_b64 s[14:15], s[10:11], s[14:15]
	s_andn2_b64 exec, exec, s[14:15]
	s_cbranch_execnz .LBB43_12
; %bb.13:                               ;   in Loop: Header=BB43_2 Depth=1
	s_or_b64 exec, exec, s[14:15]
.LBB43_14:                              ;   in Loop: Header=BB43_2 Depth=1
	s_or_b64 exec, exec, s[12:13]
	v_add_u32_e32 v4, v44, v8
	v_sub_u32_e32 v44, v30, v44
	ds_read_u8 v45, v4
	ds_read_u8 v46, v44
	v_cmp_le_i32_e64 s[12:13], v21, v4
	v_cmp_gt_i32_e64 s[10:11], v22, v44
	s_waitcnt lgkmcnt(1)
	v_bfe_i32 v45, v45, 0, 8
	s_waitcnt lgkmcnt(0)
	v_bfe_i32 v47, v46, 0, 8
	v_cmp_lt_i16_e64 s[14:15], v47, v45
	s_or_b64 s[12:13], s[12:13], s[14:15]
	s_and_b64 s[10:11], s[10:11], s[12:13]
	s_xor_b64 s[12:13], s[10:11], -1
                                        ; implicit-def: $vgpr46
	s_and_saveexec_b64 s[14:15], s[12:13]
	s_xor_b64 s[12:13], exec, s[14:15]
	s_cbranch_execz .LBB43_16
; %bb.15:                               ;   in Loop: Header=BB43_2 Depth=1
	ds_read_u8 v46, v4 offset:1
.LBB43_16:                              ;   in Loop: Header=BB43_2 Depth=1
	s_or_saveexec_b64 s[12:13], s[12:13]
	v_mov_b32_e32 v48, v47
	s_xor_b64 exec, exec, s[12:13]
	s_cbranch_execz .LBB43_18
; %bb.17:                               ;   in Loop: Header=BB43_2 Depth=1
	ds_read_u8 v48, v44 offset:1
	s_waitcnt lgkmcnt(1)
	v_mov_b32_e32 v46, v45
.LBB43_18:                              ;   in Loop: Header=BB43_2 Depth=1
	s_or_b64 exec, exec, s[12:13]
	v_add_u32_e32 v49, 1, v4
	v_cndmask_b32_e64 v45, v45, v47, s[10:11]
	v_add_u32_e32 v47, 1, v44
	v_cndmask_b32_e64 v49, v49, v4, s[10:11]
	v_cndmask_b32_e64 v47, v44, v47, s[10:11]
	v_cmp_ge_i32_e64 s[12:13], v49, v21
	s_waitcnt lgkmcnt(0)
	v_cmp_lt_i16_sdwa s[14:15], sext(v48), sext(v46) src0_sel:BYTE_0 src1_sel:BYTE_0
	v_cndmask_b32_e64 v4, v4, v44, s[10:11]
	v_cmp_lt_i32_e64 s[10:11], v47, v22
	s_or_b64 s[12:13], s[12:13], s[14:15]
	s_and_b64 s[10:11], s[10:11], s[12:13]
	v_cndmask_b32_e64 v44, v46, v48, s[10:11]
	v_cndmask_b32_e64 v46, v49, v47, s[10:11]
	s_waitcnt lgkmcnt(0)
	; wave barrier
	ds_write_b8 v5, v2
	ds_write_b8 v5, v3 offset:1
	s_waitcnt lgkmcnt(0)
	; wave barrier
	s_waitcnt lgkmcnt(0)
	ds_read_u8 v2, v4
	ds_read_u8 v3, v46
	s_waitcnt lgkmcnt(0)
	; wave barrier
	s_waitcnt lgkmcnt(0)
	ds_write_b8 v5, v45
	ds_write_b8 v5, v44 offset:1
	v_mov_b32_e32 v44, v41
	s_waitcnt lgkmcnt(0)
	; wave barrier
	s_waitcnt lgkmcnt(0)
	s_and_saveexec_b64 s[12:13], s[4:5]
	s_cbranch_execz .LBB43_22
; %bb.19:                               ;   in Loop: Header=BB43_2 Depth=1
	s_mov_b64 s[14:15], 0
	v_mov_b32_e32 v44, v41
	v_mov_b32_e32 v4, v36
.LBB43_20:                              ;   Parent Loop BB43_2 Depth=1
                                        ; =>  This Inner Loop Header: Depth=2
	v_sub_u32_e32 v45, v4, v44
	v_lshrrev_b32_e32 v46, 31, v45
	v_add_u32_e32 v45, v45, v46
	v_ashrrev_i32_e32 v45, 1, v45
	v_add_u32_e32 v45, v45, v44
	v_not_b32_e32 v47, v45
	v_add_u32_e32 v46, v10, v45
	v_add3_u32 v47, v11, v47, v23
	ds_read_i8 v46, v46
	ds_read_i8 v47, v47
	v_add_u32_e32 v48, 1, v45
	s_waitcnt lgkmcnt(0)
	v_cmp_lt_i16_e64 s[10:11], v47, v46
	s_nop 1
	v_cndmask_b32_e64 v4, v4, v45, s[10:11]
	v_cndmask_b32_e64 v44, v48, v44, s[10:11]
	v_cmp_ge_i32_e64 s[10:11], v44, v4
	s_or_b64 s[14:15], s[10:11], s[14:15]
	s_andn2_b64 exec, exec, s[14:15]
	s_cbranch_execnz .LBB43_20
; %bb.21:                               ;   in Loop: Header=BB43_2 Depth=1
	s_or_b64 exec, exec, s[14:15]
.LBB43_22:                              ;   in Loop: Header=BB43_2 Depth=1
	s_or_b64 exec, exec, s[12:13]
	v_add_u32_e32 v4, v44, v10
	v_sub_u32_e32 v44, v31, v44
	ds_read_u8 v45, v4
	ds_read_u8 v46, v44
	v_cmp_le_i32_e64 s[12:13], v23, v4
	v_cmp_gt_i32_e64 s[10:11], v24, v44
	s_waitcnt lgkmcnt(1)
	v_bfe_i32 v45, v45, 0, 8
	s_waitcnt lgkmcnt(0)
	v_bfe_i32 v47, v46, 0, 8
	v_cmp_lt_i16_e64 s[14:15], v47, v45
	s_or_b64 s[12:13], s[12:13], s[14:15]
	s_and_b64 s[10:11], s[10:11], s[12:13]
	s_xor_b64 s[12:13], s[10:11], -1
                                        ; implicit-def: $vgpr46
	s_and_saveexec_b64 s[14:15], s[12:13]
	s_xor_b64 s[12:13], exec, s[14:15]
	s_cbranch_execz .LBB43_24
; %bb.23:                               ;   in Loop: Header=BB43_2 Depth=1
	ds_read_u8 v46, v4 offset:1
.LBB43_24:                              ;   in Loop: Header=BB43_2 Depth=1
	s_or_saveexec_b64 s[12:13], s[12:13]
	v_mov_b32_e32 v48, v47
	s_xor_b64 exec, exec, s[12:13]
	s_cbranch_execz .LBB43_26
; %bb.25:                               ;   in Loop: Header=BB43_2 Depth=1
	ds_read_u8 v48, v44 offset:1
	s_waitcnt lgkmcnt(1)
	v_mov_b32_e32 v46, v45
.LBB43_26:                              ;   in Loop: Header=BB43_2 Depth=1
	s_or_b64 exec, exec, s[12:13]
	v_add_u32_e32 v49, 1, v4
	v_cndmask_b32_e64 v45, v45, v47, s[10:11]
	v_add_u32_e32 v47, 1, v44
	v_cndmask_b32_e64 v49, v49, v4, s[10:11]
	v_cndmask_b32_e64 v47, v44, v47, s[10:11]
	v_cmp_ge_i32_e64 s[12:13], v49, v23
	s_waitcnt lgkmcnt(0)
	v_cmp_lt_i16_sdwa s[14:15], sext(v48), sext(v46) src0_sel:BYTE_0 src1_sel:BYTE_0
	v_cndmask_b32_e64 v4, v4, v44, s[10:11]
	v_cmp_lt_i32_e64 s[10:11], v47, v24
	s_or_b64 s[12:13], s[12:13], s[14:15]
	s_and_b64 s[10:11], s[10:11], s[12:13]
	v_cndmask_b32_e64 v44, v46, v48, s[10:11]
	v_cndmask_b32_e64 v46, v49, v47, s[10:11]
	s_waitcnt lgkmcnt(0)
	; wave barrier
	ds_write_b8 v5, v2
	ds_write_b8 v5, v3 offset:1
	s_waitcnt lgkmcnt(0)
	; wave barrier
	s_waitcnt lgkmcnt(0)
	ds_read_u8 v2, v4
	ds_read_u8 v3, v46
	s_waitcnt lgkmcnt(0)
	; wave barrier
	s_waitcnt lgkmcnt(0)
	ds_write_b8 v5, v45
	ds_write_b8 v5, v44 offset:1
	v_mov_b32_e32 v44, v42
	s_waitcnt lgkmcnt(0)
	; wave barrier
	s_waitcnt lgkmcnt(0)
	s_and_saveexec_b64 s[12:13], s[6:7]
	s_cbranch_execz .LBB43_30
; %bb.27:                               ;   in Loop: Header=BB43_2 Depth=1
	s_mov_b64 s[14:15], 0
	v_mov_b32_e32 v44, v42
	v_mov_b32_e32 v4, v37
.LBB43_28:                              ;   Parent Loop BB43_2 Depth=1
                                        ; =>  This Inner Loop Header: Depth=2
	v_sub_u32_e32 v45, v4, v44
	v_lshrrev_b32_e32 v46, 31, v45
	v_add_u32_e32 v45, v45, v46
	v_ashrrev_i32_e32 v45, 1, v45
	v_add_u32_e32 v45, v45, v44
	v_not_b32_e32 v47, v45
	v_add_u32_e32 v46, v12, v45
	v_add3_u32 v47, v13, v47, v25
	ds_read_i8 v46, v46
	ds_read_i8 v47, v47
	v_add_u32_e32 v48, 1, v45
	s_waitcnt lgkmcnt(0)
	v_cmp_lt_i16_e64 s[10:11], v47, v46
	s_nop 1
	v_cndmask_b32_e64 v4, v4, v45, s[10:11]
	v_cndmask_b32_e64 v44, v48, v44, s[10:11]
	v_cmp_ge_i32_e64 s[10:11], v44, v4
	s_or_b64 s[14:15], s[10:11], s[14:15]
	s_andn2_b64 exec, exec, s[14:15]
	s_cbranch_execnz .LBB43_28
; %bb.29:                               ;   in Loop: Header=BB43_2 Depth=1
	s_or_b64 exec, exec, s[14:15]
.LBB43_30:                              ;   in Loop: Header=BB43_2 Depth=1
	s_or_b64 exec, exec, s[12:13]
	v_add_u32_e32 v4, v44, v12
	v_sub_u32_e32 v44, v32, v44
	ds_read_u8 v45, v4
	ds_read_u8 v46, v44
	v_cmp_le_i32_e64 s[12:13], v25, v4
	v_cmp_gt_i32_e64 s[10:11], v26, v44
	s_waitcnt lgkmcnt(1)
	v_bfe_i32 v45, v45, 0, 8
	s_waitcnt lgkmcnt(0)
	v_bfe_i32 v47, v46, 0, 8
	v_cmp_lt_i16_e64 s[14:15], v47, v45
	s_or_b64 s[12:13], s[12:13], s[14:15]
	s_and_b64 s[10:11], s[10:11], s[12:13]
	s_xor_b64 s[12:13], s[10:11], -1
                                        ; implicit-def: $vgpr46
	s_and_saveexec_b64 s[14:15], s[12:13]
	s_xor_b64 s[12:13], exec, s[14:15]
	s_cbranch_execz .LBB43_32
; %bb.31:                               ;   in Loop: Header=BB43_2 Depth=1
	ds_read_u8 v46, v4 offset:1
.LBB43_32:                              ;   in Loop: Header=BB43_2 Depth=1
	s_or_saveexec_b64 s[12:13], s[12:13]
	v_mov_b32_e32 v48, v47
	s_xor_b64 exec, exec, s[12:13]
	s_cbranch_execz .LBB43_34
; %bb.33:                               ;   in Loop: Header=BB43_2 Depth=1
	ds_read_u8 v48, v44 offset:1
	s_waitcnt lgkmcnt(1)
	v_mov_b32_e32 v46, v45
.LBB43_34:                              ;   in Loop: Header=BB43_2 Depth=1
	s_or_b64 exec, exec, s[12:13]
	v_add_u32_e32 v49, 1, v4
	v_cndmask_b32_e64 v45, v45, v47, s[10:11]
	v_add_u32_e32 v47, 1, v44
	v_cndmask_b32_e64 v49, v49, v4, s[10:11]
	v_cndmask_b32_e64 v47, v44, v47, s[10:11]
	v_cmp_ge_i32_e64 s[12:13], v49, v25
	s_waitcnt lgkmcnt(0)
	v_cmp_lt_i16_sdwa s[14:15], sext(v48), sext(v46) src0_sel:BYTE_0 src1_sel:BYTE_0
	v_cndmask_b32_e64 v4, v4, v44, s[10:11]
	v_cmp_lt_i32_e64 s[10:11], v47, v26
	s_or_b64 s[12:13], s[12:13], s[14:15]
	s_and_b64 s[10:11], s[10:11], s[12:13]
	v_cndmask_b32_e64 v44, v46, v48, s[10:11]
	v_cndmask_b32_e64 v46, v49, v47, s[10:11]
	s_waitcnt lgkmcnt(0)
	; wave barrier
	ds_write_b8 v5, v2
	ds_write_b8 v5, v3 offset:1
	s_waitcnt lgkmcnt(0)
	; wave barrier
	s_waitcnt lgkmcnt(0)
	ds_read_u8 v2, v4
	ds_read_u8 v3, v46
	s_waitcnt lgkmcnt(0)
	; wave barrier
	s_waitcnt lgkmcnt(0)
	ds_write_b8 v5, v45
	ds_write_b8 v5, v44 offset:1
	v_mov_b32_e32 v44, v43
	s_waitcnt lgkmcnt(0)
	; wave barrier
	s_waitcnt lgkmcnt(0)
	s_and_saveexec_b64 s[12:13], s[8:9]
	s_cbranch_execz .LBB43_38
; %bb.35:                               ;   in Loop: Header=BB43_2 Depth=1
	s_mov_b64 s[14:15], 0
	v_mov_b32_e32 v44, v43
	v_mov_b32_e32 v4, v38
.LBB43_36:                              ;   Parent Loop BB43_2 Depth=1
                                        ; =>  This Inner Loop Header: Depth=2
	v_sub_u32_e32 v45, v4, v44
	v_lshrrev_b32_e32 v46, 31, v45
	v_add_u32_e32 v45, v45, v46
	v_ashrrev_i32_e32 v45, 1, v45
	v_add_u32_e32 v45, v45, v44
	v_not_b32_e32 v47, v45
	v_add_u32_e32 v46, v14, v45
	v_add3_u32 v47, v15, v47, v27
	ds_read_i8 v46, v46
	ds_read_i8 v47, v47
	v_add_u32_e32 v48, 1, v45
	s_waitcnt lgkmcnt(0)
	v_cmp_lt_i16_e64 s[10:11], v47, v46
	s_nop 1
	v_cndmask_b32_e64 v4, v4, v45, s[10:11]
	v_cndmask_b32_e64 v44, v48, v44, s[10:11]
	v_cmp_ge_i32_e64 s[10:11], v44, v4
	s_or_b64 s[14:15], s[10:11], s[14:15]
	s_andn2_b64 exec, exec, s[14:15]
	s_cbranch_execnz .LBB43_36
; %bb.37:                               ;   in Loop: Header=BB43_2 Depth=1
	s_or_b64 exec, exec, s[14:15]
.LBB43_38:                              ;   in Loop: Header=BB43_2 Depth=1
	s_or_b64 exec, exec, s[12:13]
	v_add_u32_e32 v4, v44, v14
	v_sub_u32_e32 v44, v33, v44
	ds_read_u8 v45, v4
	ds_read_u8 v46, v44
	v_cmp_le_i32_e64 s[12:13], v27, v4
	v_cmp_gt_i32_e64 s[10:11], v28, v44
	s_waitcnt lgkmcnt(1)
	v_bfe_i32 v45, v45, 0, 8
	s_waitcnt lgkmcnt(0)
	v_bfe_i32 v47, v46, 0, 8
	v_cmp_lt_i16_e64 s[14:15], v47, v45
	s_or_b64 s[12:13], s[12:13], s[14:15]
	s_and_b64 s[10:11], s[10:11], s[12:13]
	s_xor_b64 s[12:13], s[10:11], -1
                                        ; implicit-def: $vgpr46
	s_and_saveexec_b64 s[14:15], s[12:13]
	s_xor_b64 s[12:13], exec, s[14:15]
	s_cbranch_execz .LBB43_40
; %bb.39:                               ;   in Loop: Header=BB43_2 Depth=1
	ds_read_u8 v46, v4 offset:1
.LBB43_40:                              ;   in Loop: Header=BB43_2 Depth=1
	s_or_saveexec_b64 s[12:13], s[12:13]
	v_mov_b32_e32 v48, v47
	s_xor_b64 exec, exec, s[12:13]
	s_cbranch_execz .LBB43_42
; %bb.41:                               ;   in Loop: Header=BB43_2 Depth=1
	ds_read_u8 v48, v44 offset:1
	s_waitcnt lgkmcnt(1)
	v_mov_b32_e32 v46, v45
.LBB43_42:                              ;   in Loop: Header=BB43_2 Depth=1
	s_or_b64 exec, exec, s[12:13]
	v_add_u32_e32 v49, 1, v4
	v_cndmask_b32_e64 v47, v45, v47, s[10:11]
	v_add_u32_e32 v45, 1, v44
	v_cndmask_b32_e64 v49, v49, v4, s[10:11]
	v_cndmask_b32_e64 v45, v44, v45, s[10:11]
	v_cmp_ge_i32_e64 s[12:13], v49, v27
	s_waitcnt lgkmcnt(0)
	v_cmp_lt_i16_sdwa s[14:15], sext(v48), sext(v46) src0_sel:BYTE_0 src1_sel:BYTE_0
	v_cndmask_b32_e64 v4, v4, v44, s[10:11]
	v_cmp_lt_i32_e64 s[10:11], v45, v28
	s_or_b64 s[12:13], s[12:13], s[14:15]
	s_and_b64 s[10:11], s[10:11], s[12:13]
	v_cndmask_b32_e64 v45, v49, v45, s[10:11]
	s_waitcnt lgkmcnt(0)
	; wave barrier
	ds_write_b8 v5, v2
	ds_write_b8 v5, v3 offset:1
	s_waitcnt lgkmcnt(0)
	; wave barrier
	s_waitcnt lgkmcnt(0)
	ds_read_u8 v44, v4
	ds_read_u8 v45, v45
	v_mov_b32_e32 v2, v16
	v_cndmask_b32_e64 v46, v46, v48, s[10:11]
	s_waitcnt lgkmcnt(0)
	; wave barrier
	s_waitcnt lgkmcnt(0)
	ds_write_b8 v5, v47
	ds_write_b8 v5, v46 offset:1
	s_waitcnt lgkmcnt(0)
	; wave barrier
	s_waitcnt lgkmcnt(0)
	s_and_saveexec_b64 s[12:13], vcc
	s_cbranch_execz .LBB43_46
; %bb.43:                               ;   in Loop: Header=BB43_2 Depth=1
	s_mov_b64 s[14:15], 0
	v_mov_b32_e32 v2, v16
	v_mov_b32_e32 v3, v17
.LBB43_44:                              ;   Parent Loop BB43_2 Depth=1
                                        ; =>  This Inner Loop Header: Depth=2
	v_sub_u32_e32 v4, v3, v2
	v_lshrrev_b32_e32 v46, 31, v4
	v_add_u32_e32 v4, v4, v46
	v_ashrrev_i32_e32 v4, 1, v4
	v_add_u32_e32 v4, v4, v2
	v_not_b32_e32 v46, v4
	v_add3_u32 v46, v5, v46, 64
	ds_read_i8 v47, v4
	ds_read_i8 v46, v46
	v_add_u32_e32 v48, 1, v4
	s_waitcnt lgkmcnt(0)
	v_cmp_lt_i16_e64 s[10:11], v46, v47
	s_nop 1
	v_cndmask_b32_e64 v3, v3, v4, s[10:11]
	v_cndmask_b32_e64 v2, v48, v2, s[10:11]
	v_cmp_ge_i32_e64 s[10:11], v2, v3
	s_or_b64 s[14:15], s[10:11], s[14:15]
	s_andn2_b64 exec, exec, s[14:15]
	s_cbranch_execnz .LBB43_44
; %bb.45:                               ;   in Loop: Header=BB43_2 Depth=1
	s_or_b64 exec, exec, s[14:15]
.LBB43_46:                              ;   in Loop: Header=BB43_2 Depth=1
	s_or_b64 exec, exec, s[12:13]
	v_sub_u32_e32 v4, v18, v2
	ds_read_u8 v3, v2
	ds_read_u8 v47, v4
	v_cmp_le_i32_e64 s[12:13], 64, v2
	v_cmp_gt_i32_e64 s[10:11], s23, v4
                                        ; implicit-def: $vgpr48
	s_waitcnt lgkmcnt(1)
	v_bfe_i32 v46, v3, 0, 8
	s_waitcnt lgkmcnt(0)
	v_bfe_i32 v47, v47, 0, 8
	v_cmp_lt_i16_e64 s[14:15], v47, v46
	s_or_b64 s[12:13], s[12:13], s[14:15]
	s_and_b64 s[10:11], s[10:11], s[12:13]
	s_xor_b64 s[12:13], s[10:11], -1
                                        ; implicit-def: $vgpr3
	s_and_saveexec_b64 s[14:15], s[12:13]
	s_xor_b64 s[12:13], exec, s[14:15]
	s_cbranch_execz .LBB43_48
; %bb.47:                               ;   in Loop: Header=BB43_2 Depth=1
	ds_read_u8 v3, v2 offset:1
	v_add_u32_e32 v48, 1, v2
.LBB43_48:                              ;   in Loop: Header=BB43_2 Depth=1
	s_or_saveexec_b64 s[12:13], s[12:13]
	v_mov_b32_e32 v49, v47
	s_xor_b64 exec, exec, s[12:13]
	s_cbranch_execz .LBB43_1
; %bb.49:                               ;   in Loop: Header=BB43_2 Depth=1
	ds_read_u8 v49, v4 offset:1
	v_mov_b32_e32 v48, v2
	v_add_u32_e32 v50, 1, v4
	s_waitcnt lgkmcnt(1)
	v_mov_b64_e32 v[2:3], v[4:5]
	v_mov_b32_e32 v4, v50
	v_mov_b32_e32 v3, v46
	s_branch .LBB43_1
.LBB43_50:
	s_add_u32 s0, s18, s20
	s_addc_u32 s1, s19, 0
	v_add_u16_e32 v2, v46, v44
	v_lshl_add_u64 v[0:1], s[0:1], 0, v[0:1]
	v_add_u16_e32 v3, v3, v45
	global_store_byte v[0:1], v2, off
	global_store_byte v[0:1], v3, off offset:64
	s_endpgm
	.section	.rodata,"a",@progbits
	.p2align	6, 0x0
	.amdhsa_kernel _Z17sort_pairs_kernelIaLj64ELj2EN10test_utils4lessELj10EEvPKT_PS2_T2_
		.amdhsa_group_segment_fixed_size 129
		.amdhsa_private_segment_fixed_size 0
		.amdhsa_kernarg_size 20
		.amdhsa_user_sgpr_count 2
		.amdhsa_user_sgpr_dispatch_ptr 0
		.amdhsa_user_sgpr_queue_ptr 0
		.amdhsa_user_sgpr_kernarg_segment_ptr 1
		.amdhsa_user_sgpr_dispatch_id 0
		.amdhsa_user_sgpr_kernarg_preload_length 0
		.amdhsa_user_sgpr_kernarg_preload_offset 0
		.amdhsa_user_sgpr_private_segment_size 0
		.amdhsa_uses_dynamic_stack 0
		.amdhsa_enable_private_segment 0
		.amdhsa_system_sgpr_workgroup_id_x 1
		.amdhsa_system_sgpr_workgroup_id_y 0
		.amdhsa_system_sgpr_workgroup_id_z 0
		.amdhsa_system_sgpr_workgroup_info 0
		.amdhsa_system_vgpr_workitem_id 0
		.amdhsa_next_free_vgpr 51
		.amdhsa_next_free_sgpr 24
		.amdhsa_accum_offset 52
		.amdhsa_reserve_vcc 1
		.amdhsa_float_round_mode_32 0
		.amdhsa_float_round_mode_16_64 0
		.amdhsa_float_denorm_mode_32 3
		.amdhsa_float_denorm_mode_16_64 3
		.amdhsa_dx10_clamp 1
		.amdhsa_ieee_mode 1
		.amdhsa_fp16_overflow 0
		.amdhsa_tg_split 0
		.amdhsa_exception_fp_ieee_invalid_op 0
		.amdhsa_exception_fp_denorm_src 0
		.amdhsa_exception_fp_ieee_div_zero 0
		.amdhsa_exception_fp_ieee_overflow 0
		.amdhsa_exception_fp_ieee_underflow 0
		.amdhsa_exception_fp_ieee_inexact 0
		.amdhsa_exception_int_div_zero 0
	.end_amdhsa_kernel
	.section	.text._Z17sort_pairs_kernelIaLj64ELj2EN10test_utils4lessELj10EEvPKT_PS2_T2_,"axG",@progbits,_Z17sort_pairs_kernelIaLj64ELj2EN10test_utils4lessELj10EEvPKT_PS2_T2_,comdat
.Lfunc_end43:
	.size	_Z17sort_pairs_kernelIaLj64ELj2EN10test_utils4lessELj10EEvPKT_PS2_T2_, .Lfunc_end43-_Z17sort_pairs_kernelIaLj64ELj2EN10test_utils4lessELj10EEvPKT_PS2_T2_
                                        ; -- End function
	.section	.AMDGPU.csdata,"",@progbits
; Kernel info:
; codeLenInByte = 3264
; NumSgprs: 30
; NumVgprs: 51
; NumAgprs: 0
; TotalNumVgprs: 51
; ScratchSize: 0
; MemoryBound: 0
; FloatMode: 240
; IeeeMode: 1
; LDSByteSize: 129 bytes/workgroup (compile time only)
; SGPRBlocks: 3
; VGPRBlocks: 6
; NumSGPRsForWavesPerEU: 30
; NumVGPRsForWavesPerEU: 51
; AccumOffset: 52
; Occupancy: 8
; WaveLimiterHint : 0
; COMPUTE_PGM_RSRC2:SCRATCH_EN: 0
; COMPUTE_PGM_RSRC2:USER_SGPR: 2
; COMPUTE_PGM_RSRC2:TRAP_HANDLER: 0
; COMPUTE_PGM_RSRC2:TGID_X_EN: 1
; COMPUTE_PGM_RSRC2:TGID_Y_EN: 0
; COMPUTE_PGM_RSRC2:TGID_Z_EN: 0
; COMPUTE_PGM_RSRC2:TIDIG_COMP_CNT: 0
; COMPUTE_PGM_RSRC3_GFX90A:ACCUM_OFFSET: 12
; COMPUTE_PGM_RSRC3_GFX90A:TG_SPLIT: 0
	.section	.text._Z16sort_keys_kernelIaLj64ELj3EN10test_utils4lessELj10EEvPKT_PS2_T2_,"axG",@progbits,_Z16sort_keys_kernelIaLj64ELj3EN10test_utils4lessELj10EEvPKT_PS2_T2_,comdat
	.protected	_Z16sort_keys_kernelIaLj64ELj3EN10test_utils4lessELj10EEvPKT_PS2_T2_ ; -- Begin function _Z16sort_keys_kernelIaLj64ELj3EN10test_utils4lessELj10EEvPKT_PS2_T2_
	.globl	_Z16sort_keys_kernelIaLj64ELj3EN10test_utils4lessELj10EEvPKT_PS2_T2_
	.p2align	8
	.type	_Z16sort_keys_kernelIaLj64ELj3EN10test_utils4lessELj10EEvPKT_PS2_T2_,@function
_Z16sort_keys_kernelIaLj64ELj3EN10test_utils4lessELj10EEvPKT_PS2_T2_: ; @_Z16sort_keys_kernelIaLj64ELj3EN10test_utils4lessELj10EEvPKT_PS2_T2_
; %bb.0:
	s_load_dwordx4 s[16:19], s[0:1], 0x0
	s_mul_i32 s20, s2, 0xc0
	v_and_b32_e32 v3, 62, v0
	v_and_b32_e32 v5, 60, v0
	v_mul_u32_u24_e32 v9, 3, v3
	s_waitcnt lgkmcnt(0)
	s_add_u32 s0, s16, s20
	s_addc_u32 s1, s17, 0
	global_load_ubyte v33, v0, s[0:1]
	global_load_ubyte v34, v0, s[0:1] offset:64
	global_load_ubyte v35, v0, s[0:1] offset:128
	v_and_b32_e32 v4, 1, v0
	v_and_b32_e32 v6, 56, v0
	v_mul_u32_u24_e32 v10, 3, v5
	v_min_u32_e32 v13, 0xbd, v9
	v_min_u32_e32 v14, 0xba, v9
	v_and_b32_e32 v7, 48, v0
	v_and_b32_e32 v8, 32, v0
	v_cmp_eq_u32_e32 vcc, 1, v4
	v_mul_u32_u24_e32 v11, 3, v6
	v_min_u32_e32 v15, 0xba, v10
	v_min_u32_e32 v16, 0xb4, v10
	v_add_u32_e32 v13, 3, v13
	v_add_u32_e32 v14, 6, v14
	v_and_b32_e32 v22, 3, v0
	v_cndmask_b32_e64 v3, 0, 3, vcc
	v_mul_u32_u24_e32 v12, 3, v7
	v_mul_u32_u24_e32 v36, 3, v8
	v_min_u32_e32 v17, 0xb4, v11
	v_min_u32_e32 v18, 0xa8, v11
	v_add_u32_e32 v15, 6, v15
	v_add_u32_e32 v16, 12, v16
	v_sub_u32_e32 v29, v14, v13
	v_and_b32_e32 v23, 7, v0
	v_mul_u32_u24_e32 v4, 3, v22
	v_min_u32_e32 v19, 0xa8, v12
	v_min_u32_e32 v20, 0x90, v12
	v_add_u32_e32 v17, 12, v17
	v_add_u32_e32 v18, 24, v18
	v_sub_u32_e32 v30, v16, v15
	v_sub_u32_e32 v37, v3, v29
	v_cmp_ge_i32_e32 vcc, v3, v29
	v_and_b32_e32 v24, 15, v0
	v_and_b32_e32 v38, 31, v0
	v_mul_u32_u24_e32 v5, 3, v23
	v_add_u32_e32 v19, 24, v19
	v_add_u32_e32 v20, 48, v20
	v_sub_u32_e32 v31, v18, v17
	v_sub_u32_e32 v39, v4, v30
	v_cndmask_b32_e32 v29, 0, v37, vcc
	v_cmp_ge_i32_e32 vcc, v4, v30
	v_mul_u32_u24_e32 v6, 3, v24
	v_mul_u32_u24_e32 v7, 3, v38
	v_min_u32_e32 v8, 0xc0, v9
	v_min_u32_e32 v9, 0xc0, v10
	;; [unrolled: 1-line block ×5, first 2 shown]
	v_sub_u32_e32 v32, v20, v19
	v_sub_u32_e32 v40, v5, v31
	v_cndmask_b32_e32 v30, 0, v39, vcc
	v_cmp_ge_i32_e32 vcc, v5, v31
	v_mul_u32_u24_e32 v2, 3, v0
	v_sub_u32_e32 v25, v13, v8
	v_sub_u32_e32 v26, v15, v9
	;; [unrolled: 1-line block ×5, first 2 shown]
	v_cndmask_b32_e32 v31, 0, v40, vcc
	v_cmp_ge_i32_e32 vcc, v6, v32
	v_min_i32_e32 v25, v3, v25
	v_min_i32_e32 v26, v4, v26
	;; [unrolled: 1-line block ×4, first 2 shown]
	v_cndmask_b32_e32 v32, 0, v41, vcc
	v_min_i32_e32 v40, 0x60, v2
	s_movk_i32 s16, 0xc0
	s_mov_b32 s17, 0
	v_mov_b32_e32 v1, 0
	v_add_u32_e32 v21, v13, v3
	v_mad_u32_u24 v22, v22, 3, v15
	v_mad_u32_u24 v23, v23, 3, v17
	;; [unrolled: 1-line block ×3, first 2 shown]
	v_cmp_lt_i32_e32 vcc, v29, v25
	v_cmp_lt_i32_e64 s[0:1], v30, v26
	v_cmp_lt_i32_e64 s[2:3], v31, v27
	;; [unrolled: 1-line block ×3, first 2 shown]
	s_mov_b32 s21, 0x7060405
	s_mov_b32 s22, 0x7000604
	s_waitcnt vmcnt(1)
	v_lshlrev_b16_e32 v34, 8, v34
	v_or_b32_e32 v33, v33, v34
	v_and_b32_e32 v33, 0xffff, v33
	s_waitcnt vmcnt(0)
	v_lshl_or_b32 v42, v35, 16, v33
	v_min_u32_e32 v33, 0x90, v36
	v_min_u32_e32 v35, 0x60, v36
	v_add_u32_e32 v33, 48, v33
	v_add_u32_e32 v35, 0x60, v35
	v_sub_u32_e32 v36, v35, v33
	v_mov_b32_e32 v34, 0x60
	v_sub_u32_e32 v37, v33, v12
	v_sub_u32_e32 v39, v7, v36
	v_cmp_ge_i32_e64 s[6:7], v7, v36
	v_min_i32_e32 v37, v7, v37
	v_mad_u32_u24 v38, v38, 3, v33
	v_cndmask_b32_e64 v36, 0, v39, s[6:7]
	v_sub_u32_e64 v39, v2, v34 clamp
	v_cmp_lt_i32_e64 s[6:7], v36, v37
	v_cmp_lt_i32_e64 s[8:9], v39, v40
	v_mad_u32_u24 v41, v0, 3, v34
	s_mov_b32 s23, 0xffff0000
	s_branch .LBB44_2
.LBB44_1:                               ;   in Loop: Header=BB44_2 Depth=1
	s_or_b64 exec, exec, s[14:15]
	v_cndmask_b32_e64 v45, v45, v46, s[12:13]
	v_cmp_ge_i32_e64 s[12:13], v49, v34
	s_waitcnt lgkmcnt(0)
	v_cmp_lt_i16_sdwa s[14:15], sext(v50), sext(v44) src0_sel:BYTE_0 src1_sel:BYTE_0
	v_cndmask_b32_e64 v43, v42, v43, s[10:11]
	v_cmp_gt_i32_e64 s[10:11], s16, v47
	s_or_b64 s[12:13], s[12:13], s[14:15]
	s_and_b64 s[10:11], s[10:11], s[12:13]
	v_cndmask_b32_e64 v44, v44, v50, s[10:11]
	v_lshlrev_b16_e32 v42, 8, v45
	v_and_b32_e32 v46, 0xff, v44
	v_or_b32_sdwa v42, v43, v42 dst_sel:DWORD dst_unused:UNUSED_PAD src0_sel:BYTE_0 src1_sel:DWORD
	v_lshlrev_b32_e32 v46, 16, v46
	s_add_i32 s17, s17, 1
	s_cmp_eq_u32 s17, 10
	v_or_b32_sdwa v42, v42, v46 dst_sel:DWORD dst_unused:UNUSED_PAD src0_sel:WORD_0 src1_sel:DWORD
	s_cbranch_scc1 .LBB44_74
.LBB44_2:                               ; =>This Loop Header: Depth=1
                                        ;     Child Loop BB44_4 Depth 2
                                        ;     Child Loop BB44_16 Depth 2
	;; [unrolled: 1-line block ×6, first 2 shown]
	v_lshrrev_b32_e32 v44, 8, v42
	v_perm_b32 v43, v42, v42, s21
	v_cmp_lt_i16_sdwa s[10:11], sext(v44), sext(v42) src0_sel:BYTE_0 src1_sel:BYTE_0
	v_min_i16_sdwa v46, sext(v44), sext(v42) dst_sel:DWORD dst_unused:UNUSED_PAD src0_sel:BYTE_0 src1_sel:BYTE_0
	s_nop 0
	v_cndmask_b32_e64 v43, v42, v43, s[10:11]
	v_lshrrev_b32_e32 v45, 16, v43
	v_max_i16_sdwa v42, sext(v44), sext(v42) dst_sel:DWORD dst_unused:UNUSED_PAD src0_sel:BYTE_0 src1_sel:BYTE_0
	v_perm_b32 v44, v43, v42, s22
	v_cmp_lt_i16_sdwa s[10:11], sext(v45), v42 src0_sel:BYTE_0 src1_sel:DWORD
	v_min_i16_sdwa v42, sext(v45), v42 dst_sel:DWORD dst_unused:UNUSED_PAD src0_sel:BYTE_0 src1_sel:DWORD
	; wave barrier
	s_nop 0
	v_cndmask_b32_e64 v43, v43, v44, s[10:11]
	v_lshlrev_b16_e32 v44, 8, v46
	v_or_b32_sdwa v42, v42, v44 dst_sel:DWORD dst_unused:UNUSED_PAD src0_sel:BYTE_0 src1_sel:DWORD
	v_and_b32_e32 v42, 0xffff, v42
	v_and_or_b32 v42, v43, s23, v42
	v_cmp_lt_i16_sdwa s[10:11], sext(v45), v46 src0_sel:BYTE_0 src1_sel:DWORD
	s_nop 1
	v_cndmask_b32_e64 v42, v43, v42, s[10:11]
	v_lshrrev_b32_e32 v43, 8, v42
	ds_write_b8 v2, v42
	ds_write_b8 v2, v43 offset:1
	ds_write_b8_d16_hi v2, v42 offset:2
	v_mov_b32_e32 v42, v29
	s_waitcnt lgkmcnt(0)
	; wave barrier
	s_waitcnt lgkmcnt(0)
	s_and_saveexec_b64 s[12:13], vcc
	s_cbranch_execz .LBB44_6
; %bb.3:                                ;   in Loop: Header=BB44_2 Depth=1
	s_mov_b64 s[14:15], 0
	v_mov_b32_e32 v42, v29
	v_mov_b32_e32 v43, v25
.LBB44_4:                               ;   Parent Loop BB44_2 Depth=1
                                        ; =>  This Inner Loop Header: Depth=2
	v_sub_u32_e32 v44, v43, v42
	v_lshrrev_b32_e32 v45, 31, v44
	v_add_u32_e32 v44, v44, v45
	v_ashrrev_i32_e32 v44, 1, v44
	v_add_u32_e32 v44, v44, v42
	v_not_b32_e32 v46, v44
	v_add_u32_e32 v45, v8, v44
	v_add3_u32 v46, v3, v46, v13
	ds_read_i8 v45, v45
	ds_read_i8 v46, v46
	v_add_u32_e32 v47, 1, v44
	s_waitcnt lgkmcnt(0)
	v_cmp_lt_i16_e64 s[10:11], v46, v45
	s_nop 1
	v_cndmask_b32_e64 v43, v43, v44, s[10:11]
	v_cndmask_b32_e64 v42, v47, v42, s[10:11]
	v_cmp_ge_i32_e64 s[10:11], v42, v43
	s_or_b64 s[14:15], s[10:11], s[14:15]
	s_andn2_b64 exec, exec, s[14:15]
	s_cbranch_execnz .LBB44_4
; %bb.5:                                ;   in Loop: Header=BB44_2 Depth=1
	s_or_b64 exec, exec, s[14:15]
.LBB44_6:                               ;   in Loop: Header=BB44_2 Depth=1
	s_or_b64 exec, exec, s[12:13]
	v_add_u32_e32 v46, v42, v8
	v_sub_u32_e32 v47, v21, v42
	ds_read_u8 v42, v46
	ds_read_u8 v43, v47
	v_cmp_le_i32_e64 s[12:13], v13, v46
	v_cmp_gt_i32_e64 s[10:11], v14, v47
                                        ; implicit-def: $vgpr44
	s_waitcnt lgkmcnt(1)
	v_bfe_i32 v42, v42, 0, 8
	s_waitcnt lgkmcnt(0)
	v_bfe_i32 v43, v43, 0, 8
	v_cmp_lt_i16_e64 s[14:15], v43, v42
	s_or_b64 s[12:13], s[12:13], s[14:15]
	s_and_b64 s[10:11], s[10:11], s[12:13]
	s_xor_b64 s[12:13], s[10:11], -1
	s_and_saveexec_b64 s[14:15], s[12:13]
	s_xor_b64 s[12:13], exec, s[14:15]
	s_cbranch_execz .LBB44_8
; %bb.7:                                ;   in Loop: Header=BB44_2 Depth=1
	ds_read_u8 v44, v46 offset:1
.LBB44_8:                               ;   in Loop: Header=BB44_2 Depth=1
	s_or_saveexec_b64 s[12:13], s[12:13]
	v_mov_b32_e32 v45, v43
	s_xor_b64 exec, exec, s[12:13]
	s_cbranch_execz .LBB44_10
; %bb.9:                                ;   in Loop: Header=BB44_2 Depth=1
	ds_read_u8 v45, v47 offset:1
	s_waitcnt lgkmcnt(1)
	v_mov_b32_e32 v44, v42
.LBB44_10:                              ;   in Loop: Header=BB44_2 Depth=1
	s_or_b64 exec, exec, s[12:13]
	v_add_u32_e32 v49, 1, v46
	v_add_u32_e32 v48, 1, v47
	v_cndmask_b32_e64 v46, v49, v46, s[10:11]
	v_cndmask_b32_e64 v47, v47, v48, s[10:11]
	v_cmp_ge_i32_e64 s[14:15], v46, v13
	s_waitcnt lgkmcnt(0)
	v_cmp_lt_i16_sdwa s[24:25], sext(v45), sext(v44) src0_sel:BYTE_0 src1_sel:BYTE_0
	v_cmp_lt_i32_e64 s[12:13], v47, v14
	s_or_b64 s[14:15], s[14:15], s[24:25]
	s_and_b64 s[12:13], s[12:13], s[14:15]
	s_xor_b64 s[14:15], s[12:13], -1
                                        ; implicit-def: $vgpr48
	s_and_saveexec_b64 s[24:25], s[14:15]
	s_xor_b64 s[14:15], exec, s[24:25]
	s_cbranch_execz .LBB44_12
; %bb.11:                               ;   in Loop: Header=BB44_2 Depth=1
	ds_read_u8 v48, v46 offset:1
.LBB44_12:                              ;   in Loop: Header=BB44_2 Depth=1
	s_or_saveexec_b64 s[14:15], s[14:15]
	v_mov_b32_e32 v49, v45
	s_xor_b64 exec, exec, s[14:15]
	s_cbranch_execz .LBB44_14
; %bb.13:                               ;   in Loop: Header=BB44_2 Depth=1
	ds_read_u8 v49, v47 offset:1
	s_waitcnt lgkmcnt(1)
	v_mov_b32_e32 v48, v44
.LBB44_14:                              ;   in Loop: Header=BB44_2 Depth=1
	s_or_b64 exec, exec, s[14:15]
	v_add_u32_e32 v50, 1, v46
	v_cndmask_b32_e64 v44, v44, v45, s[12:13]
	v_add_u32_e32 v45, 1, v47
	v_cndmask_b32_e64 v46, v50, v46, s[12:13]
	v_cndmask_b32_e64 v45, v47, v45, s[12:13]
	v_cmp_ge_i32_e64 s[12:13], v46, v13
	s_waitcnt lgkmcnt(0)
	v_cmp_lt_i16_sdwa s[14:15], sext(v49), sext(v48) src0_sel:BYTE_0 src1_sel:BYTE_0
	v_cndmask_b32_e64 v42, v42, v43, s[10:11]
	v_cmp_lt_i32_e64 s[10:11], v45, v14
	s_or_b64 s[12:13], s[12:13], s[14:15]
	s_and_b64 s[10:11], s[10:11], s[12:13]
	v_cndmask_b32_e64 v43, v48, v49, s[10:11]
	s_waitcnt lgkmcnt(0)
	; wave barrier
	ds_write_b8 v2, v42
	ds_write_b8 v2, v44 offset:1
	ds_write_b8 v2, v43 offset:2
	v_mov_b32_e32 v42, v30
	s_waitcnt lgkmcnt(0)
	; wave barrier
	s_waitcnt lgkmcnt(0)
	s_and_saveexec_b64 s[12:13], s[0:1]
	s_cbranch_execz .LBB44_18
; %bb.15:                               ;   in Loop: Header=BB44_2 Depth=1
	s_mov_b64 s[14:15], 0
	v_mov_b32_e32 v42, v30
	v_mov_b32_e32 v43, v26
.LBB44_16:                              ;   Parent Loop BB44_2 Depth=1
                                        ; =>  This Inner Loop Header: Depth=2
	v_sub_u32_e32 v44, v43, v42
	v_lshrrev_b32_e32 v45, 31, v44
	v_add_u32_e32 v44, v44, v45
	v_ashrrev_i32_e32 v44, 1, v44
	v_add_u32_e32 v44, v44, v42
	v_not_b32_e32 v46, v44
	v_add_u32_e32 v45, v9, v44
	v_add3_u32 v46, v4, v46, v15
	ds_read_i8 v45, v45
	ds_read_i8 v46, v46
	v_add_u32_e32 v47, 1, v44
	s_waitcnt lgkmcnt(0)
	v_cmp_lt_i16_e64 s[10:11], v46, v45
	s_nop 1
	v_cndmask_b32_e64 v43, v43, v44, s[10:11]
	v_cndmask_b32_e64 v42, v47, v42, s[10:11]
	v_cmp_ge_i32_e64 s[10:11], v42, v43
	s_or_b64 s[14:15], s[10:11], s[14:15]
	s_andn2_b64 exec, exec, s[14:15]
	s_cbranch_execnz .LBB44_16
; %bb.17:                               ;   in Loop: Header=BB44_2 Depth=1
	s_or_b64 exec, exec, s[14:15]
.LBB44_18:                              ;   in Loop: Header=BB44_2 Depth=1
	s_or_b64 exec, exec, s[12:13]
	v_add_u32_e32 v46, v42, v9
	v_sub_u32_e32 v47, v22, v42
	ds_read_u8 v42, v46
	ds_read_u8 v43, v47
	v_cmp_le_i32_e64 s[12:13], v15, v46
	v_cmp_gt_i32_e64 s[10:11], v16, v47
                                        ; implicit-def: $vgpr44
	s_waitcnt lgkmcnt(1)
	v_bfe_i32 v42, v42, 0, 8
	s_waitcnt lgkmcnt(0)
	v_bfe_i32 v43, v43, 0, 8
	v_cmp_lt_i16_e64 s[14:15], v43, v42
	s_or_b64 s[12:13], s[12:13], s[14:15]
	s_and_b64 s[10:11], s[10:11], s[12:13]
	s_xor_b64 s[12:13], s[10:11], -1
	s_and_saveexec_b64 s[14:15], s[12:13]
	s_xor_b64 s[12:13], exec, s[14:15]
	s_cbranch_execz .LBB44_20
; %bb.19:                               ;   in Loop: Header=BB44_2 Depth=1
	ds_read_u8 v44, v46 offset:1
.LBB44_20:                              ;   in Loop: Header=BB44_2 Depth=1
	s_or_saveexec_b64 s[12:13], s[12:13]
	v_mov_b32_e32 v45, v43
	s_xor_b64 exec, exec, s[12:13]
	s_cbranch_execz .LBB44_22
; %bb.21:                               ;   in Loop: Header=BB44_2 Depth=1
	ds_read_u8 v45, v47 offset:1
	s_waitcnt lgkmcnt(1)
	v_mov_b32_e32 v44, v42
.LBB44_22:                              ;   in Loop: Header=BB44_2 Depth=1
	s_or_b64 exec, exec, s[12:13]
	v_add_u32_e32 v49, 1, v46
	v_add_u32_e32 v48, 1, v47
	v_cndmask_b32_e64 v46, v49, v46, s[10:11]
	v_cndmask_b32_e64 v47, v47, v48, s[10:11]
	v_cmp_ge_i32_e64 s[14:15], v46, v15
	s_waitcnt lgkmcnt(0)
	v_cmp_lt_i16_sdwa s[24:25], sext(v45), sext(v44) src0_sel:BYTE_0 src1_sel:BYTE_0
	v_cmp_lt_i32_e64 s[12:13], v47, v16
	s_or_b64 s[14:15], s[14:15], s[24:25]
	s_and_b64 s[12:13], s[12:13], s[14:15]
	s_xor_b64 s[14:15], s[12:13], -1
                                        ; implicit-def: $vgpr48
	s_and_saveexec_b64 s[24:25], s[14:15]
	s_xor_b64 s[14:15], exec, s[24:25]
	s_cbranch_execz .LBB44_24
; %bb.23:                               ;   in Loop: Header=BB44_2 Depth=1
	ds_read_u8 v48, v46 offset:1
.LBB44_24:                              ;   in Loop: Header=BB44_2 Depth=1
	s_or_saveexec_b64 s[14:15], s[14:15]
	v_mov_b32_e32 v49, v45
	s_xor_b64 exec, exec, s[14:15]
	s_cbranch_execz .LBB44_26
; %bb.25:                               ;   in Loop: Header=BB44_2 Depth=1
	ds_read_u8 v49, v47 offset:1
	s_waitcnt lgkmcnt(1)
	v_mov_b32_e32 v48, v44
.LBB44_26:                              ;   in Loop: Header=BB44_2 Depth=1
	s_or_b64 exec, exec, s[14:15]
	v_add_u32_e32 v50, 1, v46
	v_cndmask_b32_e64 v44, v44, v45, s[12:13]
	v_add_u32_e32 v45, 1, v47
	v_cndmask_b32_e64 v46, v50, v46, s[12:13]
	v_cndmask_b32_e64 v45, v47, v45, s[12:13]
	v_cmp_ge_i32_e64 s[12:13], v46, v15
	s_waitcnt lgkmcnt(0)
	v_cmp_lt_i16_sdwa s[14:15], sext(v49), sext(v48) src0_sel:BYTE_0 src1_sel:BYTE_0
	v_cndmask_b32_e64 v42, v42, v43, s[10:11]
	v_cmp_lt_i32_e64 s[10:11], v45, v16
	s_or_b64 s[12:13], s[12:13], s[14:15]
	s_and_b64 s[10:11], s[10:11], s[12:13]
	v_cndmask_b32_e64 v43, v48, v49, s[10:11]
	s_waitcnt lgkmcnt(0)
	; wave barrier
	ds_write_b8 v2, v42
	ds_write_b8 v2, v44 offset:1
	ds_write_b8 v2, v43 offset:2
	v_mov_b32_e32 v42, v31
	s_waitcnt lgkmcnt(0)
	; wave barrier
	s_waitcnt lgkmcnt(0)
	s_and_saveexec_b64 s[12:13], s[2:3]
	s_cbranch_execz .LBB44_30
; %bb.27:                               ;   in Loop: Header=BB44_2 Depth=1
	s_mov_b64 s[14:15], 0
	v_mov_b32_e32 v42, v31
	v_mov_b32_e32 v43, v27
.LBB44_28:                              ;   Parent Loop BB44_2 Depth=1
                                        ; =>  This Inner Loop Header: Depth=2
	v_sub_u32_e32 v44, v43, v42
	v_lshrrev_b32_e32 v45, 31, v44
	v_add_u32_e32 v44, v44, v45
	v_ashrrev_i32_e32 v44, 1, v44
	v_add_u32_e32 v44, v44, v42
	v_not_b32_e32 v46, v44
	v_add_u32_e32 v45, v10, v44
	v_add3_u32 v46, v5, v46, v17
	ds_read_i8 v45, v45
	ds_read_i8 v46, v46
	v_add_u32_e32 v47, 1, v44
	s_waitcnt lgkmcnt(0)
	v_cmp_lt_i16_e64 s[10:11], v46, v45
	s_nop 1
	v_cndmask_b32_e64 v43, v43, v44, s[10:11]
	v_cndmask_b32_e64 v42, v47, v42, s[10:11]
	v_cmp_ge_i32_e64 s[10:11], v42, v43
	s_or_b64 s[14:15], s[10:11], s[14:15]
	s_andn2_b64 exec, exec, s[14:15]
	s_cbranch_execnz .LBB44_28
; %bb.29:                               ;   in Loop: Header=BB44_2 Depth=1
	s_or_b64 exec, exec, s[14:15]
.LBB44_30:                              ;   in Loop: Header=BB44_2 Depth=1
	s_or_b64 exec, exec, s[12:13]
	v_add_u32_e32 v46, v42, v10
	v_sub_u32_e32 v47, v23, v42
	ds_read_u8 v42, v46
	ds_read_u8 v43, v47
	v_cmp_le_i32_e64 s[12:13], v17, v46
	v_cmp_gt_i32_e64 s[10:11], v18, v47
                                        ; implicit-def: $vgpr44
	s_waitcnt lgkmcnt(1)
	v_bfe_i32 v42, v42, 0, 8
	s_waitcnt lgkmcnt(0)
	v_bfe_i32 v43, v43, 0, 8
	v_cmp_lt_i16_e64 s[14:15], v43, v42
	s_or_b64 s[12:13], s[12:13], s[14:15]
	s_and_b64 s[10:11], s[10:11], s[12:13]
	s_xor_b64 s[12:13], s[10:11], -1
	s_and_saveexec_b64 s[14:15], s[12:13]
	s_xor_b64 s[12:13], exec, s[14:15]
	s_cbranch_execz .LBB44_32
; %bb.31:                               ;   in Loop: Header=BB44_2 Depth=1
	ds_read_u8 v44, v46 offset:1
.LBB44_32:                              ;   in Loop: Header=BB44_2 Depth=1
	s_or_saveexec_b64 s[12:13], s[12:13]
	v_mov_b32_e32 v45, v43
	s_xor_b64 exec, exec, s[12:13]
	s_cbranch_execz .LBB44_34
; %bb.33:                               ;   in Loop: Header=BB44_2 Depth=1
	ds_read_u8 v45, v47 offset:1
	s_waitcnt lgkmcnt(1)
	v_mov_b32_e32 v44, v42
.LBB44_34:                              ;   in Loop: Header=BB44_2 Depth=1
	s_or_b64 exec, exec, s[12:13]
	v_add_u32_e32 v49, 1, v46
	v_add_u32_e32 v48, 1, v47
	v_cndmask_b32_e64 v46, v49, v46, s[10:11]
	v_cndmask_b32_e64 v47, v47, v48, s[10:11]
	v_cmp_ge_i32_e64 s[14:15], v46, v17
	s_waitcnt lgkmcnt(0)
	v_cmp_lt_i16_sdwa s[24:25], sext(v45), sext(v44) src0_sel:BYTE_0 src1_sel:BYTE_0
	v_cmp_lt_i32_e64 s[12:13], v47, v18
	s_or_b64 s[14:15], s[14:15], s[24:25]
	s_and_b64 s[12:13], s[12:13], s[14:15]
	s_xor_b64 s[14:15], s[12:13], -1
                                        ; implicit-def: $vgpr48
	s_and_saveexec_b64 s[24:25], s[14:15]
	s_xor_b64 s[14:15], exec, s[24:25]
	s_cbranch_execz .LBB44_36
; %bb.35:                               ;   in Loop: Header=BB44_2 Depth=1
	ds_read_u8 v48, v46 offset:1
.LBB44_36:                              ;   in Loop: Header=BB44_2 Depth=1
	s_or_saveexec_b64 s[14:15], s[14:15]
	v_mov_b32_e32 v49, v45
	s_xor_b64 exec, exec, s[14:15]
	s_cbranch_execz .LBB44_38
; %bb.37:                               ;   in Loop: Header=BB44_2 Depth=1
	ds_read_u8 v49, v47 offset:1
	s_waitcnt lgkmcnt(1)
	v_mov_b32_e32 v48, v44
.LBB44_38:                              ;   in Loop: Header=BB44_2 Depth=1
	s_or_b64 exec, exec, s[14:15]
	v_add_u32_e32 v50, 1, v46
	v_cndmask_b32_e64 v44, v44, v45, s[12:13]
	v_add_u32_e32 v45, 1, v47
	v_cndmask_b32_e64 v46, v50, v46, s[12:13]
	v_cndmask_b32_e64 v45, v47, v45, s[12:13]
	v_cmp_ge_i32_e64 s[12:13], v46, v17
	s_waitcnt lgkmcnt(0)
	v_cmp_lt_i16_sdwa s[14:15], sext(v49), sext(v48) src0_sel:BYTE_0 src1_sel:BYTE_0
	v_cndmask_b32_e64 v42, v42, v43, s[10:11]
	v_cmp_lt_i32_e64 s[10:11], v45, v18
	s_or_b64 s[12:13], s[12:13], s[14:15]
	s_and_b64 s[10:11], s[10:11], s[12:13]
	v_cndmask_b32_e64 v43, v48, v49, s[10:11]
	s_waitcnt lgkmcnt(0)
	; wave barrier
	ds_write_b8 v2, v42
	ds_write_b8 v2, v44 offset:1
	ds_write_b8 v2, v43 offset:2
	v_mov_b32_e32 v42, v32
	s_waitcnt lgkmcnt(0)
	; wave barrier
	s_waitcnt lgkmcnt(0)
	s_and_saveexec_b64 s[12:13], s[4:5]
	s_cbranch_execz .LBB44_42
; %bb.39:                               ;   in Loop: Header=BB44_2 Depth=1
	s_mov_b64 s[14:15], 0
	v_mov_b32_e32 v42, v32
	v_mov_b32_e32 v43, v28
.LBB44_40:                              ;   Parent Loop BB44_2 Depth=1
                                        ; =>  This Inner Loop Header: Depth=2
	v_sub_u32_e32 v44, v43, v42
	v_lshrrev_b32_e32 v45, 31, v44
	v_add_u32_e32 v44, v44, v45
	v_ashrrev_i32_e32 v44, 1, v44
	v_add_u32_e32 v44, v44, v42
	v_not_b32_e32 v46, v44
	v_add_u32_e32 v45, v11, v44
	v_add3_u32 v46, v6, v46, v19
	ds_read_i8 v45, v45
	ds_read_i8 v46, v46
	v_add_u32_e32 v47, 1, v44
	s_waitcnt lgkmcnt(0)
	v_cmp_lt_i16_e64 s[10:11], v46, v45
	s_nop 1
	v_cndmask_b32_e64 v43, v43, v44, s[10:11]
	v_cndmask_b32_e64 v42, v47, v42, s[10:11]
	v_cmp_ge_i32_e64 s[10:11], v42, v43
	s_or_b64 s[14:15], s[10:11], s[14:15]
	s_andn2_b64 exec, exec, s[14:15]
	s_cbranch_execnz .LBB44_40
; %bb.41:                               ;   in Loop: Header=BB44_2 Depth=1
	s_or_b64 exec, exec, s[14:15]
.LBB44_42:                              ;   in Loop: Header=BB44_2 Depth=1
	s_or_b64 exec, exec, s[12:13]
	v_add_u32_e32 v46, v42, v11
	v_sub_u32_e32 v47, v24, v42
	ds_read_u8 v42, v46
	ds_read_u8 v43, v47
	v_cmp_le_i32_e64 s[12:13], v19, v46
	v_cmp_gt_i32_e64 s[10:11], v20, v47
                                        ; implicit-def: $vgpr44
	s_waitcnt lgkmcnt(1)
	v_bfe_i32 v42, v42, 0, 8
	s_waitcnt lgkmcnt(0)
	v_bfe_i32 v43, v43, 0, 8
	v_cmp_lt_i16_e64 s[14:15], v43, v42
	s_or_b64 s[12:13], s[12:13], s[14:15]
	s_and_b64 s[10:11], s[10:11], s[12:13]
	s_xor_b64 s[12:13], s[10:11], -1
	s_and_saveexec_b64 s[14:15], s[12:13]
	s_xor_b64 s[12:13], exec, s[14:15]
	s_cbranch_execz .LBB44_44
; %bb.43:                               ;   in Loop: Header=BB44_2 Depth=1
	ds_read_u8 v44, v46 offset:1
.LBB44_44:                              ;   in Loop: Header=BB44_2 Depth=1
	s_or_saveexec_b64 s[12:13], s[12:13]
	v_mov_b32_e32 v45, v43
	s_xor_b64 exec, exec, s[12:13]
	s_cbranch_execz .LBB44_46
; %bb.45:                               ;   in Loop: Header=BB44_2 Depth=1
	ds_read_u8 v45, v47 offset:1
	s_waitcnt lgkmcnt(1)
	v_mov_b32_e32 v44, v42
.LBB44_46:                              ;   in Loop: Header=BB44_2 Depth=1
	s_or_b64 exec, exec, s[12:13]
	v_add_u32_e32 v49, 1, v46
	v_add_u32_e32 v48, 1, v47
	v_cndmask_b32_e64 v46, v49, v46, s[10:11]
	v_cndmask_b32_e64 v47, v47, v48, s[10:11]
	v_cmp_ge_i32_e64 s[14:15], v46, v19
	s_waitcnt lgkmcnt(0)
	v_cmp_lt_i16_sdwa s[24:25], sext(v45), sext(v44) src0_sel:BYTE_0 src1_sel:BYTE_0
	v_cmp_lt_i32_e64 s[12:13], v47, v20
	s_or_b64 s[14:15], s[14:15], s[24:25]
	s_and_b64 s[12:13], s[12:13], s[14:15]
	s_xor_b64 s[14:15], s[12:13], -1
                                        ; implicit-def: $vgpr48
	s_and_saveexec_b64 s[24:25], s[14:15]
	s_xor_b64 s[14:15], exec, s[24:25]
	s_cbranch_execz .LBB44_48
; %bb.47:                               ;   in Loop: Header=BB44_2 Depth=1
	ds_read_u8 v48, v46 offset:1
.LBB44_48:                              ;   in Loop: Header=BB44_2 Depth=1
	s_or_saveexec_b64 s[14:15], s[14:15]
	v_mov_b32_e32 v49, v45
	s_xor_b64 exec, exec, s[14:15]
	s_cbranch_execz .LBB44_50
; %bb.49:                               ;   in Loop: Header=BB44_2 Depth=1
	ds_read_u8 v49, v47 offset:1
	s_waitcnt lgkmcnt(1)
	v_mov_b32_e32 v48, v44
.LBB44_50:                              ;   in Loop: Header=BB44_2 Depth=1
	s_or_b64 exec, exec, s[14:15]
	v_add_u32_e32 v50, 1, v46
	v_cndmask_b32_e64 v44, v44, v45, s[12:13]
	v_add_u32_e32 v45, 1, v47
	v_cndmask_b32_e64 v46, v50, v46, s[12:13]
	v_cndmask_b32_e64 v45, v47, v45, s[12:13]
	v_cmp_ge_i32_e64 s[12:13], v46, v19
	s_waitcnt lgkmcnt(0)
	v_cmp_lt_i16_sdwa s[14:15], sext(v49), sext(v48) src0_sel:BYTE_0 src1_sel:BYTE_0
	v_cndmask_b32_e64 v42, v42, v43, s[10:11]
	v_cmp_lt_i32_e64 s[10:11], v45, v20
	s_or_b64 s[12:13], s[12:13], s[14:15]
	s_and_b64 s[10:11], s[10:11], s[12:13]
	v_cndmask_b32_e64 v43, v48, v49, s[10:11]
	s_waitcnt lgkmcnt(0)
	; wave barrier
	ds_write_b8 v2, v42
	ds_write_b8 v2, v44 offset:1
	ds_write_b8 v2, v43 offset:2
	v_mov_b32_e32 v42, v36
	s_waitcnt lgkmcnt(0)
	; wave barrier
	s_waitcnt lgkmcnt(0)
	s_and_saveexec_b64 s[12:13], s[6:7]
	s_cbranch_execz .LBB44_54
; %bb.51:                               ;   in Loop: Header=BB44_2 Depth=1
	s_mov_b64 s[14:15], 0
	v_mov_b32_e32 v42, v36
	v_mov_b32_e32 v43, v37
.LBB44_52:                              ;   Parent Loop BB44_2 Depth=1
                                        ; =>  This Inner Loop Header: Depth=2
	v_sub_u32_e32 v44, v43, v42
	v_lshrrev_b32_e32 v45, 31, v44
	v_add_u32_e32 v44, v44, v45
	v_ashrrev_i32_e32 v44, 1, v44
	v_add_u32_e32 v44, v44, v42
	v_not_b32_e32 v46, v44
	v_add_u32_e32 v45, v12, v44
	v_add3_u32 v46, v7, v46, v33
	ds_read_i8 v45, v45
	ds_read_i8 v46, v46
	v_add_u32_e32 v47, 1, v44
	s_waitcnt lgkmcnt(0)
	v_cmp_lt_i16_e64 s[10:11], v46, v45
	s_nop 1
	v_cndmask_b32_e64 v43, v43, v44, s[10:11]
	v_cndmask_b32_e64 v42, v47, v42, s[10:11]
	v_cmp_ge_i32_e64 s[10:11], v42, v43
	s_or_b64 s[14:15], s[10:11], s[14:15]
	s_andn2_b64 exec, exec, s[14:15]
	s_cbranch_execnz .LBB44_52
; %bb.53:                               ;   in Loop: Header=BB44_2 Depth=1
	s_or_b64 exec, exec, s[14:15]
.LBB44_54:                              ;   in Loop: Header=BB44_2 Depth=1
	s_or_b64 exec, exec, s[12:13]
	v_add_u32_e32 v46, v42, v12
	v_sub_u32_e32 v47, v38, v42
	ds_read_u8 v42, v46
	ds_read_u8 v43, v47
	v_cmp_le_i32_e64 s[12:13], v33, v46
	v_cmp_gt_i32_e64 s[10:11], v35, v47
                                        ; implicit-def: $vgpr44
	s_waitcnt lgkmcnt(1)
	v_bfe_i32 v42, v42, 0, 8
	s_waitcnt lgkmcnt(0)
	v_bfe_i32 v43, v43, 0, 8
	v_cmp_lt_i16_e64 s[14:15], v43, v42
	s_or_b64 s[12:13], s[12:13], s[14:15]
	s_and_b64 s[10:11], s[10:11], s[12:13]
	s_xor_b64 s[12:13], s[10:11], -1
	s_and_saveexec_b64 s[14:15], s[12:13]
	s_xor_b64 s[12:13], exec, s[14:15]
	s_cbranch_execz .LBB44_56
; %bb.55:                               ;   in Loop: Header=BB44_2 Depth=1
	ds_read_u8 v44, v46 offset:1
.LBB44_56:                              ;   in Loop: Header=BB44_2 Depth=1
	s_or_saveexec_b64 s[12:13], s[12:13]
	v_mov_b32_e32 v45, v43
	s_xor_b64 exec, exec, s[12:13]
	s_cbranch_execz .LBB44_58
; %bb.57:                               ;   in Loop: Header=BB44_2 Depth=1
	ds_read_u8 v45, v47 offset:1
	s_waitcnt lgkmcnt(1)
	v_mov_b32_e32 v44, v42
.LBB44_58:                              ;   in Loop: Header=BB44_2 Depth=1
	s_or_b64 exec, exec, s[12:13]
	v_add_u32_e32 v49, 1, v46
	v_add_u32_e32 v48, 1, v47
	v_cndmask_b32_e64 v46, v49, v46, s[10:11]
	v_cndmask_b32_e64 v47, v47, v48, s[10:11]
	v_cmp_ge_i32_e64 s[14:15], v46, v33
	s_waitcnt lgkmcnt(0)
	v_cmp_lt_i16_sdwa s[24:25], sext(v45), sext(v44) src0_sel:BYTE_0 src1_sel:BYTE_0
	v_cmp_lt_i32_e64 s[12:13], v47, v35
	s_or_b64 s[14:15], s[14:15], s[24:25]
	s_and_b64 s[12:13], s[12:13], s[14:15]
	s_xor_b64 s[14:15], s[12:13], -1
                                        ; implicit-def: $vgpr48
	s_and_saveexec_b64 s[24:25], s[14:15]
	s_xor_b64 s[14:15], exec, s[24:25]
	s_cbranch_execz .LBB44_60
; %bb.59:                               ;   in Loop: Header=BB44_2 Depth=1
	ds_read_u8 v48, v46 offset:1
.LBB44_60:                              ;   in Loop: Header=BB44_2 Depth=1
	s_or_saveexec_b64 s[14:15], s[14:15]
	v_mov_b32_e32 v49, v45
	s_xor_b64 exec, exec, s[14:15]
	s_cbranch_execz .LBB44_62
; %bb.61:                               ;   in Loop: Header=BB44_2 Depth=1
	ds_read_u8 v49, v47 offset:1
	s_waitcnt lgkmcnt(1)
	v_mov_b32_e32 v48, v44
.LBB44_62:                              ;   in Loop: Header=BB44_2 Depth=1
	s_or_b64 exec, exec, s[14:15]
	v_add_u32_e32 v50, 1, v46
	v_cndmask_b32_e64 v44, v44, v45, s[12:13]
	v_add_u32_e32 v45, 1, v47
	v_cndmask_b32_e64 v46, v50, v46, s[12:13]
	v_cndmask_b32_e64 v45, v47, v45, s[12:13]
	v_cmp_ge_i32_e64 s[12:13], v46, v33
	s_waitcnt lgkmcnt(0)
	v_cmp_lt_i16_sdwa s[14:15], sext(v49), sext(v48) src0_sel:BYTE_0 src1_sel:BYTE_0
	v_cndmask_b32_e64 v42, v42, v43, s[10:11]
	v_cmp_lt_i32_e64 s[10:11], v45, v35
	s_or_b64 s[12:13], s[12:13], s[14:15]
	s_and_b64 s[10:11], s[10:11], s[12:13]
	v_cndmask_b32_e64 v43, v48, v49, s[10:11]
	s_waitcnt lgkmcnt(0)
	; wave barrier
	ds_write_b8 v2, v42
	ds_write_b8 v2, v44 offset:1
	ds_write_b8 v2, v43 offset:2
	v_mov_b32_e32 v44, v39
	s_waitcnt lgkmcnt(0)
	; wave barrier
	s_waitcnt lgkmcnt(0)
	s_and_saveexec_b64 s[12:13], s[8:9]
	s_cbranch_execz .LBB44_66
; %bb.63:                               ;   in Loop: Header=BB44_2 Depth=1
	s_mov_b64 s[14:15], 0
	v_mov_b32_e32 v44, v39
	v_mov_b32_e32 v42, v40
.LBB44_64:                              ;   Parent Loop BB44_2 Depth=1
                                        ; =>  This Inner Loop Header: Depth=2
	v_sub_u32_e32 v43, v42, v44
	v_lshrrev_b32_e32 v45, 31, v43
	v_add_u32_e32 v43, v43, v45
	v_ashrrev_i32_e32 v43, 1, v43
	v_add_u32_e32 v43, v43, v44
	v_not_b32_e32 v45, v43
	v_add3_u32 v45, v2, v45, v34
	ds_read_i8 v46, v43
	ds_read_i8 v45, v45
	v_add_u32_e32 v47, 1, v43
	s_waitcnt lgkmcnt(0)
	v_cmp_lt_i16_e64 s[10:11], v45, v46
	s_nop 1
	v_cndmask_b32_e64 v42, v42, v43, s[10:11]
	v_cndmask_b32_e64 v44, v47, v44, s[10:11]
	v_cmp_ge_i32_e64 s[10:11], v44, v42
	s_or_b64 s[14:15], s[10:11], s[14:15]
	s_andn2_b64 exec, exec, s[14:15]
	s_cbranch_execnz .LBB44_64
; %bb.65:                               ;   in Loop: Header=BB44_2 Depth=1
	s_or_b64 exec, exec, s[14:15]
.LBB44_66:                              ;   in Loop: Header=BB44_2 Depth=1
	s_or_b64 exec, exec, s[12:13]
	v_sub_u32_e32 v47, v41, v44
	ds_read_u8 v42, v44
	ds_read_u8 v43, v47
	v_cmp_le_i32_e64 s[12:13], v34, v44
	v_cmp_gt_i32_e64 s[10:11], s16, v47
                                        ; implicit-def: $vgpr45
	s_waitcnt lgkmcnt(1)
	v_bfe_i32 v42, v42, 0, 8
	s_waitcnt lgkmcnt(0)
	v_bfe_i32 v43, v43, 0, 8
	v_cmp_lt_i16_e64 s[14:15], v43, v42
	s_or_b64 s[12:13], s[12:13], s[14:15]
	s_and_b64 s[10:11], s[10:11], s[12:13]
	s_xor_b64 s[12:13], s[10:11], -1
	s_and_saveexec_b64 s[14:15], s[12:13]
	s_xor_b64 s[12:13], exec, s[14:15]
	s_cbranch_execz .LBB44_68
; %bb.67:                               ;   in Loop: Header=BB44_2 Depth=1
	ds_read_u8 v45, v44 offset:1
.LBB44_68:                              ;   in Loop: Header=BB44_2 Depth=1
	s_or_saveexec_b64 s[12:13], s[12:13]
	v_mov_b32_e32 v46, v43
	s_xor_b64 exec, exec, s[12:13]
	s_cbranch_execz .LBB44_70
; %bb.69:                               ;   in Loop: Header=BB44_2 Depth=1
	ds_read_u8 v46, v47 offset:1
	s_waitcnt lgkmcnt(1)
	v_mov_b32_e32 v45, v42
.LBB44_70:                              ;   in Loop: Header=BB44_2 Depth=1
	s_or_b64 exec, exec, s[12:13]
	v_add_u32_e32 v48, 1, v47
	v_add_u32_e32 v49, 1, v44
	v_cndmask_b32_e64 v47, v47, v48, s[10:11]
	v_cndmask_b32_e64 v48, v49, v44, s[10:11]
	v_cmp_ge_i32_e64 s[14:15], v48, v34
	s_waitcnt lgkmcnt(0)
	v_cmp_lt_i16_sdwa s[24:25], sext(v46), sext(v45) src0_sel:BYTE_0 src1_sel:BYTE_0
	v_cmp_gt_i32_e64 s[12:13], s16, v47
	s_or_b64 s[14:15], s[14:15], s[24:25]
	s_and_b64 s[12:13], s[12:13], s[14:15]
	s_xor_b64 s[14:15], s[12:13], -1
                                        ; implicit-def: $vgpr44
                                        ; implicit-def: $vgpr49
	s_and_saveexec_b64 s[24:25], s[14:15]
	s_xor_b64 s[14:15], exec, s[24:25]
	s_cbranch_execz .LBB44_72
; %bb.71:                               ;   in Loop: Header=BB44_2 Depth=1
	ds_read_u8 v44, v48 offset:1
	v_add_u32_e32 v49, 1, v48
                                        ; implicit-def: $vgpr48
.LBB44_72:                              ;   in Loop: Header=BB44_2 Depth=1
	s_or_saveexec_b64 s[14:15], s[14:15]
	v_mov_b32_e32 v50, v46
	s_xor_b64 exec, exec, s[14:15]
	s_cbranch_execz .LBB44_1
; %bb.73:                               ;   in Loop: Header=BB44_2 Depth=1
	ds_read_u8 v50, v47 offset:1
	v_add_u32_e32 v47, 1, v47
	v_mov_b32_e32 v49, v48
	s_waitcnt lgkmcnt(1)
	v_mov_b32_e32 v44, v45
	s_branch .LBB44_1
.LBB44_74:
	s_add_u32 s0, s18, s20
	s_addc_u32 s1, s19, 0
	v_lshl_add_u64 v[0:1], s[0:1], 0, v[0:1]
	global_store_byte v[0:1], v43, off
	global_store_byte v[0:1], v45, off offset:64
	global_store_byte v[0:1], v44, off offset:128
	s_endpgm
	.section	.rodata,"a",@progbits
	.p2align	6, 0x0
	.amdhsa_kernel _Z16sort_keys_kernelIaLj64ELj3EN10test_utils4lessELj10EEvPKT_PS2_T2_
		.amdhsa_group_segment_fixed_size 193
		.amdhsa_private_segment_fixed_size 0
		.amdhsa_kernarg_size 20
		.amdhsa_user_sgpr_count 2
		.amdhsa_user_sgpr_dispatch_ptr 0
		.amdhsa_user_sgpr_queue_ptr 0
		.amdhsa_user_sgpr_kernarg_segment_ptr 1
		.amdhsa_user_sgpr_dispatch_id 0
		.amdhsa_user_sgpr_kernarg_preload_length 0
		.amdhsa_user_sgpr_kernarg_preload_offset 0
		.amdhsa_user_sgpr_private_segment_size 0
		.amdhsa_uses_dynamic_stack 0
		.amdhsa_enable_private_segment 0
		.amdhsa_system_sgpr_workgroup_id_x 1
		.amdhsa_system_sgpr_workgroup_id_y 0
		.amdhsa_system_sgpr_workgroup_id_z 0
		.amdhsa_system_sgpr_workgroup_info 0
		.amdhsa_system_vgpr_workitem_id 0
		.amdhsa_next_free_vgpr 51
		.amdhsa_next_free_sgpr 26
		.amdhsa_accum_offset 52
		.amdhsa_reserve_vcc 1
		.amdhsa_float_round_mode_32 0
		.amdhsa_float_round_mode_16_64 0
		.amdhsa_float_denorm_mode_32 3
		.amdhsa_float_denorm_mode_16_64 3
		.amdhsa_dx10_clamp 1
		.amdhsa_ieee_mode 1
		.amdhsa_fp16_overflow 0
		.amdhsa_tg_split 0
		.amdhsa_exception_fp_ieee_invalid_op 0
		.amdhsa_exception_fp_denorm_src 0
		.amdhsa_exception_fp_ieee_div_zero 0
		.amdhsa_exception_fp_ieee_overflow 0
		.amdhsa_exception_fp_ieee_underflow 0
		.amdhsa_exception_fp_ieee_inexact 0
		.amdhsa_exception_int_div_zero 0
	.end_amdhsa_kernel
	.section	.text._Z16sort_keys_kernelIaLj64ELj3EN10test_utils4lessELj10EEvPKT_PS2_T2_,"axG",@progbits,_Z16sort_keys_kernelIaLj64ELj3EN10test_utils4lessELj10EEvPKT_PS2_T2_,comdat
.Lfunc_end44:
	.size	_Z16sort_keys_kernelIaLj64ELj3EN10test_utils4lessELj10EEvPKT_PS2_T2_, .Lfunc_end44-_Z16sort_keys_kernelIaLj64ELj3EN10test_utils4lessELj10EEvPKT_PS2_T2_
                                        ; -- End function
	.section	.AMDGPU.csdata,"",@progbits
; Kernel info:
; codeLenInByte = 3948
; NumSgprs: 32
; NumVgprs: 51
; NumAgprs: 0
; TotalNumVgprs: 51
; ScratchSize: 0
; MemoryBound: 0
; FloatMode: 240
; IeeeMode: 1
; LDSByteSize: 193 bytes/workgroup (compile time only)
; SGPRBlocks: 3
; VGPRBlocks: 6
; NumSGPRsForWavesPerEU: 32
; NumVGPRsForWavesPerEU: 51
; AccumOffset: 52
; Occupancy: 8
; WaveLimiterHint : 0
; COMPUTE_PGM_RSRC2:SCRATCH_EN: 0
; COMPUTE_PGM_RSRC2:USER_SGPR: 2
; COMPUTE_PGM_RSRC2:TRAP_HANDLER: 0
; COMPUTE_PGM_RSRC2:TGID_X_EN: 1
; COMPUTE_PGM_RSRC2:TGID_Y_EN: 0
; COMPUTE_PGM_RSRC2:TGID_Z_EN: 0
; COMPUTE_PGM_RSRC2:TIDIG_COMP_CNT: 0
; COMPUTE_PGM_RSRC3_GFX90A:ACCUM_OFFSET: 12
; COMPUTE_PGM_RSRC3_GFX90A:TG_SPLIT: 0
	.section	.text._Z17sort_pairs_kernelIaLj64ELj3EN10test_utils4lessELj10EEvPKT_PS2_T2_,"axG",@progbits,_Z17sort_pairs_kernelIaLj64ELj3EN10test_utils4lessELj10EEvPKT_PS2_T2_,comdat
	.protected	_Z17sort_pairs_kernelIaLj64ELj3EN10test_utils4lessELj10EEvPKT_PS2_T2_ ; -- Begin function _Z17sort_pairs_kernelIaLj64ELj3EN10test_utils4lessELj10EEvPKT_PS2_T2_
	.globl	_Z17sort_pairs_kernelIaLj64ELj3EN10test_utils4lessELj10EEvPKT_PS2_T2_
	.p2align	8
	.type	_Z17sort_pairs_kernelIaLj64ELj3EN10test_utils4lessELj10EEvPKT_PS2_T2_,@function
_Z17sort_pairs_kernelIaLj64ELj3EN10test_utils4lessELj10EEvPKT_PS2_T2_: ; @_Z17sort_pairs_kernelIaLj64ELj3EN10test_utils4lessELj10EEvPKT_PS2_T2_
; %bb.0:
	s_load_dwordx4 s[20:23], s[0:1], 0x0
	s_mul_i32 s24, s2, 0xc0
	v_and_b32_e32 v3, 62, v0
	v_and_b32_e32 v5, 60, v0
	;; [unrolled: 1-line block ×3, first 2 shown]
	s_waitcnt lgkmcnt(0)
	s_add_u32 s0, s20, s24
	s_addc_u32 s1, s21, 0
	global_load_ubyte v30, v0, s[0:1] offset:64
	global_load_ubyte v31, v0, s[0:1] offset:128
	global_load_ubyte v32, v0, s[0:1]
	v_and_b32_e32 v7, 48, v0
	v_mul_u32_u24_e32 v8, 3, v3
	v_and_b32_e32 v4, 1, v0
	v_mul_u32_u24_e32 v9, 3, v5
	v_mul_u32_u24_e32 v10, 3, v6
	;; [unrolled: 1-line block ×3, first 2 shown]
	v_min_u32_e32 v12, 0xbd, v8
	v_min_u32_e32 v13, 0xba, v8
	v_cmp_eq_u32_e32 vcc, 1, v4
	v_min_u32_e32 v7, 0xc0, v8
	v_min_u32_e32 v8, 0xc0, v9
	;; [unrolled: 1-line block ×10, first 2 shown]
	v_add_u32_e32 v11, 3, v12
	v_add_u32_e32 v12, 6, v13
	v_and_b32_e32 v20, 3, v0
	v_cndmask_b32_e64 v3, 0, 3, vcc
	v_add_u32_e32 v13, 6, v14
	v_add_u32_e32 v14, 12, v15
	v_sub_u32_e32 v26, v12, v11
	v_mul_u32_u24_e32 v4, 3, v20
	v_sub_u32_e32 v27, v14, v13
	v_sub_u32_e32 v34, v3, v26
	v_cmp_ge_i32_e32 vcc, v3, v26
	v_sub_u32_e32 v35, v4, v27
	v_and_b32_e32 v21, 7, v0
	v_cndmask_b32_e32 v26, 0, v34, vcc
	v_cmp_ge_i32_e32 vcc, v4, v27
	v_and_b32_e32 v33, 15, v0
	v_add_u32_e32 v15, 12, v16
	v_cndmask_b32_e32 v27, 0, v35, vcc
	v_add_u32_e32 v16, 24, v17
	v_add_u32_e32 v17, 24, v18
	v_mul_u32_u24_e32 v5, 3, v21
	v_mul_u32_u24_e32 v6, 3, v33
	v_add_u32_e32 v18, 48, v19
	v_sub_u32_e32 v28, v16, v15
	v_sub_u32_e32 v29, v18, v17
	v_sub_u32_e32 v36, v5, v28
	v_cmp_ge_i32_e32 vcc, v5, v28
	v_and_b32_e32 v38, 31, v0
	v_sub_u32_e32 v37, v6, v29
	v_cndmask_b32_e32 v28, 0, v36, vcc
	v_cmp_ge_i32_e32 vcc, v6, v29
	v_mul_u32_u24_e32 v2, 3, v0
	v_sub_u32_e32 v22, v11, v7
	v_sub_u32_e32 v23, v13, v8
	;; [unrolled: 1-line block ×4, first 2 shown]
	v_cndmask_b32_e32 v29, 0, v37, vcc
	v_min_i32_e32 v22, v3, v22
	v_min_i32_e32 v23, v4, v23
	;; [unrolled: 1-line block ×5, first 2 shown]
	s_movk_i32 s25, 0xc0
	s_mov_b32 s26, 0
	v_mov_b32_e32 v1, 0
	v_add_u32_e32 v19, v11, v3
	v_mad_u32_u24 v20, v20, 3, v13
	v_mad_u32_u24 v21, v21, 3, v15
	v_cmp_lt_i32_e32 vcc, v26, v22
	v_cmp_lt_i32_e64 s[0:1], v27, v23
	v_cmp_lt_i32_e64 s[2:3], v28, v24
	v_cmp_lt_i32_e64 s[4:5], v29, v25
	s_mov_b32 s27, 0x7060405
	s_mov_b32 s28, 0x7000604
	;; [unrolled: 1-line block ×4, first 2 shown]
	s_waitcnt vmcnt(2)
	v_lshlrev_b16_e32 v30, 8, v30
	s_waitcnt vmcnt(1)
	v_lshlrev_b32_e32 v34, 16, v31
	s_waitcnt vmcnt(0)
	v_add_u16_e32 v35, 1, v32
	v_add_u16_e32 v31, 1, v31
	v_or_b32_e32 v32, v32, v30
	v_or_b32_sdwa v30, v30, v35 dst_sel:DWORD dst_unused:UNUSED_PAD src0_sel:DWORD src1_sel:BYTE_0
	v_and_b32_e32 v31, 0xff, v31
	v_add_u16_e32 v30, 0x100, v30
	v_lshlrev_b32_e32 v31, 16, v31
	v_or_b32_e32 v42, v30, v31
	v_and_b32_e32 v31, 32, v0
	v_mul_u32_u24_e32 v35, 3, v31
	v_or_b32_sdwa v43, v32, v34 dst_sel:DWORD dst_unused:UNUSED_PAD src0_sel:WORD_0 src1_sel:DWORD
	v_mad_u32_u24 v30, v33, 3, v17
	v_min_u32_e32 v32, 0xc0, v35
	v_min_u32_e32 v33, 0x90, v35
	;; [unrolled: 1-line block ×3, first 2 shown]
	v_add_u32_e32 v33, 48, v33
	v_add_u32_e32 v35, 0x60, v35
	v_mul_u32_u24_e32 v31, 3, v38
	v_sub_u32_e32 v36, v35, v33
	v_mov_b32_e32 v34, 0x60
	v_sub_u32_e32 v37, v33, v32
	v_sub_u32_e32 v39, v31, v36
	v_cmp_ge_i32_e64 s[6:7], v31, v36
	v_min_i32_e32 v37, v31, v37
	v_mad_u32_u24 v38, v38, 3, v33
	v_cndmask_b32_e64 v36, 0, v39, s[6:7]
	v_sub_u32_e64 v39, v2, v34 clamp
	v_cmp_lt_i32_e64 s[6:7], v36, v37
	v_cmp_lt_i32_e64 s[8:9], v39, v40
	v_mad_u32_u24 v41, v0, 3, v34
	s_branch .LBB45_2
.LBB45_1:                               ;   in Loop: Header=BB45_2 Depth=1
	s_or_b64 exec, exec, s[14:15]
	v_cndmask_b32_e64 v47, v47, v48, s[10:11]
	v_cndmask_b32_e64 v48, v49, v50, s[12:13]
	v_cmp_ge_i32_e64 s[12:13], v52, v34
	s_waitcnt lgkmcnt(0)
	v_cmp_lt_i16_sdwa s[14:15], sext(v56), sext(v53) src0_sel:BYTE_0 src1_sel:BYTE_0
	v_cndmask_b32_e64 v46, v45, v46, s[10:11]
	v_cmp_gt_i32_e64 s[10:11], s25, v51
	s_or_b64 s[12:13], s[12:13], s[14:15]
	s_and_b64 s[10:11], s[10:11], s[12:13]
	v_lshlrev_b16_e32 v49, 8, v48
	v_or_b32_sdwa v50, v47, v49 dst_sel:DWORD dst_unused:UNUSED_PAD src0_sel:BYTE_0 src1_sel:DWORD
	v_cndmask_b32_e64 v51, v52, v51, s[10:11]
	s_waitcnt lgkmcnt(0)
	; wave barrier
	ds_write_b8 v2, v43
	ds_write_b8 v2, v44 offset:1
	ds_write_b8 v2, v42 offset:2
	s_waitcnt lgkmcnt(0)
	; wave barrier
	s_waitcnt lgkmcnt(0)
	ds_read_u8 v44, v55
	ds_read_u8 v49, v46
	;; [unrolled: 1-line block ×3, first 2 shown]
	v_cndmask_b32_e64 v45, v53, v56, s[10:11]
	v_and_b32_e32 v53, 0xff, v45
	v_lshlrev_b32_e32 v42, 16, v53
	v_or_b32_sdwa v43, v50, v42 dst_sel:DWORD dst_unused:UNUSED_PAD src0_sel:WORD_0 src1_sel:DWORD
	s_waitcnt lgkmcnt(2)
	v_lshlrev_b16_e32 v42, 8, v44
	s_waitcnt lgkmcnt(1)
	v_or_b32_e32 v42, v49, v42
	s_waitcnt lgkmcnt(0)
	v_lshlrev_b32_e32 v50, 16, v46
	s_add_i32 s26, s26, 1
	s_cmp_eq_u32 s26, 10
	v_or_b32_sdwa v42, v42, v50 dst_sel:DWORD dst_unused:UNUSED_PAD src0_sel:WORD_0 src1_sel:DWORD
	s_cbranch_scc1 .LBB45_74
.LBB45_2:                               ; =>This Loop Header: Depth=1
                                        ;     Child Loop BB45_4 Depth 2
                                        ;     Child Loop BB45_16 Depth 2
	;; [unrolled: 1-line block ×6, first 2 shown]
	v_lshrrev_b32_e32 v45, 8, v43
	v_perm_b32 v44, v43, v43, s27
	v_cmp_lt_i16_sdwa s[12:13], sext(v45), sext(v43) src0_sel:BYTE_0 src1_sel:BYTE_0
	s_waitcnt lgkmcnt(0)
	; wave barrier
	s_nop 0
	v_cndmask_b32_e64 v44, v43, v44, s[12:13]
	v_lshrrev_b32_e32 v46, 16, v44
	v_max_i16_sdwa v43, sext(v45), sext(v43) dst_sel:DWORD dst_unused:UNUSED_PAD src0_sel:BYTE_0 src1_sel:BYTE_0
	v_perm_b32 v45, v44, v43, s28
	v_cmp_lt_i16_sdwa s[10:11], sext(v46), v43 src0_sel:BYTE_0 src1_sel:DWORD
	v_min_i16_sdwa v43, sext(v46), v43 dst_sel:DWORD dst_unused:UNUSED_PAD src0_sel:BYTE_0 src1_sel:DWORD
	s_nop 0
	v_cndmask_b32_e64 v44, v44, v45, s[10:11]
	v_lshlrev_b16_e32 v45, 8, v44
	v_or_b32_sdwa v45, v43, v45 dst_sel:DWORD dst_unused:UNUSED_PAD src0_sel:BYTE_0 src1_sel:DWORD
	v_and_b32_e32 v45, 0xffff, v45
	v_and_or_b32 v45, v44, s29, v45
	v_cmp_lt_i16_sdwa s[14:15], v43, sext(v44) src0_sel:DWORD src1_sel:BYTE_0
	s_nop 1
	v_cndmask_b32_e64 v43, v44, v45, s[14:15]
	v_lshrrev_b32_e32 v44, 8, v43
	ds_write_b8 v2, v43
	ds_write_b8 v2, v44 offset:1
	ds_write_b8_d16_hi v2, v43 offset:2
	v_mov_b32_e32 v44, v26
	s_waitcnt lgkmcnt(0)
	; wave barrier
	s_waitcnt lgkmcnt(0)
	s_and_saveexec_b64 s[18:19], vcc
	s_cbranch_execz .LBB45_6
; %bb.3:                                ;   in Loop: Header=BB45_2 Depth=1
	s_mov_b64 s[20:21], 0
	v_mov_b32_e32 v44, v26
	v_mov_b32_e32 v43, v22
.LBB45_4:                               ;   Parent Loop BB45_2 Depth=1
                                        ; =>  This Inner Loop Header: Depth=2
	v_sub_u32_e32 v45, v43, v44
	v_lshrrev_b32_e32 v46, 31, v45
	v_add_u32_e32 v45, v45, v46
	v_ashrrev_i32_e32 v45, 1, v45
	v_add_u32_e32 v45, v45, v44
	v_not_b32_e32 v47, v45
	v_add_u32_e32 v46, v7, v45
	v_add3_u32 v47, v3, v47, v11
	ds_read_i8 v46, v46
	ds_read_i8 v47, v47
	v_add_u32_e32 v48, 1, v45
	s_waitcnt lgkmcnt(0)
	v_cmp_lt_i16_e64 s[16:17], v47, v46
	s_nop 1
	v_cndmask_b32_e64 v43, v43, v45, s[16:17]
	v_cndmask_b32_e64 v44, v48, v44, s[16:17]
	v_cmp_ge_i32_e64 s[16:17], v44, v43
	s_or_b64 s[20:21], s[16:17], s[20:21]
	s_andn2_b64 exec, exec, s[20:21]
	s_cbranch_execnz .LBB45_4
; %bb.5:                                ;   in Loop: Header=BB45_2 Depth=1
	s_or_b64 exec, exec, s[20:21]
.LBB45_6:                               ;   in Loop: Header=BB45_2 Depth=1
	s_or_b64 exec, exec, s[18:19]
	v_add_u32_e32 v43, v44, v7
	v_sub_u32_e32 v44, v19, v44
	ds_read_u8 v45, v43
	ds_read_u8 v46, v44
	v_cmp_le_i32_e64 s[18:19], v11, v43
	v_cmp_gt_i32_e64 s[16:17], v12, v44
                                        ; implicit-def: $vgpr47
	s_waitcnt lgkmcnt(1)
	v_bfe_i32 v45, v45, 0, 8
	s_waitcnt lgkmcnt(0)
	v_bfe_i32 v46, v46, 0, 8
	v_cmp_lt_i16_e64 s[20:21], v46, v45
	s_or_b64 s[18:19], s[18:19], s[20:21]
	s_and_b64 s[16:17], s[16:17], s[18:19]
	s_xor_b64 s[18:19], s[16:17], -1
	s_and_saveexec_b64 s[20:21], s[18:19]
	s_xor_b64 s[18:19], exec, s[20:21]
	s_cbranch_execz .LBB45_8
; %bb.7:                                ;   in Loop: Header=BB45_2 Depth=1
	ds_read_u8 v47, v43 offset:1
.LBB45_8:                               ;   in Loop: Header=BB45_2 Depth=1
	s_or_saveexec_b64 s[18:19], s[18:19]
	v_mov_b32_e32 v48, v46
	s_xor_b64 exec, exec, s[18:19]
	s_cbranch_execz .LBB45_10
; %bb.9:                                ;   in Loop: Header=BB45_2 Depth=1
	ds_read_u8 v48, v44 offset:1
	s_waitcnt lgkmcnt(1)
	v_mov_b32_e32 v47, v45
.LBB45_10:                              ;   in Loop: Header=BB45_2 Depth=1
	s_or_b64 exec, exec, s[18:19]
	v_add_u32_e32 v51, 1, v43
	v_add_u32_e32 v49, 1, v44
	v_cndmask_b32_e64 v51, v51, v43, s[16:17]
	v_cndmask_b32_e64 v50, v44, v49, s[16:17]
	v_cmp_ge_i32_e64 s[20:21], v51, v11
	s_waitcnt lgkmcnt(0)
	v_cmp_lt_i16_sdwa s[34:35], sext(v48), sext(v47) src0_sel:BYTE_0 src1_sel:BYTE_0
	v_cmp_lt_i32_e64 s[18:19], v50, v12
	s_or_b64 s[20:21], s[20:21], s[34:35]
	s_and_b64 s[18:19], s[18:19], s[20:21]
	s_xor_b64 s[20:21], s[18:19], -1
                                        ; implicit-def: $vgpr49
	s_and_saveexec_b64 s[34:35], s[20:21]
	s_xor_b64 s[20:21], exec, s[34:35]
	s_cbranch_execz .LBB45_12
; %bb.11:                               ;   in Loop: Header=BB45_2 Depth=1
	ds_read_u8 v49, v51 offset:1
.LBB45_12:                              ;   in Loop: Header=BB45_2 Depth=1
	s_or_saveexec_b64 s[20:21], s[20:21]
	v_mov_b32_e32 v52, v48
	s_xor_b64 exec, exec, s[20:21]
	s_cbranch_execz .LBB45_14
; %bb.13:                               ;   in Loop: Header=BB45_2 Depth=1
	ds_read_u8 v52, v50 offset:1
	s_waitcnt lgkmcnt(1)
	v_mov_b32_e32 v49, v47
.LBB45_14:                              ;   in Loop: Header=BB45_2 Depth=1
	s_or_b64 exec, exec, s[20:21]
	v_perm_b32 v53, v42, v42, s27
	v_cndmask_b32_e64 v42, v42, v53, s[12:13]
	v_cndmask_b32_e64 v43, v43, v44, s[16:17]
	v_lshrrev_b32_e32 v44, 16, v42
	v_cndmask_b32_e64 v45, v45, v46, s[16:17]
	v_lshlrev_b16_e32 v44, 8, v44
	v_lshrrev_b16_e32 v46, 8, v42
	v_or_b32_sdwa v44, v42, v44 dst_sel:DWORD dst_unused:UNUSED_PAD src0_sel:BYTE_0 src1_sel:DWORD
	v_lshlrev_b32_e32 v46, 16, v46
	v_or_b32_sdwa v44, v44, v46 dst_sel:DWORD dst_unused:UNUSED_PAD src0_sel:WORD_0 src1_sel:DWORD
	v_cndmask_b32_e64 v42, v42, v44, s[10:11]
	v_add_u32_e32 v54, 1, v51
	v_perm_b32 v44, 0, v42, s30
	v_cndmask_b32_e64 v47, v47, v48, s[18:19]
	v_add_u32_e32 v48, 1, v50
	v_cndmask_b32_e64 v54, v54, v51, s[18:19]
	v_and_or_b32 v44, v42, s29, v44
	v_cndmask_b32_e64 v48, v50, v48, s[18:19]
	v_cndmask_b32_e64 v42, v42, v44, s[14:15]
	v_cmp_ge_i32_e64 s[12:13], v54, v11
	s_waitcnt lgkmcnt(0)
	v_cmp_lt_i16_sdwa s[14:15], sext(v52), sext(v49) src0_sel:BYTE_0 src1_sel:BYTE_0
	v_cmp_lt_i32_e64 s[10:11], v48, v12
	s_or_b64 s[12:13], s[12:13], s[14:15]
	s_and_b64 s[10:11], s[10:11], s[12:13]
	v_cndmask_b32_e64 v44, v54, v48, s[10:11]
	v_lshrrev_b32_e32 v48, 8, v42
	v_cndmask_b32_e64 v50, v51, v50, s[18:19]
	s_waitcnt lgkmcnt(0)
	; wave barrier
	ds_write_b8 v2, v42
	ds_write_b8 v2, v48 offset:1
	ds_write_b8_d16_hi v2, v42 offset:2
	s_waitcnt lgkmcnt(0)
	; wave barrier
	s_waitcnt lgkmcnt(0)
	ds_read_u8 v42, v44
	ds_read_u8 v43, v43
	;; [unrolled: 1-line block ×3, first 2 shown]
	v_cndmask_b32_e64 v46, v49, v52, s[10:11]
	s_waitcnt lgkmcnt(0)
	; wave barrier
	s_waitcnt lgkmcnt(0)
	ds_write_b8 v2, v45
	ds_write_b8 v2, v47 offset:1
	ds_write_b8 v2, v46 offset:2
	v_mov_b32_e32 v46, v27
	s_waitcnt lgkmcnt(0)
	; wave barrier
	s_waitcnt lgkmcnt(0)
	s_and_saveexec_b64 s[12:13], s[0:1]
	s_cbranch_execz .LBB45_18
; %bb.15:                               ;   in Loop: Header=BB45_2 Depth=1
	s_mov_b64 s[14:15], 0
	v_mov_b32_e32 v46, v27
	v_mov_b32_e32 v45, v23
.LBB45_16:                              ;   Parent Loop BB45_2 Depth=1
                                        ; =>  This Inner Loop Header: Depth=2
	v_sub_u32_e32 v47, v45, v46
	v_lshrrev_b32_e32 v48, 31, v47
	v_add_u32_e32 v47, v47, v48
	v_ashrrev_i32_e32 v47, 1, v47
	v_add_u32_e32 v47, v47, v46
	v_not_b32_e32 v49, v47
	v_add_u32_e32 v48, v8, v47
	v_add3_u32 v49, v4, v49, v13
	ds_read_i8 v48, v48
	ds_read_i8 v49, v49
	v_add_u32_e32 v50, 1, v47
	s_waitcnt lgkmcnt(0)
	v_cmp_lt_i16_e64 s[10:11], v49, v48
	s_nop 1
	v_cndmask_b32_e64 v45, v45, v47, s[10:11]
	v_cndmask_b32_e64 v46, v50, v46, s[10:11]
	v_cmp_ge_i32_e64 s[10:11], v46, v45
	s_or_b64 s[14:15], s[10:11], s[14:15]
	s_andn2_b64 exec, exec, s[14:15]
	s_cbranch_execnz .LBB45_16
; %bb.17:                               ;   in Loop: Header=BB45_2 Depth=1
	s_or_b64 exec, exec, s[14:15]
.LBB45_18:                              ;   in Loop: Header=BB45_2 Depth=1
	s_or_b64 exec, exec, s[12:13]
	v_add_u32_e32 v45, v46, v8
	v_sub_u32_e32 v46, v20, v46
	ds_read_u8 v47, v45
	ds_read_u8 v48, v46
	v_cmp_le_i32_e64 s[12:13], v13, v45
	v_cmp_gt_i32_e64 s[10:11], v14, v46
                                        ; implicit-def: $vgpr49
	s_waitcnt lgkmcnt(1)
	v_bfe_i32 v47, v47, 0, 8
	s_waitcnt lgkmcnt(0)
	v_bfe_i32 v48, v48, 0, 8
	v_cmp_lt_i16_e64 s[14:15], v48, v47
	s_or_b64 s[12:13], s[12:13], s[14:15]
	s_and_b64 s[10:11], s[10:11], s[12:13]
	s_xor_b64 s[12:13], s[10:11], -1
	s_and_saveexec_b64 s[14:15], s[12:13]
	s_xor_b64 s[12:13], exec, s[14:15]
	s_cbranch_execz .LBB45_20
; %bb.19:                               ;   in Loop: Header=BB45_2 Depth=1
	ds_read_u8 v49, v45 offset:1
.LBB45_20:                              ;   in Loop: Header=BB45_2 Depth=1
	s_or_saveexec_b64 s[12:13], s[12:13]
	v_mov_b32_e32 v50, v48
	s_xor_b64 exec, exec, s[12:13]
	s_cbranch_execz .LBB45_22
; %bb.21:                               ;   in Loop: Header=BB45_2 Depth=1
	ds_read_u8 v50, v46 offset:1
	s_waitcnt lgkmcnt(1)
	v_mov_b32_e32 v49, v47
.LBB45_22:                              ;   in Loop: Header=BB45_2 Depth=1
	s_or_b64 exec, exec, s[12:13]
	v_add_u32_e32 v52, 1, v45
	v_add_u32_e32 v51, 1, v46
	v_cndmask_b32_e64 v52, v52, v45, s[10:11]
	v_cndmask_b32_e64 v51, v46, v51, s[10:11]
	v_cmp_ge_i32_e64 s[14:15], v52, v13
	s_waitcnt lgkmcnt(0)
	v_cmp_lt_i16_sdwa s[16:17], sext(v50), sext(v49) src0_sel:BYTE_0 src1_sel:BYTE_0
	v_cmp_lt_i32_e64 s[12:13], v51, v14
	s_or_b64 s[14:15], s[14:15], s[16:17]
	s_and_b64 s[12:13], s[12:13], s[14:15]
	s_xor_b64 s[14:15], s[12:13], -1
                                        ; implicit-def: $vgpr53
	s_and_saveexec_b64 s[16:17], s[14:15]
	s_xor_b64 s[14:15], exec, s[16:17]
	s_cbranch_execz .LBB45_24
; %bb.23:                               ;   in Loop: Header=BB45_2 Depth=1
	ds_read_u8 v53, v52 offset:1
.LBB45_24:                              ;   in Loop: Header=BB45_2 Depth=1
	s_or_saveexec_b64 s[14:15], s[14:15]
	v_mov_b32_e32 v54, v50
	s_xor_b64 exec, exec, s[14:15]
	s_cbranch_execz .LBB45_26
; %bb.25:                               ;   in Loop: Header=BB45_2 Depth=1
	ds_read_u8 v54, v51 offset:1
	s_waitcnt lgkmcnt(1)
	v_mov_b32_e32 v53, v49
.LBB45_26:                              ;   in Loop: Header=BB45_2 Depth=1
	s_or_b64 exec, exec, s[14:15]
	v_add_u32_e32 v55, 1, v52
	v_cndmask_b32_e64 v49, v49, v50, s[12:13]
	v_add_u32_e32 v50, 1, v51
	v_cndmask_b32_e64 v55, v55, v52, s[12:13]
	v_cndmask_b32_e64 v50, v51, v50, s[12:13]
	;; [unrolled: 1-line block ×3, first 2 shown]
	v_cmp_ge_i32_e64 s[12:13], v55, v13
	s_waitcnt lgkmcnt(0)
	v_cmp_lt_i16_sdwa s[14:15], sext(v54), sext(v53) src0_sel:BYTE_0 src1_sel:BYTE_0
	v_cndmask_b32_e64 v47, v47, v48, s[10:11]
	v_cndmask_b32_e64 v45, v45, v46, s[10:11]
	v_cmp_lt_i32_e64 s[10:11], v50, v14
	s_or_b64 s[12:13], s[12:13], s[14:15]
	s_and_b64 s[10:11], s[10:11], s[12:13]
	v_cndmask_b32_e64 v48, v55, v50, s[10:11]
	s_waitcnt lgkmcnt(0)
	; wave barrier
	ds_write_b8 v2, v43
	ds_write_b8 v2, v44 offset:1
	ds_write_b8 v2, v42 offset:2
	s_waitcnt lgkmcnt(0)
	; wave barrier
	s_waitcnt lgkmcnt(0)
	ds_read_u8 v42, v48
	ds_read_u8 v43, v45
	;; [unrolled: 1-line block ×3, first 2 shown]
	v_cndmask_b32_e64 v46, v53, v54, s[10:11]
	s_waitcnt lgkmcnt(0)
	; wave barrier
	s_waitcnt lgkmcnt(0)
	ds_write_b8 v2, v47
	ds_write_b8 v2, v49 offset:1
	ds_write_b8 v2, v46 offset:2
	v_mov_b32_e32 v46, v28
	s_waitcnt lgkmcnt(0)
	; wave barrier
	s_waitcnt lgkmcnt(0)
	s_and_saveexec_b64 s[12:13], s[2:3]
	s_cbranch_execz .LBB45_30
; %bb.27:                               ;   in Loop: Header=BB45_2 Depth=1
	s_mov_b64 s[14:15], 0
	v_mov_b32_e32 v46, v28
	v_mov_b32_e32 v45, v24
.LBB45_28:                              ;   Parent Loop BB45_2 Depth=1
                                        ; =>  This Inner Loop Header: Depth=2
	v_sub_u32_e32 v47, v45, v46
	v_lshrrev_b32_e32 v48, 31, v47
	v_add_u32_e32 v47, v47, v48
	v_ashrrev_i32_e32 v47, 1, v47
	v_add_u32_e32 v47, v47, v46
	v_not_b32_e32 v49, v47
	v_add_u32_e32 v48, v9, v47
	v_add3_u32 v49, v5, v49, v15
	ds_read_i8 v48, v48
	ds_read_i8 v49, v49
	v_add_u32_e32 v50, 1, v47
	s_waitcnt lgkmcnt(0)
	v_cmp_lt_i16_e64 s[10:11], v49, v48
	s_nop 1
	v_cndmask_b32_e64 v45, v45, v47, s[10:11]
	v_cndmask_b32_e64 v46, v50, v46, s[10:11]
	v_cmp_ge_i32_e64 s[10:11], v46, v45
	s_or_b64 s[14:15], s[10:11], s[14:15]
	s_andn2_b64 exec, exec, s[14:15]
	s_cbranch_execnz .LBB45_28
; %bb.29:                               ;   in Loop: Header=BB45_2 Depth=1
	s_or_b64 exec, exec, s[14:15]
.LBB45_30:                              ;   in Loop: Header=BB45_2 Depth=1
	s_or_b64 exec, exec, s[12:13]
	v_add_u32_e32 v45, v46, v9
	v_sub_u32_e32 v46, v21, v46
	ds_read_u8 v47, v45
	ds_read_u8 v48, v46
	v_cmp_le_i32_e64 s[12:13], v15, v45
	v_cmp_gt_i32_e64 s[10:11], v16, v46
                                        ; implicit-def: $vgpr49
	s_waitcnt lgkmcnt(1)
	v_bfe_i32 v47, v47, 0, 8
	s_waitcnt lgkmcnt(0)
	v_bfe_i32 v48, v48, 0, 8
	v_cmp_lt_i16_e64 s[14:15], v48, v47
	s_or_b64 s[12:13], s[12:13], s[14:15]
	s_and_b64 s[10:11], s[10:11], s[12:13]
	s_xor_b64 s[12:13], s[10:11], -1
	s_and_saveexec_b64 s[14:15], s[12:13]
	s_xor_b64 s[12:13], exec, s[14:15]
	s_cbranch_execz .LBB45_32
; %bb.31:                               ;   in Loop: Header=BB45_2 Depth=1
	ds_read_u8 v49, v45 offset:1
.LBB45_32:                              ;   in Loop: Header=BB45_2 Depth=1
	s_or_saveexec_b64 s[12:13], s[12:13]
	v_mov_b32_e32 v50, v48
	s_xor_b64 exec, exec, s[12:13]
	s_cbranch_execz .LBB45_34
; %bb.33:                               ;   in Loop: Header=BB45_2 Depth=1
	ds_read_u8 v50, v46 offset:1
	s_waitcnt lgkmcnt(1)
	v_mov_b32_e32 v49, v47
.LBB45_34:                              ;   in Loop: Header=BB45_2 Depth=1
	s_or_b64 exec, exec, s[12:13]
	v_add_u32_e32 v52, 1, v45
	v_add_u32_e32 v51, 1, v46
	v_cndmask_b32_e64 v52, v52, v45, s[10:11]
	v_cndmask_b32_e64 v51, v46, v51, s[10:11]
	v_cmp_ge_i32_e64 s[14:15], v52, v15
	s_waitcnt lgkmcnt(0)
	v_cmp_lt_i16_sdwa s[16:17], sext(v50), sext(v49) src0_sel:BYTE_0 src1_sel:BYTE_0
	v_cmp_lt_i32_e64 s[12:13], v51, v16
	s_or_b64 s[14:15], s[14:15], s[16:17]
	s_and_b64 s[12:13], s[12:13], s[14:15]
	s_xor_b64 s[14:15], s[12:13], -1
                                        ; implicit-def: $vgpr53
	s_and_saveexec_b64 s[16:17], s[14:15]
	s_xor_b64 s[14:15], exec, s[16:17]
	s_cbranch_execz .LBB45_36
; %bb.35:                               ;   in Loop: Header=BB45_2 Depth=1
	ds_read_u8 v53, v52 offset:1
.LBB45_36:                              ;   in Loop: Header=BB45_2 Depth=1
	s_or_saveexec_b64 s[14:15], s[14:15]
	v_mov_b32_e32 v54, v50
	s_xor_b64 exec, exec, s[14:15]
	s_cbranch_execz .LBB45_38
; %bb.37:                               ;   in Loop: Header=BB45_2 Depth=1
	ds_read_u8 v54, v51 offset:1
	s_waitcnt lgkmcnt(1)
	v_mov_b32_e32 v53, v49
.LBB45_38:                              ;   in Loop: Header=BB45_2 Depth=1
	s_or_b64 exec, exec, s[14:15]
	v_add_u32_e32 v55, 1, v52
	v_cndmask_b32_e64 v49, v49, v50, s[12:13]
	v_add_u32_e32 v50, 1, v51
	v_cndmask_b32_e64 v55, v55, v52, s[12:13]
	v_cndmask_b32_e64 v50, v51, v50, s[12:13]
	;; [unrolled: 1-line block ×3, first 2 shown]
	v_cmp_ge_i32_e64 s[12:13], v55, v15
	s_waitcnt lgkmcnt(0)
	v_cmp_lt_i16_sdwa s[14:15], sext(v54), sext(v53) src0_sel:BYTE_0 src1_sel:BYTE_0
	v_cndmask_b32_e64 v47, v47, v48, s[10:11]
	v_cndmask_b32_e64 v45, v45, v46, s[10:11]
	v_cmp_lt_i32_e64 s[10:11], v50, v16
	s_or_b64 s[12:13], s[12:13], s[14:15]
	s_and_b64 s[10:11], s[10:11], s[12:13]
	v_cndmask_b32_e64 v48, v55, v50, s[10:11]
	s_waitcnt lgkmcnt(0)
	; wave barrier
	ds_write_b8 v2, v43
	ds_write_b8 v2, v44 offset:1
	ds_write_b8 v2, v42 offset:2
	s_waitcnt lgkmcnt(0)
	; wave barrier
	s_waitcnt lgkmcnt(0)
	ds_read_u8 v42, v48
	ds_read_u8 v43, v45
	;; [unrolled: 1-line block ×3, first 2 shown]
	v_cndmask_b32_e64 v46, v53, v54, s[10:11]
	s_waitcnt lgkmcnt(0)
	; wave barrier
	s_waitcnt lgkmcnt(0)
	ds_write_b8 v2, v47
	ds_write_b8 v2, v49 offset:1
	ds_write_b8 v2, v46 offset:2
	v_mov_b32_e32 v46, v29
	s_waitcnt lgkmcnt(0)
	; wave barrier
	s_waitcnt lgkmcnt(0)
	s_and_saveexec_b64 s[12:13], s[4:5]
	s_cbranch_execz .LBB45_42
; %bb.39:                               ;   in Loop: Header=BB45_2 Depth=1
	s_mov_b64 s[14:15], 0
	v_mov_b32_e32 v46, v29
	v_mov_b32_e32 v45, v25
.LBB45_40:                              ;   Parent Loop BB45_2 Depth=1
                                        ; =>  This Inner Loop Header: Depth=2
	v_sub_u32_e32 v47, v45, v46
	v_lshrrev_b32_e32 v48, 31, v47
	v_add_u32_e32 v47, v47, v48
	v_ashrrev_i32_e32 v47, 1, v47
	v_add_u32_e32 v47, v47, v46
	v_not_b32_e32 v49, v47
	v_add_u32_e32 v48, v10, v47
	v_add3_u32 v49, v6, v49, v17
	ds_read_i8 v48, v48
	ds_read_i8 v49, v49
	v_add_u32_e32 v50, 1, v47
	s_waitcnt lgkmcnt(0)
	v_cmp_lt_i16_e64 s[10:11], v49, v48
	s_nop 1
	v_cndmask_b32_e64 v45, v45, v47, s[10:11]
	v_cndmask_b32_e64 v46, v50, v46, s[10:11]
	v_cmp_ge_i32_e64 s[10:11], v46, v45
	s_or_b64 s[14:15], s[10:11], s[14:15]
	s_andn2_b64 exec, exec, s[14:15]
	s_cbranch_execnz .LBB45_40
; %bb.41:                               ;   in Loop: Header=BB45_2 Depth=1
	s_or_b64 exec, exec, s[14:15]
.LBB45_42:                              ;   in Loop: Header=BB45_2 Depth=1
	s_or_b64 exec, exec, s[12:13]
	v_add_u32_e32 v45, v46, v10
	v_sub_u32_e32 v46, v30, v46
	ds_read_u8 v47, v45
	ds_read_u8 v48, v46
	v_cmp_le_i32_e64 s[12:13], v17, v45
	v_cmp_gt_i32_e64 s[10:11], v18, v46
                                        ; implicit-def: $vgpr49
	s_waitcnt lgkmcnt(1)
	v_bfe_i32 v47, v47, 0, 8
	s_waitcnt lgkmcnt(0)
	v_bfe_i32 v48, v48, 0, 8
	v_cmp_lt_i16_e64 s[14:15], v48, v47
	s_or_b64 s[12:13], s[12:13], s[14:15]
	s_and_b64 s[10:11], s[10:11], s[12:13]
	s_xor_b64 s[12:13], s[10:11], -1
	s_and_saveexec_b64 s[14:15], s[12:13]
	s_xor_b64 s[12:13], exec, s[14:15]
	s_cbranch_execz .LBB45_44
; %bb.43:                               ;   in Loop: Header=BB45_2 Depth=1
	ds_read_u8 v49, v45 offset:1
.LBB45_44:                              ;   in Loop: Header=BB45_2 Depth=1
	s_or_saveexec_b64 s[12:13], s[12:13]
	v_mov_b32_e32 v50, v48
	s_xor_b64 exec, exec, s[12:13]
	s_cbranch_execz .LBB45_46
; %bb.45:                               ;   in Loop: Header=BB45_2 Depth=1
	ds_read_u8 v50, v46 offset:1
	s_waitcnt lgkmcnt(1)
	v_mov_b32_e32 v49, v47
.LBB45_46:                              ;   in Loop: Header=BB45_2 Depth=1
	s_or_b64 exec, exec, s[12:13]
	v_add_u32_e32 v52, 1, v45
	v_add_u32_e32 v51, 1, v46
	v_cndmask_b32_e64 v52, v52, v45, s[10:11]
	v_cndmask_b32_e64 v51, v46, v51, s[10:11]
	v_cmp_ge_i32_e64 s[14:15], v52, v17
	s_waitcnt lgkmcnt(0)
	v_cmp_lt_i16_sdwa s[16:17], sext(v50), sext(v49) src0_sel:BYTE_0 src1_sel:BYTE_0
	v_cmp_lt_i32_e64 s[12:13], v51, v18
	s_or_b64 s[14:15], s[14:15], s[16:17]
	s_and_b64 s[12:13], s[12:13], s[14:15]
	s_xor_b64 s[14:15], s[12:13], -1
                                        ; implicit-def: $vgpr53
	s_and_saveexec_b64 s[16:17], s[14:15]
	s_xor_b64 s[14:15], exec, s[16:17]
	s_cbranch_execz .LBB45_48
; %bb.47:                               ;   in Loop: Header=BB45_2 Depth=1
	ds_read_u8 v53, v52 offset:1
.LBB45_48:                              ;   in Loop: Header=BB45_2 Depth=1
	s_or_saveexec_b64 s[14:15], s[14:15]
	v_mov_b32_e32 v54, v50
	s_xor_b64 exec, exec, s[14:15]
	s_cbranch_execz .LBB45_50
; %bb.49:                               ;   in Loop: Header=BB45_2 Depth=1
	ds_read_u8 v54, v51 offset:1
	s_waitcnt lgkmcnt(1)
	v_mov_b32_e32 v53, v49
.LBB45_50:                              ;   in Loop: Header=BB45_2 Depth=1
	s_or_b64 exec, exec, s[14:15]
	v_add_u32_e32 v55, 1, v52
	v_cndmask_b32_e64 v49, v49, v50, s[12:13]
	v_add_u32_e32 v50, 1, v51
	v_cndmask_b32_e64 v55, v55, v52, s[12:13]
	v_cndmask_b32_e64 v50, v51, v50, s[12:13]
	;; [unrolled: 1-line block ×3, first 2 shown]
	v_cmp_ge_i32_e64 s[12:13], v55, v17
	s_waitcnt lgkmcnt(0)
	v_cmp_lt_i16_sdwa s[14:15], sext(v54), sext(v53) src0_sel:BYTE_0 src1_sel:BYTE_0
	v_cndmask_b32_e64 v47, v47, v48, s[10:11]
	v_cndmask_b32_e64 v45, v45, v46, s[10:11]
	v_cmp_lt_i32_e64 s[10:11], v50, v18
	s_or_b64 s[12:13], s[12:13], s[14:15]
	s_and_b64 s[10:11], s[10:11], s[12:13]
	v_cndmask_b32_e64 v48, v55, v50, s[10:11]
	s_waitcnt lgkmcnt(0)
	; wave barrier
	ds_write_b8 v2, v43
	ds_write_b8 v2, v44 offset:1
	ds_write_b8 v2, v42 offset:2
	s_waitcnt lgkmcnt(0)
	; wave barrier
	s_waitcnt lgkmcnt(0)
	ds_read_u8 v42, v48
	ds_read_u8 v43, v45
	;; [unrolled: 1-line block ×3, first 2 shown]
	v_cndmask_b32_e64 v46, v53, v54, s[10:11]
	s_waitcnt lgkmcnt(0)
	; wave barrier
	s_waitcnt lgkmcnt(0)
	ds_write_b8 v2, v47
	ds_write_b8 v2, v49 offset:1
	ds_write_b8 v2, v46 offset:2
	v_mov_b32_e32 v46, v36
	s_waitcnt lgkmcnt(0)
	; wave barrier
	s_waitcnt lgkmcnt(0)
	s_and_saveexec_b64 s[12:13], s[6:7]
	s_cbranch_execz .LBB45_54
; %bb.51:                               ;   in Loop: Header=BB45_2 Depth=1
	s_mov_b64 s[14:15], 0
	v_mov_b32_e32 v46, v36
	v_mov_b32_e32 v45, v37
.LBB45_52:                              ;   Parent Loop BB45_2 Depth=1
                                        ; =>  This Inner Loop Header: Depth=2
	v_sub_u32_e32 v47, v45, v46
	v_lshrrev_b32_e32 v48, 31, v47
	v_add_u32_e32 v47, v47, v48
	v_ashrrev_i32_e32 v47, 1, v47
	v_add_u32_e32 v47, v47, v46
	v_not_b32_e32 v49, v47
	v_add_u32_e32 v48, v32, v47
	v_add3_u32 v49, v31, v49, v33
	ds_read_i8 v48, v48
	ds_read_i8 v49, v49
	v_add_u32_e32 v50, 1, v47
	s_waitcnt lgkmcnt(0)
	v_cmp_lt_i16_e64 s[10:11], v49, v48
	s_nop 1
	v_cndmask_b32_e64 v45, v45, v47, s[10:11]
	v_cndmask_b32_e64 v46, v50, v46, s[10:11]
	v_cmp_ge_i32_e64 s[10:11], v46, v45
	s_or_b64 s[14:15], s[10:11], s[14:15]
	s_andn2_b64 exec, exec, s[14:15]
	s_cbranch_execnz .LBB45_52
; %bb.53:                               ;   in Loop: Header=BB45_2 Depth=1
	s_or_b64 exec, exec, s[14:15]
.LBB45_54:                              ;   in Loop: Header=BB45_2 Depth=1
	s_or_b64 exec, exec, s[12:13]
	v_add_u32_e32 v45, v46, v32
	v_sub_u32_e32 v46, v38, v46
	ds_read_u8 v47, v45
	ds_read_u8 v48, v46
	v_cmp_le_i32_e64 s[12:13], v33, v45
	v_cmp_gt_i32_e64 s[10:11], v35, v46
                                        ; implicit-def: $vgpr49
	s_waitcnt lgkmcnt(1)
	v_bfe_i32 v47, v47, 0, 8
	s_waitcnt lgkmcnt(0)
	v_bfe_i32 v48, v48, 0, 8
	v_cmp_lt_i16_e64 s[14:15], v48, v47
	s_or_b64 s[12:13], s[12:13], s[14:15]
	s_and_b64 s[10:11], s[10:11], s[12:13]
	s_xor_b64 s[12:13], s[10:11], -1
	s_and_saveexec_b64 s[14:15], s[12:13]
	s_xor_b64 s[12:13], exec, s[14:15]
	s_cbranch_execz .LBB45_56
; %bb.55:                               ;   in Loop: Header=BB45_2 Depth=1
	ds_read_u8 v49, v45 offset:1
.LBB45_56:                              ;   in Loop: Header=BB45_2 Depth=1
	s_or_saveexec_b64 s[12:13], s[12:13]
	v_mov_b32_e32 v50, v48
	s_xor_b64 exec, exec, s[12:13]
	s_cbranch_execz .LBB45_58
; %bb.57:                               ;   in Loop: Header=BB45_2 Depth=1
	ds_read_u8 v50, v46 offset:1
	s_waitcnt lgkmcnt(1)
	v_mov_b32_e32 v49, v47
.LBB45_58:                              ;   in Loop: Header=BB45_2 Depth=1
	s_or_b64 exec, exec, s[12:13]
	v_add_u32_e32 v52, 1, v45
	v_add_u32_e32 v51, 1, v46
	v_cndmask_b32_e64 v52, v52, v45, s[10:11]
	v_cndmask_b32_e64 v51, v46, v51, s[10:11]
	v_cmp_ge_i32_e64 s[14:15], v52, v33
	s_waitcnt lgkmcnt(0)
	v_cmp_lt_i16_sdwa s[16:17], sext(v50), sext(v49) src0_sel:BYTE_0 src1_sel:BYTE_0
	v_cmp_lt_i32_e64 s[12:13], v51, v35
	s_or_b64 s[14:15], s[14:15], s[16:17]
	s_and_b64 s[12:13], s[12:13], s[14:15]
	s_xor_b64 s[14:15], s[12:13], -1
                                        ; implicit-def: $vgpr53
	s_and_saveexec_b64 s[16:17], s[14:15]
	s_xor_b64 s[14:15], exec, s[16:17]
	s_cbranch_execz .LBB45_60
; %bb.59:                               ;   in Loop: Header=BB45_2 Depth=1
	ds_read_u8 v53, v52 offset:1
.LBB45_60:                              ;   in Loop: Header=BB45_2 Depth=1
	s_or_saveexec_b64 s[14:15], s[14:15]
	v_mov_b32_e32 v54, v50
	s_xor_b64 exec, exec, s[14:15]
	s_cbranch_execz .LBB45_62
; %bb.61:                               ;   in Loop: Header=BB45_2 Depth=1
	ds_read_u8 v54, v51 offset:1
	s_waitcnt lgkmcnt(1)
	v_mov_b32_e32 v53, v49
.LBB45_62:                              ;   in Loop: Header=BB45_2 Depth=1
	s_or_b64 exec, exec, s[14:15]
	v_add_u32_e32 v55, 1, v52
	v_cndmask_b32_e64 v49, v49, v50, s[12:13]
	v_add_u32_e32 v50, 1, v51
	v_cndmask_b32_e64 v55, v55, v52, s[12:13]
	v_cndmask_b32_e64 v50, v51, v50, s[12:13]
	;; [unrolled: 1-line block ×3, first 2 shown]
	v_cmp_ge_i32_e64 s[12:13], v55, v33
	s_waitcnt lgkmcnt(0)
	v_cmp_lt_i16_sdwa s[14:15], sext(v54), sext(v53) src0_sel:BYTE_0 src1_sel:BYTE_0
	v_cndmask_b32_e64 v47, v47, v48, s[10:11]
	v_cndmask_b32_e64 v45, v45, v46, s[10:11]
	v_cmp_lt_i32_e64 s[10:11], v50, v35
	s_or_b64 s[12:13], s[12:13], s[14:15]
	s_and_b64 s[10:11], s[10:11], s[12:13]
	v_cndmask_b32_e64 v48, v55, v50, s[10:11]
	s_waitcnt lgkmcnt(0)
	; wave barrier
	ds_write_b8 v2, v43
	ds_write_b8 v2, v44 offset:1
	ds_write_b8 v2, v42 offset:2
	s_waitcnt lgkmcnt(0)
	; wave barrier
	s_waitcnt lgkmcnt(0)
	ds_read_u8 v42, v48
	ds_read_u8 v43, v45
	;; [unrolled: 1-line block ×3, first 2 shown]
	v_mov_b32_e32 v45, v39
	v_cndmask_b32_e64 v46, v53, v54, s[10:11]
	s_waitcnt lgkmcnt(0)
	; wave barrier
	s_waitcnt lgkmcnt(0)
	ds_write_b8 v2, v47
	ds_write_b8 v2, v49 offset:1
	ds_write_b8 v2, v46 offset:2
	s_waitcnt lgkmcnt(0)
	; wave barrier
	s_waitcnt lgkmcnt(0)
	s_and_saveexec_b64 s[12:13], s[8:9]
	s_cbranch_execz .LBB45_66
; %bb.63:                               ;   in Loop: Header=BB45_2 Depth=1
	s_mov_b64 s[14:15], 0
	v_mov_b32_e32 v45, v39
	v_mov_b32_e32 v46, v40
.LBB45_64:                              ;   Parent Loop BB45_2 Depth=1
                                        ; =>  This Inner Loop Header: Depth=2
	v_sub_u32_e32 v47, v46, v45
	v_lshrrev_b32_e32 v48, 31, v47
	v_add_u32_e32 v47, v47, v48
	v_ashrrev_i32_e32 v47, 1, v47
	v_add_u32_e32 v47, v47, v45
	v_not_b32_e32 v48, v47
	v_add3_u32 v48, v2, v48, v34
	ds_read_i8 v49, v47
	ds_read_i8 v48, v48
	v_add_u32_e32 v50, 1, v47
	s_waitcnt lgkmcnt(0)
	v_cmp_lt_i16_e64 s[10:11], v48, v49
	s_nop 1
	v_cndmask_b32_e64 v46, v46, v47, s[10:11]
	v_cndmask_b32_e64 v45, v50, v45, s[10:11]
	v_cmp_ge_i32_e64 s[10:11], v45, v46
	s_or_b64 s[14:15], s[10:11], s[14:15]
	s_andn2_b64 exec, exec, s[14:15]
	s_cbranch_execnz .LBB45_64
; %bb.65:                               ;   in Loop: Header=BB45_2 Depth=1
	s_or_b64 exec, exec, s[14:15]
.LBB45_66:                              ;   in Loop: Header=BB45_2 Depth=1
	s_or_b64 exec, exec, s[12:13]
	v_sub_u32_e32 v46, v41, v45
	ds_read_u8 v47, v45
	ds_read_u8 v48, v46
	v_cmp_le_i32_e64 s[12:13], v34, v45
	v_cmp_gt_i32_e64 s[10:11], s25, v46
                                        ; implicit-def: $vgpr49
	s_waitcnt lgkmcnt(1)
	v_bfe_i32 v47, v47, 0, 8
	s_waitcnt lgkmcnt(0)
	v_bfe_i32 v48, v48, 0, 8
	v_cmp_lt_i16_e64 s[14:15], v48, v47
	s_or_b64 s[12:13], s[12:13], s[14:15]
	s_and_b64 s[10:11], s[10:11], s[12:13]
	s_xor_b64 s[12:13], s[10:11], -1
	s_and_saveexec_b64 s[14:15], s[12:13]
	s_xor_b64 s[12:13], exec, s[14:15]
	s_cbranch_execz .LBB45_68
; %bb.67:                               ;   in Loop: Header=BB45_2 Depth=1
	ds_read_u8 v49, v45 offset:1
.LBB45_68:                              ;   in Loop: Header=BB45_2 Depth=1
	s_or_saveexec_b64 s[12:13], s[12:13]
	v_mov_b32_e32 v50, v48
	s_xor_b64 exec, exec, s[12:13]
	s_cbranch_execz .LBB45_70
; %bb.69:                               ;   in Loop: Header=BB45_2 Depth=1
	ds_read_u8 v50, v46 offset:1
	s_waitcnt lgkmcnt(1)
	v_mov_b32_e32 v49, v47
.LBB45_70:                              ;   in Loop: Header=BB45_2 Depth=1
	s_or_b64 exec, exec, s[12:13]
	v_add_u32_e32 v52, 1, v45
	v_add_u32_e32 v51, 1, v46
	v_cndmask_b32_e64 v54, v52, v45, s[10:11]
	v_cndmask_b32_e64 v51, v46, v51, s[10:11]
	v_cmp_ge_i32_e64 s[14:15], v54, v34
	s_waitcnt lgkmcnt(0)
	v_cmp_lt_i16_sdwa s[16:17], sext(v50), sext(v49) src0_sel:BYTE_0 src1_sel:BYTE_0
	v_cmp_gt_i32_e64 s[12:13], s25, v51
	s_or_b64 s[14:15], s[14:15], s[16:17]
	s_and_b64 s[12:13], s[12:13], s[14:15]
	s_xor_b64 s[14:15], s[12:13], -1
                                        ; implicit-def: $vgpr53
                                        ; implicit-def: $vgpr52
	s_and_saveexec_b64 s[16:17], s[14:15]
	s_xor_b64 s[14:15], exec, s[16:17]
	s_cbranch_execz .LBB45_72
; %bb.71:                               ;   in Loop: Header=BB45_2 Depth=1
	ds_read_u8 v53, v54 offset:1
	v_add_u32_e32 v52, 1, v54
.LBB45_72:                              ;   in Loop: Header=BB45_2 Depth=1
	s_or_saveexec_b64 s[14:15], s[14:15]
	v_mov_b32_e32 v55, v54
	v_mov_b32_e32 v56, v50
	s_xor_b64 exec, exec, s[14:15]
	s_cbranch_execz .LBB45_1
; %bb.73:                               ;   in Loop: Header=BB45_2 Depth=1
	ds_read_u8 v56, v51 offset:1
	s_waitcnt lgkmcnt(1)
	v_add_u32_e32 v53, 1, v51
	v_mov_b32_e32 v55, v51
	v_mov_b32_e32 v52, v54
	;; [unrolled: 1-line block ×4, first 2 shown]
	s_branch .LBB45_1
.LBB45_74:
	s_add_u32 s0, s22, s24
	s_addc_u32 s1, s23, 0
	v_add_u16_e32 v2, v47, v49
	v_lshl_add_u64 v[0:1], s[0:1], 0, v[0:1]
	v_add_u16_e32 v3, v48, v44
	v_add_u16_e32 v4, v45, v46
	global_store_byte v[0:1], v2, off
	global_store_byte v[0:1], v3, off offset:64
	global_store_byte v[0:1], v4, off offset:128
	s_endpgm
	.section	.rodata,"a",@progbits
	.p2align	6, 0x0
	.amdhsa_kernel _Z17sort_pairs_kernelIaLj64ELj3EN10test_utils4lessELj10EEvPKT_PS2_T2_
		.amdhsa_group_segment_fixed_size 193
		.amdhsa_private_segment_fixed_size 0
		.amdhsa_kernarg_size 20
		.amdhsa_user_sgpr_count 2
		.amdhsa_user_sgpr_dispatch_ptr 0
		.amdhsa_user_sgpr_queue_ptr 0
		.amdhsa_user_sgpr_kernarg_segment_ptr 1
		.amdhsa_user_sgpr_dispatch_id 0
		.amdhsa_user_sgpr_kernarg_preload_length 0
		.amdhsa_user_sgpr_kernarg_preload_offset 0
		.amdhsa_user_sgpr_private_segment_size 0
		.amdhsa_uses_dynamic_stack 0
		.amdhsa_enable_private_segment 0
		.amdhsa_system_sgpr_workgroup_id_x 1
		.amdhsa_system_sgpr_workgroup_id_y 0
		.amdhsa_system_sgpr_workgroup_id_z 0
		.amdhsa_system_sgpr_workgroup_info 0
		.amdhsa_system_vgpr_workitem_id 0
		.amdhsa_next_free_vgpr 57
		.amdhsa_next_free_sgpr 36
		.amdhsa_accum_offset 60
		.amdhsa_reserve_vcc 1
		.amdhsa_float_round_mode_32 0
		.amdhsa_float_round_mode_16_64 0
		.amdhsa_float_denorm_mode_32 3
		.amdhsa_float_denorm_mode_16_64 3
		.amdhsa_dx10_clamp 1
		.amdhsa_ieee_mode 1
		.amdhsa_fp16_overflow 0
		.amdhsa_tg_split 0
		.amdhsa_exception_fp_ieee_invalid_op 0
		.amdhsa_exception_fp_denorm_src 0
		.amdhsa_exception_fp_ieee_div_zero 0
		.amdhsa_exception_fp_ieee_overflow 0
		.amdhsa_exception_fp_ieee_underflow 0
		.amdhsa_exception_fp_ieee_inexact 0
		.amdhsa_exception_int_div_zero 0
	.end_amdhsa_kernel
	.section	.text._Z17sort_pairs_kernelIaLj64ELj3EN10test_utils4lessELj10EEvPKT_PS2_T2_,"axG",@progbits,_Z17sort_pairs_kernelIaLj64ELj3EN10test_utils4lessELj10EEvPKT_PS2_T2_,comdat
.Lfunc_end45:
	.size	_Z17sort_pairs_kernelIaLj64ELj3EN10test_utils4lessELj10EEvPKT_PS2_T2_, .Lfunc_end45-_Z17sort_pairs_kernelIaLj64ELj3EN10test_utils4lessELj10EEvPKT_PS2_T2_
                                        ; -- End function
	.section	.AMDGPU.csdata,"",@progbits
; Kernel info:
; codeLenInByte = 4648
; NumSgprs: 42
; NumVgprs: 57
; NumAgprs: 0
; TotalNumVgprs: 57
; ScratchSize: 0
; MemoryBound: 0
; FloatMode: 240
; IeeeMode: 1
; LDSByteSize: 193 bytes/workgroup (compile time only)
; SGPRBlocks: 5
; VGPRBlocks: 7
; NumSGPRsForWavesPerEU: 42
; NumVGPRsForWavesPerEU: 57
; AccumOffset: 60
; Occupancy: 8
; WaveLimiterHint : 0
; COMPUTE_PGM_RSRC2:SCRATCH_EN: 0
; COMPUTE_PGM_RSRC2:USER_SGPR: 2
; COMPUTE_PGM_RSRC2:TRAP_HANDLER: 0
; COMPUTE_PGM_RSRC2:TGID_X_EN: 1
; COMPUTE_PGM_RSRC2:TGID_Y_EN: 0
; COMPUTE_PGM_RSRC2:TGID_Z_EN: 0
; COMPUTE_PGM_RSRC2:TIDIG_COMP_CNT: 0
; COMPUTE_PGM_RSRC3_GFX90A:ACCUM_OFFSET: 14
; COMPUTE_PGM_RSRC3_GFX90A:TG_SPLIT: 0
	.section	.text._Z16sort_keys_kernelIaLj64ELj4EN10test_utils4lessELj10EEvPKT_PS2_T2_,"axG",@progbits,_Z16sort_keys_kernelIaLj64ELj4EN10test_utils4lessELj10EEvPKT_PS2_T2_,comdat
	.protected	_Z16sort_keys_kernelIaLj64ELj4EN10test_utils4lessELj10EEvPKT_PS2_T2_ ; -- Begin function _Z16sort_keys_kernelIaLj64ELj4EN10test_utils4lessELj10EEvPKT_PS2_T2_
	.globl	_Z16sort_keys_kernelIaLj64ELj4EN10test_utils4lessELj10EEvPKT_PS2_T2_
	.p2align	8
	.type	_Z16sort_keys_kernelIaLj64ELj4EN10test_utils4lessELj10EEvPKT_PS2_T2_,@function
_Z16sort_keys_kernelIaLj64ELj4EN10test_utils4lessELj10EEvPKT_PS2_T2_: ; @_Z16sort_keys_kernelIaLj64ELj4EN10test_utils4lessELj10EEvPKT_PS2_T2_
; %bb.0:
	s_load_dwordx4 s[16:19], s[0:1], 0x0
	s_lshl_b32 s20, s2, 8
	v_lshlrev_b32_e32 v3, 2, v0
	v_and_b32_e32 v4, 0xf8, v3
	v_and_b32_e32 v6, 0xf0, v3
	s_waitcnt lgkmcnt(0)
	s_add_u32 s0, s16, s20
	s_addc_u32 s1, s17, 0
	global_load_ubyte v42, v0, s[0:1] offset:64
	global_load_ubyte v43, v0, s[0:1] offset:192
	global_load_ubyte v44, v0, s[0:1]
	global_load_ubyte v45, v0, s[0:1] offset:128
	v_or_b32_e32 v17, 4, v4
	v_add_u32_e32 v18, 8, v4
	v_and_b32_e32 v5, 4, v3
	v_and_b32_e32 v8, 0xe0, v3
	v_or_b32_e32 v19, 8, v6
	v_add_u32_e32 v20, 16, v6
	v_sub_u32_e32 v37, v18, v17
	v_and_b32_e32 v7, 12, v3
	v_and_b32_e32 v10, 0xc0, v3
	v_or_b32_e32 v21, 16, v8
	v_add_u32_e32 v22, 32, v8
	v_sub_u32_e32 v38, v20, v19
	v_sub_u32_e32 v46, v5, v37
	v_cmp_ge_i32_e64 s[0:1], v5, v37
	v_and_b32_e32 v9, 28, v3
	v_and_b32_e32 v12, 0x80, v3
	v_or_b32_e32 v23, 32, v10
	v_add_u32_e32 v24, 64, v10
	v_sub_u32_e32 v39, v22, v21
	v_sub_u32_e32 v47, v7, v38
	v_cndmask_b32_e64 v37, 0, v46, s[0:1]
	v_cmp_ge_i32_e64 s[0:1], v7, v38
	v_and_b32_e32 v11, 60, v3
	v_or_b32_e32 v25, 64, v12
	v_add_u32_e32 v26, 0x80, v12
	v_sub_u32_e32 v40, v24, v23
	v_sub_u32_e32 v48, v9, v39
	v_cndmask_b32_e64 v38, 0, v47, s[0:1]
	v_cmp_ge_i32_e64 s[0:1], v9, v39
	v_and_b32_e32 v13, 0x7c, v3
	v_sub_u32_e32 v41, v26, v25
	v_sub_u32_e32 v49, v11, v40
	v_cndmask_b32_e64 v39, 0, v48, s[0:1]
	v_cmp_ge_i32_e64 s[0:1], v11, v40
	v_mov_b32_e32 v2, 0x80
	v_sub_u32_e32 v32, v17, v4
	v_sub_u32_e32 v33, v19, v6
	;; [unrolled: 1-line block ×6, first 2 shown]
	v_cndmask_b32_e64 v40, 0, v49, s[0:1]
	v_cmp_ge_i32_e64 s[0:1], v13, v41
	v_sub_u32_e64 v14, v3, v2 clamp
	v_min_i32_e32 v15, 0x80, v3
	v_min_i32_e32 v32, v5, v32
	;; [unrolled: 1-line block ×6, first 2 shown]
	v_cndmask_b32_e64 v41, 0, v50, s[0:1]
	s_mov_b32 s21, 0
	v_mov_b32_e32 v1, 0
	s_mov_b32 s22, 0xffff
	s_mov_b32 s23, 0x7060405
	;; [unrolled: 1-line block ×3, first 2 shown]
	s_movk_i32 s25, 0xff00
	s_mov_b32 s26, 0xffff0000
	v_add_u32_e32 v16, 0x80, v3
	v_cmp_lt_i32_e32 vcc, v14, v15
	v_add_u32_e32 v27, v17, v5
	v_add_u32_e32 v28, v19, v7
	;; [unrolled: 1-line block ×5, first 2 shown]
	v_cmp_lt_i32_e64 s[0:1], v37, v32
	v_cmp_lt_i32_e64 s[2:3], v38, v33
	;; [unrolled: 1-line block ×5, first 2 shown]
	s_movk_i32 s27, 0x100
	s_waitcnt vmcnt(3)
	v_lshlrev_b16_e32 v42, 8, v42
	s_waitcnt vmcnt(2)
	v_lshlrev_b16_e32 v43, 8, v43
	s_waitcnt vmcnt(1)
	v_or_b32_e32 v42, v44, v42
	s_waitcnt vmcnt(0)
	v_or_b32_sdwa v43, v45, v43 dst_sel:WORD_1 dst_unused:UNUSED_PAD src0_sel:DWORD src1_sel:DWORD
	s_nop 0
	v_or_b32_sdwa v46, v42, v43 dst_sel:DWORD dst_unused:UNUSED_PAD src0_sel:WORD_0 src1_sel:DWORD
	s_branch .LBB46_2
.LBB46_1:                               ;   in Loop: Header=BB46_2 Depth=1
	s_or_b64 exec, exec, s[16:17]
	v_cndmask_b32_e64 v42, v42, v43, s[10:11]
	v_cndmask_b32_e64 v43, v44, v45, s[12:13]
	;; [unrolled: 1-line block ×3, first 2 shown]
	v_cmp_ge_i32_e64 s[12:13], v50, v2
	s_waitcnt lgkmcnt(0)
	v_cmp_lt_i16_sdwa s[14:15], sext(v52), sext(v49) src0_sel:BYTE_0 src1_sel:BYTE_0
	v_cmp_gt_i32_e64 s[10:11], s27, v48
	s_or_b64 s[12:13], s[12:13], s[14:15]
	s_and_b64 s[10:11], s[10:11], s[12:13]
	v_cndmask_b32_e64 v45, v49, v52, s[10:11]
	v_lshlrev_b16_e32 v46, 8, v43
	v_lshlrev_b16_e32 v47, 8, v45
	v_or_b32_sdwa v46, v42, v46 dst_sel:DWORD dst_unused:UNUSED_PAD src0_sel:BYTE_0 src1_sel:DWORD
	v_or_b32_sdwa v47, v44, v47 dst_sel:WORD_1 dst_unused:UNUSED_PAD src0_sel:BYTE_0 src1_sel:DWORD
	s_add_i32 s21, s21, 1
	s_cmp_eq_u32 s21, 10
	v_or_b32_sdwa v46, v46, v47 dst_sel:DWORD dst_unused:UNUSED_PAD src0_sel:WORD_0 src1_sel:DWORD
	s_cbranch_scc1 .LBB46_98
.LBB46_2:                               ; =>This Loop Header: Depth=1
                                        ;     Child Loop BB46_4 Depth 2
                                        ;     Child Loop BB46_20 Depth 2
	;; [unrolled: 1-line block ×6, first 2 shown]
	v_lshrrev_b32_e32 v43, 8, v46
	v_perm_b32 v42, v46, v46, s23
	v_cmp_lt_i16_sdwa s[10:11], sext(v43), sext(v46) src0_sel:BYTE_0 src1_sel:BYTE_0
	v_min_i16_sdwa v47, sext(v43), sext(v46) dst_sel:DWORD dst_unused:UNUSED_PAD src0_sel:BYTE_0 src1_sel:BYTE_0
	v_max_i16_sdwa v43, sext(v43), sext(v46) dst_sel:DWORD dst_unused:UNUSED_PAD src0_sel:BYTE_0 src1_sel:BYTE_0
	v_cndmask_b32_e64 v42, v46, v42, s[10:11]
	v_lshrrev_b32_e32 v44, 16, v42
	v_perm_b32 v45, 0, v44, s24
	v_lshrrev_b32_e32 v46, 24, v42
	v_lshlrev_b32_e32 v45, 16, v45
	v_and_or_b32 v45, v42, s22, v45
	v_cmp_lt_i16_sdwa s[10:11], sext(v46), sext(v44) src0_sel:BYTE_0 src1_sel:BYTE_0
	v_max_i16_sdwa v48, sext(v46), sext(v44) dst_sel:DWORD dst_unused:UNUSED_PAD src0_sel:BYTE_0 src1_sel:BYTE_0
	v_min_i16_sdwa v44, sext(v46), sext(v44) dst_sel:DWORD dst_unused:UNUSED_PAD src0_sel:BYTE_0 src1_sel:BYTE_0
	v_cndmask_b32_e64 v42, v42, v45, s[10:11]
	v_and_b32_sdwa v45, v42, s25 dst_sel:DWORD dst_unused:UNUSED_PAD src0_sel:WORD_1 src1_sel:DWORD
	v_lshlrev_b16_e32 v46, 8, v44
	v_or_b32_sdwa v45, v43, v45 dst_sel:WORD_1 dst_unused:UNUSED_PAD src0_sel:BYTE_0 src1_sel:DWORD
	v_or_b32_sdwa v46, v42, v46 dst_sel:DWORD dst_unused:UNUSED_PAD src0_sel:BYTE_0 src1_sel:DWORD
	v_or_b32_sdwa v45, v46, v45 dst_sel:DWORD dst_unused:UNUSED_PAD src0_sel:WORD_0 src1_sel:DWORD
	v_cmp_lt_i16_e64 s[10:11], v44, v43
	v_lshlrev_b16_e32 v46, 8, v47
	v_max_i16_e32 v49, v44, v43
	v_cndmask_b32_e64 v42, v42, v45, s[10:11]
	v_min_i16_e32 v45, v44, v43
	v_or_b32_sdwa v46, v45, v46 dst_sel:DWORD dst_unused:UNUSED_PAD src0_sel:BYTE_0 src1_sel:DWORD
	v_and_b32_e32 v46, 0xffff, v46
	v_cmp_lt_i16_e64 s[10:11], v44, v47
	v_and_or_b32 v46, v42, s26, v46
	s_nop 0
	v_cndmask_b32_e64 v44, v45, v47, s[10:11]
	v_lshlrev_b16_e32 v45, 8, v49
	v_cndmask_b32_e64 v42, v42, v46, s[10:11]
	v_or_b32_sdwa v45, v48, v45 dst_sel:WORD_1 dst_unused:UNUSED_PAD src0_sel:BYTE_0 src1_sel:DWORD
	v_cmp_gt_i16_e64 s[10:11], v43, v48
	v_and_or_b32 v45, v42, s22, v45
	; wave barrier
	s_nop 0
	v_cndmask_b32_e64 v42, v42, v45, s[10:11]
	v_cndmask_b32_e64 v45, v49, v48, s[10:11]
	v_and_b32_sdwa v43, v42, s25 dst_sel:DWORD dst_unused:UNUSED_PAD src0_sel:WORD_1 src1_sel:DWORD
	v_lshlrev_b16_e32 v46, 8, v45
	v_or_b32_sdwa v43, v44, v43 dst_sel:WORD_1 dst_unused:UNUSED_PAD src0_sel:BYTE_0 src1_sel:DWORD
	v_or_b32_sdwa v46, v42, v46 dst_sel:DWORD dst_unused:UNUSED_PAD src0_sel:BYTE_0 src1_sel:DWORD
	v_or_b32_sdwa v43, v46, v43 dst_sel:DWORD dst_unused:UNUSED_PAD src0_sel:WORD_0 src1_sel:DWORD
	v_cmp_lt_i16_e64 s[10:11], v45, v44
	s_nop 1
	v_cndmask_b32_e64 v42, v42, v43, s[10:11]
	ds_write_b32 v3, v42
	v_mov_b32_e32 v42, v37
	s_waitcnt lgkmcnt(0)
	; wave barrier
	s_waitcnt lgkmcnt(0)
	s_and_saveexec_b64 s[12:13], s[0:1]
	s_cbranch_execz .LBB46_6
; %bb.3:                                ;   in Loop: Header=BB46_2 Depth=1
	s_mov_b64 s[14:15], 0
	v_mov_b32_e32 v42, v37
	v_mov_b32_e32 v43, v32
.LBB46_4:                               ;   Parent Loop BB46_2 Depth=1
                                        ; =>  This Inner Loop Header: Depth=2
	v_sub_u32_e32 v44, v43, v42
	v_lshrrev_b32_e32 v45, 31, v44
	v_add_u32_e32 v44, v44, v45
	v_ashrrev_i32_e32 v44, 1, v44
	v_add_u32_e32 v44, v44, v42
	v_not_b32_e32 v46, v44
	v_add_u32_e32 v45, v4, v44
	v_add3_u32 v46, v5, v46, v17
	ds_read_i8 v45, v45
	ds_read_i8 v46, v46
	v_add_u32_e32 v47, 1, v44
	s_waitcnt lgkmcnt(0)
	v_cmp_lt_i16_e64 s[10:11], v46, v45
	s_nop 1
	v_cndmask_b32_e64 v43, v43, v44, s[10:11]
	v_cndmask_b32_e64 v42, v47, v42, s[10:11]
	v_cmp_ge_i32_e64 s[10:11], v42, v43
	s_or_b64 s[14:15], s[10:11], s[14:15]
	s_andn2_b64 exec, exec, s[14:15]
	s_cbranch_execnz .LBB46_4
; %bb.5:                                ;   in Loop: Header=BB46_2 Depth=1
	s_or_b64 exec, exec, s[14:15]
.LBB46_6:                               ;   in Loop: Header=BB46_2 Depth=1
	s_or_b64 exec, exec, s[12:13]
	v_add_u32_e32 v46, v42, v4
	v_sub_u32_e32 v47, v27, v42
	ds_read_u8 v42, v46
	ds_read_u8 v43, v47
	v_cmp_le_i32_e64 s[12:13], v17, v46
	v_cmp_gt_i32_e64 s[10:11], v18, v47
                                        ; implicit-def: $vgpr44
	s_waitcnt lgkmcnt(1)
	v_bfe_i32 v42, v42, 0, 8
	s_waitcnt lgkmcnt(0)
	v_bfe_i32 v43, v43, 0, 8
	v_cmp_lt_i16_e64 s[14:15], v43, v42
	s_or_b64 s[12:13], s[12:13], s[14:15]
	s_and_b64 s[10:11], s[10:11], s[12:13]
	s_xor_b64 s[12:13], s[10:11], -1
	s_and_saveexec_b64 s[14:15], s[12:13]
	s_xor_b64 s[12:13], exec, s[14:15]
	s_cbranch_execz .LBB46_8
; %bb.7:                                ;   in Loop: Header=BB46_2 Depth=1
	ds_read_u8 v44, v46 offset:1
.LBB46_8:                               ;   in Loop: Header=BB46_2 Depth=1
	s_or_saveexec_b64 s[12:13], s[12:13]
	v_mov_b32_e32 v45, v43
	s_xor_b64 exec, exec, s[12:13]
	s_cbranch_execz .LBB46_10
; %bb.9:                                ;   in Loop: Header=BB46_2 Depth=1
	ds_read_u8 v45, v47 offset:1
	s_waitcnt lgkmcnt(1)
	v_mov_b32_e32 v44, v42
.LBB46_10:                              ;   in Loop: Header=BB46_2 Depth=1
	s_or_b64 exec, exec, s[12:13]
	v_add_u32_e32 v49, 1, v46
	v_add_u32_e32 v48, 1, v47
	v_cndmask_b32_e64 v49, v49, v46, s[10:11]
	v_cndmask_b32_e64 v48, v47, v48, s[10:11]
	v_cmp_ge_i32_e64 s[14:15], v49, v17
	s_waitcnt lgkmcnt(0)
	v_cmp_lt_i16_sdwa s[16:17], sext(v45), sext(v44) src0_sel:BYTE_0 src1_sel:BYTE_0
	v_cmp_lt_i32_e64 s[12:13], v48, v18
	s_or_b64 s[14:15], s[14:15], s[16:17]
	s_and_b64 s[12:13], s[12:13], s[14:15]
	s_xor_b64 s[14:15], s[12:13], -1
                                        ; implicit-def: $vgpr46
	s_and_saveexec_b64 s[16:17], s[14:15]
	s_xor_b64 s[14:15], exec, s[16:17]
	s_cbranch_execz .LBB46_12
; %bb.11:                               ;   in Loop: Header=BB46_2 Depth=1
	ds_read_u8 v46, v49 offset:1
.LBB46_12:                              ;   in Loop: Header=BB46_2 Depth=1
	s_or_saveexec_b64 s[14:15], s[14:15]
	v_mov_b32_e32 v47, v45
	s_xor_b64 exec, exec, s[14:15]
	s_cbranch_execz .LBB46_14
; %bb.13:                               ;   in Loop: Header=BB46_2 Depth=1
	ds_read_u8 v47, v48 offset:1
	s_waitcnt lgkmcnt(1)
	v_mov_b32_e32 v46, v44
.LBB46_14:                              ;   in Loop: Header=BB46_2 Depth=1
	s_or_b64 exec, exec, s[14:15]
	v_add_u32_e32 v51, 1, v49
	v_add_u32_e32 v50, 1, v48
	v_cndmask_b32_e64 v49, v51, v49, s[12:13]
	v_cndmask_b32_e64 v48, v48, v50, s[12:13]
	v_cmp_ge_i32_e64 s[16:17], v49, v17
	s_waitcnt lgkmcnt(0)
	v_cmp_lt_i16_sdwa s[28:29], sext(v47), sext(v46) src0_sel:BYTE_0 src1_sel:BYTE_0
	v_cmp_lt_i32_e64 s[14:15], v48, v18
	s_or_b64 s[16:17], s[16:17], s[28:29]
	s_and_b64 s[14:15], s[14:15], s[16:17]
	s_xor_b64 s[16:17], s[14:15], -1
                                        ; implicit-def: $vgpr50
	s_and_saveexec_b64 s[28:29], s[16:17]
	s_xor_b64 s[16:17], exec, s[28:29]
	s_cbranch_execz .LBB46_16
; %bb.15:                               ;   in Loop: Header=BB46_2 Depth=1
	ds_read_u8 v50, v49 offset:1
.LBB46_16:                              ;   in Loop: Header=BB46_2 Depth=1
	s_or_saveexec_b64 s[16:17], s[16:17]
	v_mov_b32_e32 v51, v47
	s_xor_b64 exec, exec, s[16:17]
	s_cbranch_execz .LBB46_18
; %bb.17:                               ;   in Loop: Header=BB46_2 Depth=1
	ds_read_u8 v51, v48 offset:1
	s_waitcnt lgkmcnt(1)
	v_mov_b32_e32 v50, v46
.LBB46_18:                              ;   in Loop: Header=BB46_2 Depth=1
	s_or_b64 exec, exec, s[16:17]
	v_cndmask_b32_e64 v46, v46, v47, s[14:15]
	v_add_u32_e32 v47, 1, v48
	v_add_u32_e32 v52, 1, v49
	v_cndmask_b32_e64 v47, v48, v47, s[14:15]
	v_cndmask_b32_e64 v48, v52, v49, s[14:15]
	;; [unrolled: 1-line block ×3, first 2 shown]
	v_cmp_ge_i32_e64 s[12:13], v48, v17
	s_waitcnt lgkmcnt(0)
	v_cmp_lt_i16_sdwa s[14:15], sext(v51), sext(v50) src0_sel:BYTE_0 src1_sel:BYTE_0
	v_cndmask_b32_e64 v42, v42, v43, s[10:11]
	v_cmp_lt_i32_e64 s[10:11], v47, v18
	s_or_b64 s[12:13], s[12:13], s[14:15]
	s_and_b64 s[10:11], s[10:11], s[12:13]
	v_cndmask_b32_e64 v43, v50, v51, s[10:11]
	s_waitcnt lgkmcnt(0)
	; wave barrier
	ds_write_b8 v3, v42
	ds_write_b8 v3, v44 offset:1
	ds_write_b8 v3, v46 offset:2
	;; [unrolled: 1-line block ×3, first 2 shown]
	v_mov_b32_e32 v42, v38
	s_waitcnt lgkmcnt(0)
	; wave barrier
	s_waitcnt lgkmcnt(0)
	s_and_saveexec_b64 s[12:13], s[2:3]
	s_cbranch_execz .LBB46_22
; %bb.19:                               ;   in Loop: Header=BB46_2 Depth=1
	s_mov_b64 s[14:15], 0
	v_mov_b32_e32 v42, v38
	v_mov_b32_e32 v43, v33
.LBB46_20:                              ;   Parent Loop BB46_2 Depth=1
                                        ; =>  This Inner Loop Header: Depth=2
	v_sub_u32_e32 v44, v43, v42
	v_lshrrev_b32_e32 v45, 31, v44
	v_add_u32_e32 v44, v44, v45
	v_ashrrev_i32_e32 v44, 1, v44
	v_add_u32_e32 v44, v44, v42
	v_not_b32_e32 v46, v44
	v_add_u32_e32 v45, v6, v44
	v_add3_u32 v46, v7, v46, v19
	ds_read_i8 v45, v45
	ds_read_i8 v46, v46
	v_add_u32_e32 v47, 1, v44
	s_waitcnt lgkmcnt(0)
	v_cmp_lt_i16_e64 s[10:11], v46, v45
	s_nop 1
	v_cndmask_b32_e64 v43, v43, v44, s[10:11]
	v_cndmask_b32_e64 v42, v47, v42, s[10:11]
	v_cmp_ge_i32_e64 s[10:11], v42, v43
	s_or_b64 s[14:15], s[10:11], s[14:15]
	s_andn2_b64 exec, exec, s[14:15]
	s_cbranch_execnz .LBB46_20
; %bb.21:                               ;   in Loop: Header=BB46_2 Depth=1
	s_or_b64 exec, exec, s[14:15]
.LBB46_22:                              ;   in Loop: Header=BB46_2 Depth=1
	s_or_b64 exec, exec, s[12:13]
	v_add_u32_e32 v46, v42, v6
	v_sub_u32_e32 v47, v28, v42
	ds_read_u8 v42, v46
	ds_read_u8 v43, v47
	v_cmp_le_i32_e64 s[12:13], v19, v46
	v_cmp_gt_i32_e64 s[10:11], v20, v47
                                        ; implicit-def: $vgpr44
	s_waitcnt lgkmcnt(1)
	v_bfe_i32 v42, v42, 0, 8
	s_waitcnt lgkmcnt(0)
	v_bfe_i32 v43, v43, 0, 8
	v_cmp_lt_i16_e64 s[14:15], v43, v42
	s_or_b64 s[12:13], s[12:13], s[14:15]
	s_and_b64 s[10:11], s[10:11], s[12:13]
	s_xor_b64 s[12:13], s[10:11], -1
	s_and_saveexec_b64 s[14:15], s[12:13]
	s_xor_b64 s[12:13], exec, s[14:15]
	s_cbranch_execz .LBB46_24
; %bb.23:                               ;   in Loop: Header=BB46_2 Depth=1
	ds_read_u8 v44, v46 offset:1
.LBB46_24:                              ;   in Loop: Header=BB46_2 Depth=1
	s_or_saveexec_b64 s[12:13], s[12:13]
	v_mov_b32_e32 v45, v43
	s_xor_b64 exec, exec, s[12:13]
	s_cbranch_execz .LBB46_26
; %bb.25:                               ;   in Loop: Header=BB46_2 Depth=1
	ds_read_u8 v45, v47 offset:1
	s_waitcnt lgkmcnt(1)
	v_mov_b32_e32 v44, v42
.LBB46_26:                              ;   in Loop: Header=BB46_2 Depth=1
	s_or_b64 exec, exec, s[12:13]
	v_add_u32_e32 v49, 1, v46
	v_add_u32_e32 v48, 1, v47
	v_cndmask_b32_e64 v49, v49, v46, s[10:11]
	v_cndmask_b32_e64 v48, v47, v48, s[10:11]
	v_cmp_ge_i32_e64 s[14:15], v49, v19
	s_waitcnt lgkmcnt(0)
	v_cmp_lt_i16_sdwa s[16:17], sext(v45), sext(v44) src0_sel:BYTE_0 src1_sel:BYTE_0
	v_cmp_lt_i32_e64 s[12:13], v48, v20
	s_or_b64 s[14:15], s[14:15], s[16:17]
	s_and_b64 s[12:13], s[12:13], s[14:15]
	s_xor_b64 s[14:15], s[12:13], -1
                                        ; implicit-def: $vgpr46
	s_and_saveexec_b64 s[16:17], s[14:15]
	s_xor_b64 s[14:15], exec, s[16:17]
	s_cbranch_execz .LBB46_28
; %bb.27:                               ;   in Loop: Header=BB46_2 Depth=1
	ds_read_u8 v46, v49 offset:1
.LBB46_28:                              ;   in Loop: Header=BB46_2 Depth=1
	s_or_saveexec_b64 s[14:15], s[14:15]
	v_mov_b32_e32 v47, v45
	s_xor_b64 exec, exec, s[14:15]
	s_cbranch_execz .LBB46_30
; %bb.29:                               ;   in Loop: Header=BB46_2 Depth=1
	ds_read_u8 v47, v48 offset:1
	s_waitcnt lgkmcnt(1)
	v_mov_b32_e32 v46, v44
.LBB46_30:                              ;   in Loop: Header=BB46_2 Depth=1
	s_or_b64 exec, exec, s[14:15]
	v_add_u32_e32 v51, 1, v49
	v_add_u32_e32 v50, 1, v48
	v_cndmask_b32_e64 v49, v51, v49, s[12:13]
	v_cndmask_b32_e64 v48, v48, v50, s[12:13]
	v_cmp_ge_i32_e64 s[16:17], v49, v19
	s_waitcnt lgkmcnt(0)
	v_cmp_lt_i16_sdwa s[28:29], sext(v47), sext(v46) src0_sel:BYTE_0 src1_sel:BYTE_0
	v_cmp_lt_i32_e64 s[14:15], v48, v20
	s_or_b64 s[16:17], s[16:17], s[28:29]
	s_and_b64 s[14:15], s[14:15], s[16:17]
	s_xor_b64 s[16:17], s[14:15], -1
                                        ; implicit-def: $vgpr50
	s_and_saveexec_b64 s[28:29], s[16:17]
	s_xor_b64 s[16:17], exec, s[28:29]
	s_cbranch_execz .LBB46_32
; %bb.31:                               ;   in Loop: Header=BB46_2 Depth=1
	ds_read_u8 v50, v49 offset:1
.LBB46_32:                              ;   in Loop: Header=BB46_2 Depth=1
	s_or_saveexec_b64 s[16:17], s[16:17]
	v_mov_b32_e32 v51, v47
	s_xor_b64 exec, exec, s[16:17]
	s_cbranch_execz .LBB46_34
; %bb.33:                               ;   in Loop: Header=BB46_2 Depth=1
	ds_read_u8 v51, v48 offset:1
	s_waitcnt lgkmcnt(1)
	v_mov_b32_e32 v50, v46
.LBB46_34:                              ;   in Loop: Header=BB46_2 Depth=1
	s_or_b64 exec, exec, s[16:17]
	v_cndmask_b32_e64 v46, v46, v47, s[14:15]
	v_add_u32_e32 v47, 1, v48
	v_add_u32_e32 v52, 1, v49
	v_cndmask_b32_e64 v47, v48, v47, s[14:15]
	v_cndmask_b32_e64 v48, v52, v49, s[14:15]
	;; [unrolled: 1-line block ×3, first 2 shown]
	v_cmp_ge_i32_e64 s[12:13], v48, v19
	s_waitcnt lgkmcnt(0)
	v_cmp_lt_i16_sdwa s[14:15], sext(v51), sext(v50) src0_sel:BYTE_0 src1_sel:BYTE_0
	v_cndmask_b32_e64 v42, v42, v43, s[10:11]
	v_cmp_lt_i32_e64 s[10:11], v47, v20
	s_or_b64 s[12:13], s[12:13], s[14:15]
	s_and_b64 s[10:11], s[10:11], s[12:13]
	v_cndmask_b32_e64 v43, v50, v51, s[10:11]
	s_waitcnt lgkmcnt(0)
	; wave barrier
	ds_write_b8 v3, v42
	ds_write_b8 v3, v44 offset:1
	ds_write_b8 v3, v46 offset:2
	;; [unrolled: 1-line block ×3, first 2 shown]
	v_mov_b32_e32 v42, v39
	s_waitcnt lgkmcnt(0)
	; wave barrier
	s_waitcnt lgkmcnt(0)
	s_and_saveexec_b64 s[12:13], s[4:5]
	s_cbranch_execz .LBB46_38
; %bb.35:                               ;   in Loop: Header=BB46_2 Depth=1
	s_mov_b64 s[14:15], 0
	v_mov_b32_e32 v42, v39
	v_mov_b32_e32 v43, v34
.LBB46_36:                              ;   Parent Loop BB46_2 Depth=1
                                        ; =>  This Inner Loop Header: Depth=2
	v_sub_u32_e32 v44, v43, v42
	v_lshrrev_b32_e32 v45, 31, v44
	v_add_u32_e32 v44, v44, v45
	v_ashrrev_i32_e32 v44, 1, v44
	v_add_u32_e32 v44, v44, v42
	v_not_b32_e32 v46, v44
	v_add_u32_e32 v45, v8, v44
	v_add3_u32 v46, v9, v46, v21
	ds_read_i8 v45, v45
	ds_read_i8 v46, v46
	v_add_u32_e32 v47, 1, v44
	s_waitcnt lgkmcnt(0)
	v_cmp_lt_i16_e64 s[10:11], v46, v45
	s_nop 1
	v_cndmask_b32_e64 v43, v43, v44, s[10:11]
	v_cndmask_b32_e64 v42, v47, v42, s[10:11]
	v_cmp_ge_i32_e64 s[10:11], v42, v43
	s_or_b64 s[14:15], s[10:11], s[14:15]
	s_andn2_b64 exec, exec, s[14:15]
	s_cbranch_execnz .LBB46_36
; %bb.37:                               ;   in Loop: Header=BB46_2 Depth=1
	s_or_b64 exec, exec, s[14:15]
.LBB46_38:                              ;   in Loop: Header=BB46_2 Depth=1
	s_or_b64 exec, exec, s[12:13]
	v_add_u32_e32 v46, v42, v8
	v_sub_u32_e32 v47, v29, v42
	ds_read_u8 v42, v46
	ds_read_u8 v43, v47
	v_cmp_le_i32_e64 s[12:13], v21, v46
	v_cmp_gt_i32_e64 s[10:11], v22, v47
                                        ; implicit-def: $vgpr44
	s_waitcnt lgkmcnt(1)
	v_bfe_i32 v42, v42, 0, 8
	s_waitcnt lgkmcnt(0)
	v_bfe_i32 v43, v43, 0, 8
	v_cmp_lt_i16_e64 s[14:15], v43, v42
	s_or_b64 s[12:13], s[12:13], s[14:15]
	s_and_b64 s[10:11], s[10:11], s[12:13]
	s_xor_b64 s[12:13], s[10:11], -1
	s_and_saveexec_b64 s[14:15], s[12:13]
	s_xor_b64 s[12:13], exec, s[14:15]
	s_cbranch_execz .LBB46_40
; %bb.39:                               ;   in Loop: Header=BB46_2 Depth=1
	ds_read_u8 v44, v46 offset:1
.LBB46_40:                              ;   in Loop: Header=BB46_2 Depth=1
	s_or_saveexec_b64 s[12:13], s[12:13]
	v_mov_b32_e32 v45, v43
	s_xor_b64 exec, exec, s[12:13]
	s_cbranch_execz .LBB46_42
; %bb.41:                               ;   in Loop: Header=BB46_2 Depth=1
	ds_read_u8 v45, v47 offset:1
	s_waitcnt lgkmcnt(1)
	v_mov_b32_e32 v44, v42
.LBB46_42:                              ;   in Loop: Header=BB46_2 Depth=1
	s_or_b64 exec, exec, s[12:13]
	v_add_u32_e32 v49, 1, v46
	v_add_u32_e32 v48, 1, v47
	v_cndmask_b32_e64 v49, v49, v46, s[10:11]
	v_cndmask_b32_e64 v48, v47, v48, s[10:11]
	v_cmp_ge_i32_e64 s[14:15], v49, v21
	s_waitcnt lgkmcnt(0)
	v_cmp_lt_i16_sdwa s[16:17], sext(v45), sext(v44) src0_sel:BYTE_0 src1_sel:BYTE_0
	v_cmp_lt_i32_e64 s[12:13], v48, v22
	s_or_b64 s[14:15], s[14:15], s[16:17]
	s_and_b64 s[12:13], s[12:13], s[14:15]
	s_xor_b64 s[14:15], s[12:13], -1
                                        ; implicit-def: $vgpr46
	s_and_saveexec_b64 s[16:17], s[14:15]
	s_xor_b64 s[14:15], exec, s[16:17]
	s_cbranch_execz .LBB46_44
; %bb.43:                               ;   in Loop: Header=BB46_2 Depth=1
	ds_read_u8 v46, v49 offset:1
.LBB46_44:                              ;   in Loop: Header=BB46_2 Depth=1
	s_or_saveexec_b64 s[14:15], s[14:15]
	v_mov_b32_e32 v47, v45
	s_xor_b64 exec, exec, s[14:15]
	s_cbranch_execz .LBB46_46
; %bb.45:                               ;   in Loop: Header=BB46_2 Depth=1
	ds_read_u8 v47, v48 offset:1
	s_waitcnt lgkmcnt(1)
	v_mov_b32_e32 v46, v44
.LBB46_46:                              ;   in Loop: Header=BB46_2 Depth=1
	s_or_b64 exec, exec, s[14:15]
	v_add_u32_e32 v51, 1, v49
	v_add_u32_e32 v50, 1, v48
	v_cndmask_b32_e64 v49, v51, v49, s[12:13]
	v_cndmask_b32_e64 v48, v48, v50, s[12:13]
	v_cmp_ge_i32_e64 s[16:17], v49, v21
	s_waitcnt lgkmcnt(0)
	v_cmp_lt_i16_sdwa s[28:29], sext(v47), sext(v46) src0_sel:BYTE_0 src1_sel:BYTE_0
	v_cmp_lt_i32_e64 s[14:15], v48, v22
	s_or_b64 s[16:17], s[16:17], s[28:29]
	s_and_b64 s[14:15], s[14:15], s[16:17]
	s_xor_b64 s[16:17], s[14:15], -1
                                        ; implicit-def: $vgpr50
	s_and_saveexec_b64 s[28:29], s[16:17]
	s_xor_b64 s[16:17], exec, s[28:29]
	s_cbranch_execz .LBB46_48
; %bb.47:                               ;   in Loop: Header=BB46_2 Depth=1
	ds_read_u8 v50, v49 offset:1
.LBB46_48:                              ;   in Loop: Header=BB46_2 Depth=1
	s_or_saveexec_b64 s[16:17], s[16:17]
	v_mov_b32_e32 v51, v47
	s_xor_b64 exec, exec, s[16:17]
	s_cbranch_execz .LBB46_50
; %bb.49:                               ;   in Loop: Header=BB46_2 Depth=1
	ds_read_u8 v51, v48 offset:1
	s_waitcnt lgkmcnt(1)
	v_mov_b32_e32 v50, v46
.LBB46_50:                              ;   in Loop: Header=BB46_2 Depth=1
	s_or_b64 exec, exec, s[16:17]
	v_cndmask_b32_e64 v46, v46, v47, s[14:15]
	v_add_u32_e32 v47, 1, v48
	v_add_u32_e32 v52, 1, v49
	v_cndmask_b32_e64 v47, v48, v47, s[14:15]
	v_cndmask_b32_e64 v48, v52, v49, s[14:15]
	;; [unrolled: 1-line block ×3, first 2 shown]
	v_cmp_ge_i32_e64 s[12:13], v48, v21
	s_waitcnt lgkmcnt(0)
	v_cmp_lt_i16_sdwa s[14:15], sext(v51), sext(v50) src0_sel:BYTE_0 src1_sel:BYTE_0
	v_cndmask_b32_e64 v42, v42, v43, s[10:11]
	v_cmp_lt_i32_e64 s[10:11], v47, v22
	s_or_b64 s[12:13], s[12:13], s[14:15]
	s_and_b64 s[10:11], s[10:11], s[12:13]
	v_cndmask_b32_e64 v43, v50, v51, s[10:11]
	s_waitcnt lgkmcnt(0)
	; wave barrier
	ds_write_b8 v3, v42
	ds_write_b8 v3, v44 offset:1
	ds_write_b8 v3, v46 offset:2
	;; [unrolled: 1-line block ×3, first 2 shown]
	v_mov_b32_e32 v42, v40
	s_waitcnt lgkmcnt(0)
	; wave barrier
	s_waitcnt lgkmcnt(0)
	s_and_saveexec_b64 s[12:13], s[6:7]
	s_cbranch_execz .LBB46_54
; %bb.51:                               ;   in Loop: Header=BB46_2 Depth=1
	s_mov_b64 s[14:15], 0
	v_mov_b32_e32 v42, v40
	v_mov_b32_e32 v43, v35
.LBB46_52:                              ;   Parent Loop BB46_2 Depth=1
                                        ; =>  This Inner Loop Header: Depth=2
	v_sub_u32_e32 v44, v43, v42
	v_lshrrev_b32_e32 v45, 31, v44
	v_add_u32_e32 v44, v44, v45
	v_ashrrev_i32_e32 v44, 1, v44
	v_add_u32_e32 v44, v44, v42
	v_not_b32_e32 v46, v44
	v_add_u32_e32 v45, v10, v44
	v_add3_u32 v46, v11, v46, v23
	ds_read_i8 v45, v45
	ds_read_i8 v46, v46
	v_add_u32_e32 v47, 1, v44
	s_waitcnt lgkmcnt(0)
	v_cmp_lt_i16_e64 s[10:11], v46, v45
	s_nop 1
	v_cndmask_b32_e64 v43, v43, v44, s[10:11]
	v_cndmask_b32_e64 v42, v47, v42, s[10:11]
	v_cmp_ge_i32_e64 s[10:11], v42, v43
	s_or_b64 s[14:15], s[10:11], s[14:15]
	s_andn2_b64 exec, exec, s[14:15]
	s_cbranch_execnz .LBB46_52
; %bb.53:                               ;   in Loop: Header=BB46_2 Depth=1
	s_or_b64 exec, exec, s[14:15]
.LBB46_54:                              ;   in Loop: Header=BB46_2 Depth=1
	s_or_b64 exec, exec, s[12:13]
	v_add_u32_e32 v46, v42, v10
	v_sub_u32_e32 v47, v30, v42
	ds_read_u8 v42, v46
	ds_read_u8 v43, v47
	v_cmp_le_i32_e64 s[12:13], v23, v46
	v_cmp_gt_i32_e64 s[10:11], v24, v47
                                        ; implicit-def: $vgpr44
	s_waitcnt lgkmcnt(1)
	v_bfe_i32 v42, v42, 0, 8
	s_waitcnt lgkmcnt(0)
	v_bfe_i32 v43, v43, 0, 8
	v_cmp_lt_i16_e64 s[14:15], v43, v42
	s_or_b64 s[12:13], s[12:13], s[14:15]
	s_and_b64 s[10:11], s[10:11], s[12:13]
	s_xor_b64 s[12:13], s[10:11], -1
	s_and_saveexec_b64 s[14:15], s[12:13]
	s_xor_b64 s[12:13], exec, s[14:15]
	s_cbranch_execz .LBB46_56
; %bb.55:                               ;   in Loop: Header=BB46_2 Depth=1
	ds_read_u8 v44, v46 offset:1
.LBB46_56:                              ;   in Loop: Header=BB46_2 Depth=1
	s_or_saveexec_b64 s[12:13], s[12:13]
	v_mov_b32_e32 v45, v43
	s_xor_b64 exec, exec, s[12:13]
	s_cbranch_execz .LBB46_58
; %bb.57:                               ;   in Loop: Header=BB46_2 Depth=1
	ds_read_u8 v45, v47 offset:1
	s_waitcnt lgkmcnt(1)
	v_mov_b32_e32 v44, v42
.LBB46_58:                              ;   in Loop: Header=BB46_2 Depth=1
	s_or_b64 exec, exec, s[12:13]
	v_add_u32_e32 v49, 1, v46
	v_add_u32_e32 v48, 1, v47
	v_cndmask_b32_e64 v49, v49, v46, s[10:11]
	v_cndmask_b32_e64 v48, v47, v48, s[10:11]
	v_cmp_ge_i32_e64 s[14:15], v49, v23
	s_waitcnt lgkmcnt(0)
	v_cmp_lt_i16_sdwa s[16:17], sext(v45), sext(v44) src0_sel:BYTE_0 src1_sel:BYTE_0
	v_cmp_lt_i32_e64 s[12:13], v48, v24
	s_or_b64 s[14:15], s[14:15], s[16:17]
	s_and_b64 s[12:13], s[12:13], s[14:15]
	s_xor_b64 s[14:15], s[12:13], -1
                                        ; implicit-def: $vgpr46
	s_and_saveexec_b64 s[16:17], s[14:15]
	s_xor_b64 s[14:15], exec, s[16:17]
	s_cbranch_execz .LBB46_60
; %bb.59:                               ;   in Loop: Header=BB46_2 Depth=1
	ds_read_u8 v46, v49 offset:1
.LBB46_60:                              ;   in Loop: Header=BB46_2 Depth=1
	s_or_saveexec_b64 s[14:15], s[14:15]
	v_mov_b32_e32 v47, v45
	s_xor_b64 exec, exec, s[14:15]
	s_cbranch_execz .LBB46_62
; %bb.61:                               ;   in Loop: Header=BB46_2 Depth=1
	ds_read_u8 v47, v48 offset:1
	s_waitcnt lgkmcnt(1)
	v_mov_b32_e32 v46, v44
.LBB46_62:                              ;   in Loop: Header=BB46_2 Depth=1
	s_or_b64 exec, exec, s[14:15]
	v_add_u32_e32 v51, 1, v49
	v_add_u32_e32 v50, 1, v48
	v_cndmask_b32_e64 v49, v51, v49, s[12:13]
	v_cndmask_b32_e64 v48, v48, v50, s[12:13]
	v_cmp_ge_i32_e64 s[16:17], v49, v23
	s_waitcnt lgkmcnt(0)
	v_cmp_lt_i16_sdwa s[28:29], sext(v47), sext(v46) src0_sel:BYTE_0 src1_sel:BYTE_0
	v_cmp_lt_i32_e64 s[14:15], v48, v24
	s_or_b64 s[16:17], s[16:17], s[28:29]
	s_and_b64 s[14:15], s[14:15], s[16:17]
	s_xor_b64 s[16:17], s[14:15], -1
                                        ; implicit-def: $vgpr50
	s_and_saveexec_b64 s[28:29], s[16:17]
	s_xor_b64 s[16:17], exec, s[28:29]
	s_cbranch_execz .LBB46_64
; %bb.63:                               ;   in Loop: Header=BB46_2 Depth=1
	ds_read_u8 v50, v49 offset:1
.LBB46_64:                              ;   in Loop: Header=BB46_2 Depth=1
	s_or_saveexec_b64 s[16:17], s[16:17]
	v_mov_b32_e32 v51, v47
	s_xor_b64 exec, exec, s[16:17]
	s_cbranch_execz .LBB46_66
; %bb.65:                               ;   in Loop: Header=BB46_2 Depth=1
	ds_read_u8 v51, v48 offset:1
	s_waitcnt lgkmcnt(1)
	v_mov_b32_e32 v50, v46
.LBB46_66:                              ;   in Loop: Header=BB46_2 Depth=1
	s_or_b64 exec, exec, s[16:17]
	v_cndmask_b32_e64 v46, v46, v47, s[14:15]
	v_add_u32_e32 v47, 1, v48
	v_add_u32_e32 v52, 1, v49
	v_cndmask_b32_e64 v47, v48, v47, s[14:15]
	v_cndmask_b32_e64 v48, v52, v49, s[14:15]
	;; [unrolled: 1-line block ×3, first 2 shown]
	v_cmp_ge_i32_e64 s[12:13], v48, v23
	s_waitcnt lgkmcnt(0)
	v_cmp_lt_i16_sdwa s[14:15], sext(v51), sext(v50) src0_sel:BYTE_0 src1_sel:BYTE_0
	v_cndmask_b32_e64 v42, v42, v43, s[10:11]
	v_cmp_lt_i32_e64 s[10:11], v47, v24
	s_or_b64 s[12:13], s[12:13], s[14:15]
	s_and_b64 s[10:11], s[10:11], s[12:13]
	v_cndmask_b32_e64 v43, v50, v51, s[10:11]
	s_waitcnt lgkmcnt(0)
	; wave barrier
	ds_write_b8 v3, v42
	ds_write_b8 v3, v44 offset:1
	ds_write_b8 v3, v46 offset:2
	;; [unrolled: 1-line block ×3, first 2 shown]
	v_mov_b32_e32 v42, v41
	s_waitcnt lgkmcnt(0)
	; wave barrier
	s_waitcnt lgkmcnt(0)
	s_and_saveexec_b64 s[12:13], s[8:9]
	s_cbranch_execz .LBB46_70
; %bb.67:                               ;   in Loop: Header=BB46_2 Depth=1
	s_mov_b64 s[14:15], 0
	v_mov_b32_e32 v42, v41
	v_mov_b32_e32 v43, v36
.LBB46_68:                              ;   Parent Loop BB46_2 Depth=1
                                        ; =>  This Inner Loop Header: Depth=2
	v_sub_u32_e32 v44, v43, v42
	v_lshrrev_b32_e32 v45, 31, v44
	v_add_u32_e32 v44, v44, v45
	v_ashrrev_i32_e32 v44, 1, v44
	v_add_u32_e32 v44, v44, v42
	v_not_b32_e32 v46, v44
	v_add_u32_e32 v45, v12, v44
	v_add3_u32 v46, v13, v46, v25
	ds_read_i8 v45, v45
	ds_read_i8 v46, v46
	v_add_u32_e32 v47, 1, v44
	s_waitcnt lgkmcnt(0)
	v_cmp_lt_i16_e64 s[10:11], v46, v45
	s_nop 1
	v_cndmask_b32_e64 v43, v43, v44, s[10:11]
	v_cndmask_b32_e64 v42, v47, v42, s[10:11]
	v_cmp_ge_i32_e64 s[10:11], v42, v43
	s_or_b64 s[14:15], s[10:11], s[14:15]
	s_andn2_b64 exec, exec, s[14:15]
	s_cbranch_execnz .LBB46_68
; %bb.69:                               ;   in Loop: Header=BB46_2 Depth=1
	s_or_b64 exec, exec, s[14:15]
.LBB46_70:                              ;   in Loop: Header=BB46_2 Depth=1
	s_or_b64 exec, exec, s[12:13]
	v_add_u32_e32 v46, v42, v12
	v_sub_u32_e32 v47, v31, v42
	ds_read_u8 v42, v46
	ds_read_u8 v43, v47
	v_cmp_le_i32_e64 s[12:13], v25, v46
	v_cmp_gt_i32_e64 s[10:11], v26, v47
                                        ; implicit-def: $vgpr44
	s_waitcnt lgkmcnt(1)
	v_bfe_i32 v42, v42, 0, 8
	s_waitcnt lgkmcnt(0)
	v_bfe_i32 v43, v43, 0, 8
	v_cmp_lt_i16_e64 s[14:15], v43, v42
	s_or_b64 s[12:13], s[12:13], s[14:15]
	s_and_b64 s[10:11], s[10:11], s[12:13]
	s_xor_b64 s[12:13], s[10:11], -1
	s_and_saveexec_b64 s[14:15], s[12:13]
	s_xor_b64 s[12:13], exec, s[14:15]
	s_cbranch_execz .LBB46_72
; %bb.71:                               ;   in Loop: Header=BB46_2 Depth=1
	ds_read_u8 v44, v46 offset:1
.LBB46_72:                              ;   in Loop: Header=BB46_2 Depth=1
	s_or_saveexec_b64 s[12:13], s[12:13]
	v_mov_b32_e32 v45, v43
	s_xor_b64 exec, exec, s[12:13]
	s_cbranch_execz .LBB46_74
; %bb.73:                               ;   in Loop: Header=BB46_2 Depth=1
	ds_read_u8 v45, v47 offset:1
	s_waitcnt lgkmcnt(1)
	v_mov_b32_e32 v44, v42
.LBB46_74:                              ;   in Loop: Header=BB46_2 Depth=1
	s_or_b64 exec, exec, s[12:13]
	v_add_u32_e32 v49, 1, v46
	v_add_u32_e32 v48, 1, v47
	v_cndmask_b32_e64 v49, v49, v46, s[10:11]
	v_cndmask_b32_e64 v48, v47, v48, s[10:11]
	v_cmp_ge_i32_e64 s[14:15], v49, v25
	s_waitcnt lgkmcnt(0)
	v_cmp_lt_i16_sdwa s[16:17], sext(v45), sext(v44) src0_sel:BYTE_0 src1_sel:BYTE_0
	v_cmp_lt_i32_e64 s[12:13], v48, v26
	s_or_b64 s[14:15], s[14:15], s[16:17]
	s_and_b64 s[12:13], s[12:13], s[14:15]
	s_xor_b64 s[14:15], s[12:13], -1
                                        ; implicit-def: $vgpr46
	s_and_saveexec_b64 s[16:17], s[14:15]
	s_xor_b64 s[14:15], exec, s[16:17]
	s_cbranch_execz .LBB46_76
; %bb.75:                               ;   in Loop: Header=BB46_2 Depth=1
	ds_read_u8 v46, v49 offset:1
.LBB46_76:                              ;   in Loop: Header=BB46_2 Depth=1
	s_or_saveexec_b64 s[14:15], s[14:15]
	v_mov_b32_e32 v47, v45
	s_xor_b64 exec, exec, s[14:15]
	s_cbranch_execz .LBB46_78
; %bb.77:                               ;   in Loop: Header=BB46_2 Depth=1
	ds_read_u8 v47, v48 offset:1
	s_waitcnt lgkmcnt(1)
	v_mov_b32_e32 v46, v44
.LBB46_78:                              ;   in Loop: Header=BB46_2 Depth=1
	s_or_b64 exec, exec, s[14:15]
	v_add_u32_e32 v51, 1, v49
	v_add_u32_e32 v50, 1, v48
	v_cndmask_b32_e64 v49, v51, v49, s[12:13]
	v_cndmask_b32_e64 v48, v48, v50, s[12:13]
	v_cmp_ge_i32_e64 s[16:17], v49, v25
	s_waitcnt lgkmcnt(0)
	v_cmp_lt_i16_sdwa s[28:29], sext(v47), sext(v46) src0_sel:BYTE_0 src1_sel:BYTE_0
	v_cmp_lt_i32_e64 s[14:15], v48, v26
	s_or_b64 s[16:17], s[16:17], s[28:29]
	s_and_b64 s[14:15], s[14:15], s[16:17]
	s_xor_b64 s[16:17], s[14:15], -1
                                        ; implicit-def: $vgpr50
	s_and_saveexec_b64 s[28:29], s[16:17]
	s_xor_b64 s[16:17], exec, s[28:29]
	s_cbranch_execz .LBB46_80
; %bb.79:                               ;   in Loop: Header=BB46_2 Depth=1
	ds_read_u8 v50, v49 offset:1
.LBB46_80:                              ;   in Loop: Header=BB46_2 Depth=1
	s_or_saveexec_b64 s[16:17], s[16:17]
	v_mov_b32_e32 v51, v47
	s_xor_b64 exec, exec, s[16:17]
	s_cbranch_execz .LBB46_82
; %bb.81:                               ;   in Loop: Header=BB46_2 Depth=1
	ds_read_u8 v51, v48 offset:1
	s_waitcnt lgkmcnt(1)
	v_mov_b32_e32 v50, v46
.LBB46_82:                              ;   in Loop: Header=BB46_2 Depth=1
	s_or_b64 exec, exec, s[16:17]
	v_cndmask_b32_e64 v46, v46, v47, s[14:15]
	v_add_u32_e32 v47, 1, v48
	v_add_u32_e32 v52, 1, v49
	v_cndmask_b32_e64 v47, v48, v47, s[14:15]
	v_cndmask_b32_e64 v48, v52, v49, s[14:15]
	;; [unrolled: 1-line block ×3, first 2 shown]
	v_cmp_ge_i32_e64 s[12:13], v48, v25
	s_waitcnt lgkmcnt(0)
	v_cmp_lt_i16_sdwa s[14:15], sext(v51), sext(v50) src0_sel:BYTE_0 src1_sel:BYTE_0
	v_cndmask_b32_e64 v42, v42, v43, s[10:11]
	v_cmp_lt_i32_e64 s[10:11], v47, v26
	s_or_b64 s[12:13], s[12:13], s[14:15]
	s_and_b64 s[10:11], s[10:11], s[12:13]
	v_cndmask_b32_e64 v43, v50, v51, s[10:11]
	s_waitcnt lgkmcnt(0)
	; wave barrier
	ds_write_b8 v3, v42
	ds_write_b8 v3, v44 offset:1
	ds_write_b8 v3, v46 offset:2
	;; [unrolled: 1-line block ×3, first 2 shown]
	v_mov_b32_e32 v46, v14
	s_waitcnt lgkmcnt(0)
	; wave barrier
	s_waitcnt lgkmcnt(0)
	s_and_saveexec_b64 s[12:13], vcc
	s_cbranch_execz .LBB46_86
; %bb.83:                               ;   in Loop: Header=BB46_2 Depth=1
	s_mov_b64 s[14:15], 0
	v_mov_b32_e32 v46, v14
	v_mov_b32_e32 v42, v15
.LBB46_84:                              ;   Parent Loop BB46_2 Depth=1
                                        ; =>  This Inner Loop Header: Depth=2
	v_sub_u32_e32 v43, v42, v46
	v_lshrrev_b32_e32 v44, 31, v43
	v_add_u32_e32 v43, v43, v44
	v_ashrrev_i32_e32 v43, 1, v43
	v_add_u32_e32 v43, v43, v46
	v_not_b32_e32 v44, v43
	v_add3_u32 v44, v3, v44, v2
	ds_read_i8 v45, v43
	ds_read_i8 v44, v44
	v_add_u32_e32 v47, 1, v43
	s_waitcnt lgkmcnt(0)
	v_cmp_lt_i16_e64 s[10:11], v44, v45
	s_nop 1
	v_cndmask_b32_e64 v42, v42, v43, s[10:11]
	v_cndmask_b32_e64 v46, v47, v46, s[10:11]
	v_cmp_ge_i32_e64 s[10:11], v46, v42
	s_or_b64 s[14:15], s[10:11], s[14:15]
	s_andn2_b64 exec, exec, s[14:15]
	s_cbranch_execnz .LBB46_84
; %bb.85:                               ;   in Loop: Header=BB46_2 Depth=1
	s_or_b64 exec, exec, s[14:15]
.LBB46_86:                              ;   in Loop: Header=BB46_2 Depth=1
	s_or_b64 exec, exec, s[12:13]
	v_sub_u32_e32 v47, v16, v46
	ds_read_u8 v42, v46
	ds_read_u8 v43, v47
	v_cmp_le_i32_e64 s[12:13], v2, v46
	v_cmp_gt_i32_e64 s[10:11], s27, v47
                                        ; implicit-def: $vgpr44
	s_waitcnt lgkmcnt(1)
	v_bfe_i32 v42, v42, 0, 8
	s_waitcnt lgkmcnt(0)
	v_bfe_i32 v43, v43, 0, 8
	v_cmp_lt_i16_e64 s[14:15], v43, v42
	s_or_b64 s[12:13], s[12:13], s[14:15]
	s_and_b64 s[10:11], s[10:11], s[12:13]
	s_xor_b64 s[12:13], s[10:11], -1
	s_and_saveexec_b64 s[14:15], s[12:13]
	s_xor_b64 s[12:13], exec, s[14:15]
	s_cbranch_execz .LBB46_88
; %bb.87:                               ;   in Loop: Header=BB46_2 Depth=1
	ds_read_u8 v44, v46 offset:1
.LBB46_88:                              ;   in Loop: Header=BB46_2 Depth=1
	s_or_saveexec_b64 s[12:13], s[12:13]
	v_mov_b32_e32 v45, v43
	s_xor_b64 exec, exec, s[12:13]
	s_cbranch_execz .LBB46_90
; %bb.89:                               ;   in Loop: Header=BB46_2 Depth=1
	ds_read_u8 v45, v47 offset:1
	s_waitcnt lgkmcnt(1)
	v_mov_b32_e32 v44, v42
.LBB46_90:                              ;   in Loop: Header=BB46_2 Depth=1
	s_or_b64 exec, exec, s[12:13]
	v_add_u32_e32 v49, 1, v46
	v_add_u32_e32 v48, 1, v47
	v_cndmask_b32_e64 v49, v49, v46, s[10:11]
	v_cndmask_b32_e64 v48, v47, v48, s[10:11]
	v_cmp_ge_i32_e64 s[14:15], v49, v2
	s_waitcnt lgkmcnt(0)
	v_cmp_lt_i16_sdwa s[16:17], sext(v45), sext(v44) src0_sel:BYTE_0 src1_sel:BYTE_0
	v_cmp_gt_i32_e64 s[12:13], s27, v48
	s_or_b64 s[14:15], s[14:15], s[16:17]
	s_and_b64 s[12:13], s[12:13], s[14:15]
	s_xor_b64 s[14:15], s[12:13], -1
                                        ; implicit-def: $vgpr46
	s_and_saveexec_b64 s[16:17], s[14:15]
	s_xor_b64 s[14:15], exec, s[16:17]
	s_cbranch_execz .LBB46_92
; %bb.91:                               ;   in Loop: Header=BB46_2 Depth=1
	ds_read_u8 v46, v49 offset:1
.LBB46_92:                              ;   in Loop: Header=BB46_2 Depth=1
	s_or_saveexec_b64 s[14:15], s[14:15]
	v_mov_b32_e32 v47, v45
	s_xor_b64 exec, exec, s[14:15]
	s_cbranch_execz .LBB46_94
; %bb.93:                               ;   in Loop: Header=BB46_2 Depth=1
	ds_read_u8 v47, v48 offset:1
	s_waitcnt lgkmcnt(1)
	v_mov_b32_e32 v46, v44
.LBB46_94:                              ;   in Loop: Header=BB46_2 Depth=1
	s_or_b64 exec, exec, s[14:15]
	v_add_u32_e32 v51, 1, v49
	v_add_u32_e32 v50, 1, v48
	v_cndmask_b32_e64 v51, v51, v49, s[12:13]
	v_cndmask_b32_e64 v48, v48, v50, s[12:13]
	v_cmp_ge_i32_e64 s[16:17], v51, v2
	s_waitcnt lgkmcnt(0)
	v_cmp_lt_i16_sdwa s[28:29], sext(v47), sext(v46) src0_sel:BYTE_0 src1_sel:BYTE_0
	v_cmp_gt_i32_e64 s[14:15], s27, v48
	s_or_b64 s[16:17], s[16:17], s[28:29]
	s_and_b64 s[14:15], s[14:15], s[16:17]
	s_xor_b64 s[16:17], s[14:15], -1
                                        ; implicit-def: $vgpr49
                                        ; implicit-def: $vgpr50
	s_and_saveexec_b64 s[28:29], s[16:17]
	s_xor_b64 s[16:17], exec, s[28:29]
	s_cbranch_execz .LBB46_96
; %bb.95:                               ;   in Loop: Header=BB46_2 Depth=1
	ds_read_u8 v49, v51 offset:1
	v_add_u32_e32 v50, 1, v51
                                        ; implicit-def: $vgpr51
.LBB46_96:                              ;   in Loop: Header=BB46_2 Depth=1
	s_or_saveexec_b64 s[16:17], s[16:17]
	v_mov_b32_e32 v52, v47
	s_xor_b64 exec, exec, s[16:17]
	s_cbranch_execz .LBB46_1
; %bb.97:                               ;   in Loop: Header=BB46_2 Depth=1
	ds_read_u8 v52, v48 offset:1
	v_add_u32_e32 v48, 1, v48
	v_mov_b32_e32 v50, v51
	s_waitcnt lgkmcnt(1)
	v_mov_b32_e32 v49, v46
	s_branch .LBB46_1
.LBB46_98:
	s_add_u32 s0, s18, s20
	s_addc_u32 s1, s19, 0
	v_lshl_add_u64 v[0:1], s[0:1], 0, v[0:1]
	global_store_byte v[0:1], v42, off
	global_store_byte v[0:1], v43, off offset:64
	global_store_byte v[0:1], v44, off offset:128
	;; [unrolled: 1-line block ×3, first 2 shown]
	s_endpgm
	.section	.rodata,"a",@progbits
	.p2align	6, 0x0
	.amdhsa_kernel _Z16sort_keys_kernelIaLj64ELj4EN10test_utils4lessELj10EEvPKT_PS2_T2_
		.amdhsa_group_segment_fixed_size 257
		.amdhsa_private_segment_fixed_size 0
		.amdhsa_kernarg_size 20
		.amdhsa_user_sgpr_count 2
		.amdhsa_user_sgpr_dispatch_ptr 0
		.amdhsa_user_sgpr_queue_ptr 0
		.amdhsa_user_sgpr_kernarg_segment_ptr 1
		.amdhsa_user_sgpr_dispatch_id 0
		.amdhsa_user_sgpr_kernarg_preload_length 0
		.amdhsa_user_sgpr_kernarg_preload_offset 0
		.amdhsa_user_sgpr_private_segment_size 0
		.amdhsa_uses_dynamic_stack 0
		.amdhsa_enable_private_segment 0
		.amdhsa_system_sgpr_workgroup_id_x 1
		.amdhsa_system_sgpr_workgroup_id_y 0
		.amdhsa_system_sgpr_workgroup_id_z 0
		.amdhsa_system_sgpr_workgroup_info 0
		.amdhsa_system_vgpr_workitem_id 0
		.amdhsa_next_free_vgpr 53
		.amdhsa_next_free_sgpr 30
		.amdhsa_accum_offset 56
		.amdhsa_reserve_vcc 1
		.amdhsa_float_round_mode_32 0
		.amdhsa_float_round_mode_16_64 0
		.amdhsa_float_denorm_mode_32 3
		.amdhsa_float_denorm_mode_16_64 3
		.amdhsa_dx10_clamp 1
		.amdhsa_ieee_mode 1
		.amdhsa_fp16_overflow 0
		.amdhsa_tg_split 0
		.amdhsa_exception_fp_ieee_invalid_op 0
		.amdhsa_exception_fp_denorm_src 0
		.amdhsa_exception_fp_ieee_div_zero 0
		.amdhsa_exception_fp_ieee_overflow 0
		.amdhsa_exception_fp_ieee_underflow 0
		.amdhsa_exception_fp_ieee_inexact 0
		.amdhsa_exception_int_div_zero 0
	.end_amdhsa_kernel
	.section	.text._Z16sort_keys_kernelIaLj64ELj4EN10test_utils4lessELj10EEvPKT_PS2_T2_,"axG",@progbits,_Z16sort_keys_kernelIaLj64ELj4EN10test_utils4lessELj10EEvPKT_PS2_T2_,comdat
.Lfunc_end46:
	.size	_Z16sort_keys_kernelIaLj64ELj4EN10test_utils4lessELj10EEvPKT_PS2_T2_, .Lfunc_end46-_Z16sort_keys_kernelIaLj64ELj4EN10test_utils4lessELj10EEvPKT_PS2_T2_
                                        ; -- End function
	.section	.AMDGPU.csdata,"",@progbits
; Kernel info:
; codeLenInByte = 4836
; NumSgprs: 36
; NumVgprs: 53
; NumAgprs: 0
; TotalNumVgprs: 53
; ScratchSize: 0
; MemoryBound: 0
; FloatMode: 240
; IeeeMode: 1
; LDSByteSize: 257 bytes/workgroup (compile time only)
; SGPRBlocks: 4
; VGPRBlocks: 6
; NumSGPRsForWavesPerEU: 36
; NumVGPRsForWavesPerEU: 53
; AccumOffset: 56
; Occupancy: 8
; WaveLimiterHint : 0
; COMPUTE_PGM_RSRC2:SCRATCH_EN: 0
; COMPUTE_PGM_RSRC2:USER_SGPR: 2
; COMPUTE_PGM_RSRC2:TRAP_HANDLER: 0
; COMPUTE_PGM_RSRC2:TGID_X_EN: 1
; COMPUTE_PGM_RSRC2:TGID_Y_EN: 0
; COMPUTE_PGM_RSRC2:TGID_Z_EN: 0
; COMPUTE_PGM_RSRC2:TIDIG_COMP_CNT: 0
; COMPUTE_PGM_RSRC3_GFX90A:ACCUM_OFFSET: 13
; COMPUTE_PGM_RSRC3_GFX90A:TG_SPLIT: 0
	.section	.text._Z17sort_pairs_kernelIaLj64ELj4EN10test_utils4lessELj10EEvPKT_PS2_T2_,"axG",@progbits,_Z17sort_pairs_kernelIaLj64ELj4EN10test_utils4lessELj10EEvPKT_PS2_T2_,comdat
	.protected	_Z17sort_pairs_kernelIaLj64ELj4EN10test_utils4lessELj10EEvPKT_PS2_T2_ ; -- Begin function _Z17sort_pairs_kernelIaLj64ELj4EN10test_utils4lessELj10EEvPKT_PS2_T2_
	.globl	_Z17sort_pairs_kernelIaLj64ELj4EN10test_utils4lessELj10EEvPKT_PS2_T2_
	.p2align	8
	.type	_Z17sort_pairs_kernelIaLj64ELj4EN10test_utils4lessELj10EEvPKT_PS2_T2_,@function
_Z17sort_pairs_kernelIaLj64ELj4EN10test_utils4lessELj10EEvPKT_PS2_T2_: ; @_Z17sort_pairs_kernelIaLj64ELj4EN10test_utils4lessELj10EEvPKT_PS2_T2_
; %bb.0:
	s_load_dwordx4 s[28:31], s[0:1], 0x0
	s_lshl_b32 s33, s2, 8
	v_lshlrev_b32_e32 v3, 2, v0
	v_and_b32_e32 v4, 0xf8, v3
	v_and_b32_e32 v6, 0xf0, v3
	s_waitcnt lgkmcnt(0)
	s_add_u32 s0, s28, s33
	s_addc_u32 s1, s29, 0
	global_load_ubyte v41, v0, s[0:1] offset:64
	global_load_ubyte v42, v0, s[0:1] offset:192
	global_load_ubyte v43, v0, s[0:1]
	global_load_ubyte v44, v0, s[0:1] offset:128
	v_or_b32_e32 v16, 4, v4
	v_add_u32_e32 v17, 8, v4
	v_and_b32_e32 v5, 4, v3
	v_and_b32_e32 v8, 0xe0, v3
	v_or_b32_e32 v18, 8, v6
	v_add_u32_e32 v19, 16, v6
	v_sub_u32_e32 v36, v17, v16
	v_and_b32_e32 v7, 12, v3
	v_and_b32_e32 v10, 0xc0, v3
	v_or_b32_e32 v20, 16, v8
	v_add_u32_e32 v21, 32, v8
	v_sub_u32_e32 v37, v19, v18
	v_sub_u32_e32 v45, v5, v36
	v_cmp_ge_i32_e64 s[0:1], v5, v36
	v_and_b32_e32 v9, 28, v3
	v_and_b32_e32 v12, 0x80, v3
	v_or_b32_e32 v22, 32, v10
	v_add_u32_e32 v23, 64, v10
	v_sub_u32_e32 v38, v21, v20
	v_sub_u32_e32 v46, v7, v37
	v_cndmask_b32_e64 v36, 0, v45, s[0:1]
	v_cmp_ge_i32_e64 s[0:1], v7, v37
	v_and_b32_e32 v11, 60, v3
	v_or_b32_e32 v24, 64, v12
	v_add_u32_e32 v25, 0x80, v12
	v_sub_u32_e32 v39, v23, v22
	v_sub_u32_e32 v47, v9, v38
	v_cndmask_b32_e64 v37, 0, v46, s[0:1]
	v_cmp_ge_i32_e64 s[0:1], v9, v38
	v_and_b32_e32 v13, 0x7c, v3
	v_sub_u32_e32 v40, v25, v24
	v_sub_u32_e32 v48, v11, v39
	v_cndmask_b32_e64 v38, 0, v47, s[0:1]
	v_cmp_ge_i32_e64 s[0:1], v11, v39
	s_movk_i32 s36, 0x100
	v_mov_b32_e32 v2, 0x80
	v_sub_u32_e32 v31, v16, v4
	v_sub_u32_e32 v32, v18, v6
	;; [unrolled: 1-line block ×6, first 2 shown]
	v_cndmask_b32_e64 v39, 0, v48, s[0:1]
	v_cmp_ge_i32_e64 s[0:1], v13, v40
	v_sub_u32_e64 v14, v3, v2 clamp
	v_min_i32_e32 v15, 0x80, v3
	v_min_i32_e32 v31, v5, v31
	;; [unrolled: 1-line block ×6, first 2 shown]
	v_cndmask_b32_e64 v40, 0, v49, s[0:1]
	s_mov_b32 s34, 0
	v_mov_b32_e32 v1, 0
	s_mov_b32 s35, 0xffff
	v_cmp_lt_i32_e32 vcc, v14, v15
	v_add_u32_e32 v26, v16, v5
	v_add_u32_e32 v27, v18, v7
	;; [unrolled: 1-line block ×5, first 2 shown]
	v_cmp_lt_i32_e64 s[0:1], v36, v31
	v_cmp_lt_i32_e64 s[2:3], v37, v32
	;; [unrolled: 1-line block ×5, first 2 shown]
	s_mov_b32 s37, 0x7060405
	s_mov_b32 s38, 0xc0c0001
	s_movk_i32 s39, 0xff00
	s_mov_b32 s40, 0xffff0000
	s_mov_b32 s41, 0x7050604
	s_waitcnt vmcnt(3)
	v_lshlrev_b16_e32 v41, 8, v41
	s_waitcnt vmcnt(2)
	v_lshlrev_b16_e32 v42, 8, v42
	s_waitcnt vmcnt(1)
	v_add_u16_e32 v45, 1, v43
	s_waitcnt vmcnt(0)
	v_add_u16_e32 v46, 1, v44
	v_or_b32_e32 v43, v43, v41
	v_or_b32_sdwa v44, v44, v42 dst_sel:WORD_1 dst_unused:UNUSED_PAD src0_sel:DWORD src1_sel:DWORD
	v_or_b32_sdwa v41, v41, v45 dst_sel:DWORD dst_unused:UNUSED_PAD src0_sel:DWORD src1_sel:BYTE_0
	v_or_b32_sdwa v42, v42, v46 dst_sel:DWORD dst_unused:UNUSED_PAD src0_sel:DWORD src1_sel:BYTE_0
	v_add_u16_e32 v41, 0x100, v41
	v_add_u16_sdwa v42, v42, s36 dst_sel:WORD_1 dst_unused:UNUSED_PAD src0_sel:DWORD src1_sel:DWORD
	v_or_b32_sdwa v43, v43, v44 dst_sel:DWORD dst_unused:UNUSED_PAD src0_sel:WORD_0 src1_sel:DWORD
	v_or_b32_e32 v42, v41, v42
	v_add_u32_e32 v41, 0x80, v3
	s_branch .LBB47_2
.LBB47_1:                               ;   in Loop: Header=BB47_2 Depth=1
	s_or_b64 exec, exec, s[16:17]
	v_cndmask_b32_e64 v48, v48, v49, s[10:11]
	v_cndmask_b32_e64 v49, v50, v51, s[12:13]
	;; [unrolled: 1-line block ×4, first 2 shown]
	v_cmp_ge_i32_e64 s[12:13], v57, v2
	s_waitcnt lgkmcnt(0)
	v_cmp_lt_i16_sdwa s[14:15], sext(v61), sext(v58) src0_sel:BYTE_0 src1_sel:BYTE_0
	v_cndmask_b32_e64 v47, v46, v47, s[10:11]
	v_cmp_gt_i32_e64 s[10:11], s36, v56
	s_or_b64 s[12:13], s[12:13], s[14:15]
	s_and_b64 s[10:11], s[10:11], s[12:13]
	v_cndmask_b32_e64 v53, v57, v56, s[10:11]
	s_waitcnt lgkmcnt(0)
	; wave barrier
	ds_write_b8 v3, v43
	ds_write_b8 v3, v44 offset:1
	ds_write_b8 v3, v45 offset:2
	;; [unrolled: 1-line block ×3, first 2 shown]
	s_waitcnt lgkmcnt(0)
	; wave barrier
	s_waitcnt lgkmcnt(0)
	ds_read_u8 v44, v59
	ds_read_u8 v45, v53
	;; [unrolled: 1-line block ×4, first 2 shown]
	v_cndmask_b32_e64 v46, v58, v61, s[10:11]
	v_lshlrev_b16_e32 v52, 8, v49
	v_lshlrev_b16_e32 v43, 8, v46
	v_or_b32_sdwa v42, v48, v52 dst_sel:DWORD dst_unused:UNUSED_PAD src0_sel:BYTE_0 src1_sel:DWORD
	v_or_b32_sdwa v43, v50, v43 dst_sel:WORD_1 dst_unused:UNUSED_PAD src0_sel:BYTE_0 src1_sel:DWORD
	s_waitcnt lgkmcnt(2)
	v_lshlrev_b16_e32 v52, 8, v45
	v_or_b32_sdwa v43, v42, v43 dst_sel:DWORD dst_unused:UNUSED_PAD src0_sel:WORD_0 src1_sel:DWORD
	s_waitcnt lgkmcnt(0)
	v_lshlrev_b16_e32 v42, 8, v51
	v_or_b32_e32 v42, v47, v42
	v_or_b32_sdwa v52, v44, v52 dst_sel:WORD_1 dst_unused:UNUSED_PAD src0_sel:DWORD src1_sel:DWORD
	s_add_i32 s34, s34, 1
	s_cmp_eq_u32 s34, 10
	v_or_b32_sdwa v42, v42, v52 dst_sel:DWORD dst_unused:UNUSED_PAD src0_sel:WORD_0 src1_sel:DWORD
	s_cbranch_scc1 .LBB47_98
.LBB47_2:                               ; =>This Loop Header: Depth=1
                                        ;     Child Loop BB47_4 Depth 2
                                        ;     Child Loop BB47_20 Depth 2
	;; [unrolled: 1-line block ×6, first 2 shown]
	v_lshrrev_b32_e32 v45, 8, v43
	v_perm_b32 v44, v43, v43, s37
	v_cmp_lt_i16_sdwa s[10:11], sext(v45), sext(v43) src0_sel:BYTE_0 src1_sel:BYTE_0
	s_waitcnt lgkmcnt(0)
	; wave barrier
	s_nop 0
	v_cndmask_b32_e64 v43, v43, v44, s[10:11]
	v_lshrrev_b32_e32 v44, 16, v43
	v_perm_b32 v45, 0, v44, s38
	v_lshrrev_b32_e32 v46, 24, v43
	v_lshlrev_b32_e32 v45, 16, v45
	v_and_or_b32 v45, v43, s35, v45
	v_cmp_lt_i16_sdwa s[12:13], sext(v46), sext(v44) src0_sel:BYTE_0 src1_sel:BYTE_0
	v_min_i16_sdwa v44, sext(v46), sext(v44) dst_sel:DWORD dst_unused:UNUSED_PAD src0_sel:BYTE_0 src1_sel:BYTE_0
	v_lshlrev_b16_e32 v47, 8, v44
	v_cndmask_b32_e64 v43, v43, v45, s[12:13]
	v_and_b32_sdwa v45, v43, s39 dst_sel:DWORD dst_unused:UNUSED_PAD src0_sel:WORD_1 src1_sel:DWORD
	v_or_b32_sdwa v45, v43, v45 dst_sel:WORD_1 dst_unused:UNUSED_PAD src0_sel:BYTE_1 src1_sel:DWORD
	v_lshrrev_b32_e32 v46, 8, v43
	v_or_b32_sdwa v47, v43, v47 dst_sel:DWORD dst_unused:UNUSED_PAD src0_sel:BYTE_0 src1_sel:DWORD
	v_or_b32_sdwa v45, v47, v45 dst_sel:DWORD dst_unused:UNUSED_PAD src0_sel:WORD_0 src1_sel:DWORD
	v_cmp_lt_i16_sdwa s[14:15], v44, sext(v46) src0_sel:DWORD src1_sel:BYTE_0
	v_min_i16_sdwa v44, v44, sext(v46) dst_sel:DWORD dst_unused:UNUSED_PAD src0_sel:DWORD src1_sel:BYTE_0
	s_nop 0
	v_cndmask_b32_e64 v43, v43, v45, s[14:15]
	v_lshlrev_b16_e32 v45, 8, v43
	v_or_b32_sdwa v45, v44, v45 dst_sel:DWORD dst_unused:UNUSED_PAD src0_sel:BYTE_0 src1_sel:DWORD
	v_and_b32_e32 v45, 0xffff, v45
	v_and_or_b32 v45, v43, s40, v45
	v_cmp_lt_i16_sdwa s[16:17], v44, sext(v43) src0_sel:DWORD src1_sel:BYTE_0
	s_nop 1
	v_cndmask_b32_e64 v43, v43, v45, s[16:17]
	v_lshrrev_b32_e32 v44, 16, v43
	v_perm_b32 v45, 0, v44, s38
	v_lshrrev_b32_e32 v46, 24, v43
	v_lshlrev_b32_e32 v45, 16, v45
	v_and_or_b32 v45, v43, s35, v45
	v_cmp_lt_i16_sdwa s[18:19], sext(v46), sext(v44) src0_sel:BYTE_0 src1_sel:BYTE_0
	v_min_i16_sdwa v44, sext(v46), sext(v44) dst_sel:DWORD dst_unused:UNUSED_PAD src0_sel:BYTE_0 src1_sel:BYTE_0
	v_lshlrev_b16_e32 v47, 8, v44
	v_cndmask_b32_e64 v43, v43, v45, s[18:19]
	v_and_b32_sdwa v45, v43, s39 dst_sel:DWORD dst_unused:UNUSED_PAD src0_sel:WORD_1 src1_sel:DWORD
	v_or_b32_sdwa v45, v43, v45 dst_sel:WORD_1 dst_unused:UNUSED_PAD src0_sel:BYTE_1 src1_sel:DWORD
	v_lshrrev_b32_e32 v46, 8, v43
	v_or_b32_sdwa v47, v43, v47 dst_sel:DWORD dst_unused:UNUSED_PAD src0_sel:BYTE_0 src1_sel:DWORD
	v_or_b32_sdwa v45, v47, v45 dst_sel:DWORD dst_unused:UNUSED_PAD src0_sel:WORD_0 src1_sel:DWORD
	v_cmp_lt_i16_sdwa s[20:21], v44, sext(v46) src0_sel:DWORD src1_sel:BYTE_0
	v_mov_b32_e32 v44, v36
	s_nop 0
	v_cndmask_b32_e64 v43, v43, v45, s[20:21]
	ds_write_b32 v3, v43
	s_waitcnt lgkmcnt(0)
	; wave barrier
	s_waitcnt lgkmcnt(0)
	s_and_saveexec_b64 s[24:25], s[0:1]
	s_cbranch_execz .LBB47_6
; %bb.3:                                ;   in Loop: Header=BB47_2 Depth=1
	s_mov_b64 s[26:27], 0
	v_mov_b32_e32 v44, v36
	v_mov_b32_e32 v43, v31
.LBB47_4:                               ;   Parent Loop BB47_2 Depth=1
                                        ; =>  This Inner Loop Header: Depth=2
	v_sub_u32_e32 v45, v43, v44
	v_lshrrev_b32_e32 v46, 31, v45
	v_add_u32_e32 v45, v45, v46
	v_ashrrev_i32_e32 v45, 1, v45
	v_add_u32_e32 v45, v45, v44
	v_not_b32_e32 v47, v45
	v_add_u32_e32 v46, v4, v45
	v_add3_u32 v47, v5, v47, v16
	ds_read_i8 v46, v46
	ds_read_i8 v47, v47
	v_add_u32_e32 v48, 1, v45
	s_waitcnt lgkmcnt(0)
	v_cmp_lt_i16_e64 s[22:23], v47, v46
	s_nop 1
	v_cndmask_b32_e64 v43, v43, v45, s[22:23]
	v_cndmask_b32_e64 v44, v48, v44, s[22:23]
	v_cmp_ge_i32_e64 s[22:23], v44, v43
	s_or_b64 s[26:27], s[22:23], s[26:27]
	s_andn2_b64 exec, exec, s[26:27]
	s_cbranch_execnz .LBB47_4
; %bb.5:                                ;   in Loop: Header=BB47_2 Depth=1
	s_or_b64 exec, exec, s[26:27]
.LBB47_6:                               ;   in Loop: Header=BB47_2 Depth=1
	s_or_b64 exec, exec, s[24:25]
	v_add_u32_e32 v43, v44, v4
	v_sub_u32_e32 v44, v26, v44
	ds_read_u8 v45, v43
	ds_read_u8 v46, v44
	v_cmp_le_i32_e64 s[24:25], v16, v43
	v_cmp_gt_i32_e64 s[22:23], v17, v44
                                        ; implicit-def: $vgpr47
	s_waitcnt lgkmcnt(1)
	v_bfe_i32 v45, v45, 0, 8
	s_waitcnt lgkmcnt(0)
	v_bfe_i32 v46, v46, 0, 8
	v_cmp_lt_i16_e64 s[26:27], v46, v45
	s_or_b64 s[24:25], s[24:25], s[26:27]
	s_and_b64 s[22:23], s[22:23], s[24:25]
	s_xor_b64 s[24:25], s[22:23], -1
	s_and_saveexec_b64 s[26:27], s[24:25]
	s_xor_b64 s[24:25], exec, s[26:27]
	s_cbranch_execz .LBB47_8
; %bb.7:                                ;   in Loop: Header=BB47_2 Depth=1
	ds_read_u8 v47, v43 offset:1
.LBB47_8:                               ;   in Loop: Header=BB47_2 Depth=1
	s_or_saveexec_b64 s[24:25], s[24:25]
	v_mov_b32_e32 v48, v46
	s_xor_b64 exec, exec, s[24:25]
	s_cbranch_execz .LBB47_10
; %bb.9:                                ;   in Loop: Header=BB47_2 Depth=1
	ds_read_u8 v48, v44 offset:1
	s_waitcnt lgkmcnt(1)
	v_mov_b32_e32 v47, v45
.LBB47_10:                              ;   in Loop: Header=BB47_2 Depth=1
	s_or_b64 exec, exec, s[24:25]
	v_add_u32_e32 v50, 1, v43
	v_add_u32_e32 v49, 1, v44
	v_cndmask_b32_e64 v50, v50, v43, s[22:23]
	v_cndmask_b32_e64 v49, v44, v49, s[22:23]
	v_cmp_ge_i32_e64 s[26:27], v50, v16
	s_waitcnt lgkmcnt(0)
	v_cmp_lt_i16_sdwa s[28:29], sext(v48), sext(v47) src0_sel:BYTE_0 src1_sel:BYTE_0
	v_cmp_lt_i32_e64 s[24:25], v49, v17
	s_or_b64 s[26:27], s[26:27], s[28:29]
	s_and_b64 s[24:25], s[24:25], s[26:27]
	s_xor_b64 s[26:27], s[24:25], -1
                                        ; implicit-def: $vgpr51
	s_and_saveexec_b64 s[28:29], s[26:27]
	s_xor_b64 s[26:27], exec, s[28:29]
	s_cbranch_execz .LBB47_12
; %bb.11:                               ;   in Loop: Header=BB47_2 Depth=1
	ds_read_u8 v51, v50 offset:1
.LBB47_12:                              ;   in Loop: Header=BB47_2 Depth=1
	s_or_saveexec_b64 s[26:27], s[26:27]
	v_mov_b32_e32 v53, v48
	s_xor_b64 exec, exec, s[26:27]
	s_cbranch_execz .LBB47_14
; %bb.13:                               ;   in Loop: Header=BB47_2 Depth=1
	ds_read_u8 v53, v49 offset:1
	s_waitcnt lgkmcnt(1)
	v_mov_b32_e32 v51, v47
.LBB47_14:                              ;   in Loop: Header=BB47_2 Depth=1
	s_or_b64 exec, exec, s[26:27]
	v_add_u32_e32 v55, 1, v50
	v_add_u32_e32 v52, 1, v49
	v_cndmask_b32_e64 v56, v55, v50, s[24:25]
	v_cndmask_b32_e64 v54, v49, v52, s[24:25]
	v_cmp_ge_i32_e64 s[28:29], v56, v16
	s_waitcnt lgkmcnt(0)
	v_cmp_lt_i16_sdwa s[42:43], sext(v53), sext(v51) src0_sel:BYTE_0 src1_sel:BYTE_0
	v_cmp_lt_i32_e64 s[26:27], v54, v17
	s_or_b64 s[28:29], s[28:29], s[42:43]
	s_and_b64 s[26:27], s[26:27], s[28:29]
	s_xor_b64 s[28:29], s[26:27], -1
                                        ; implicit-def: $vgpr52
	s_and_saveexec_b64 s[42:43], s[28:29]
	s_xor_b64 s[28:29], exec, s[42:43]
	s_cbranch_execz .LBB47_16
; %bb.15:                               ;   in Loop: Header=BB47_2 Depth=1
	ds_read_u8 v52, v56 offset:1
.LBB47_16:                              ;   in Loop: Header=BB47_2 Depth=1
	s_or_saveexec_b64 s[28:29], s[28:29]
	v_mov_b32_e32 v55, v53
	s_xor_b64 exec, exec, s[28:29]
	s_cbranch_execz .LBB47_18
; %bb.17:                               ;   in Loop: Header=BB47_2 Depth=1
	ds_read_u8 v55, v54 offset:1
	s_waitcnt lgkmcnt(1)
	v_mov_b32_e32 v52, v51
.LBB47_18:                              ;   in Loop: Header=BB47_2 Depth=1
	s_or_b64 exec, exec, s[28:29]
	v_perm_b32 v57, v42, v42, s37
	v_cndmask_b32_e64 v42, v42, v57, s[10:11]
	v_cndmask_b32_e64 v43, v43, v44, s[22:23]
	v_lshrrev_b32_e32 v44, 16, v42
	v_perm_b32 v44, 0, v44, s38
	v_lshlrev_b32_e32 v44, 16, v44
	v_and_or_b32 v44, v42, s35, v44
	v_cndmask_b32_e64 v42, v42, v44, s[12:13]
	v_perm_b32 v44, v42, v42, s41
	v_cndmask_b32_e64 v42, v42, v44, s[14:15]
	v_perm_b32 v44, 0, v42, s38
	v_and_or_b32 v44, v42, s40, v44
	v_cndmask_b32_e64 v42, v42, v44, s[16:17]
	v_lshrrev_b32_e32 v44, 16, v42
	v_add_u32_e32 v58, 1, v56
	v_perm_b32 v44, 0, v44, s38
	v_cndmask_b32_e64 v51, v51, v53, s[26:27]
	v_add_u32_e32 v53, 1, v54
	v_cndmask_b32_e64 v58, v58, v56, s[26:27]
	v_lshlrev_b32_e32 v44, 16, v44
	v_cndmask_b32_e64 v53, v54, v53, s[26:27]
	v_and_or_b32 v44, v42, s35, v44
	v_cmp_ge_i32_e64 s[12:13], v58, v16
	s_waitcnt lgkmcnt(0)
	v_cmp_lt_i16_sdwa s[14:15], sext(v55), sext(v52) src0_sel:BYTE_0 src1_sel:BYTE_0
	v_cndmask_b32_e64 v42, v42, v44, s[18:19]
	v_cmp_lt_i32_e64 s[10:11], v53, v17
	s_or_b64 s[12:13], s[12:13], s[14:15]
	v_perm_b32 v44, v42, v42, s41
	s_and_b64 s[10:11], s[10:11], s[12:13]
	v_cndmask_b32_e64 v42, v42, v44, s[20:21]
	v_cndmask_b32_e64 v44, v58, v53, s[10:11]
	;; [unrolled: 1-line block ×6, first 2 shown]
	s_waitcnt lgkmcnt(0)
	; wave barrier
	ds_write_b32 v3, v42
	s_waitcnt lgkmcnt(0)
	; wave barrier
	s_waitcnt lgkmcnt(0)
	ds_read_u8 v42, v44
	ds_read_u8 v43, v43
	;; [unrolled: 1-line block ×4, first 2 shown]
	v_cndmask_b32_e64 v49, v52, v55, s[10:11]
	s_waitcnt lgkmcnt(0)
	; wave barrier
	s_waitcnt lgkmcnt(0)
	ds_write_b8 v3, v46
	ds_write_b8 v3, v47 offset:1
	ds_write_b8 v3, v51 offset:2
	;; [unrolled: 1-line block ×3, first 2 shown]
	v_mov_b32_e32 v47, v37
	s_waitcnt lgkmcnt(0)
	; wave barrier
	s_waitcnt lgkmcnt(0)
	s_and_saveexec_b64 s[12:13], s[2:3]
	s_cbranch_execz .LBB47_22
; %bb.19:                               ;   in Loop: Header=BB47_2 Depth=1
	s_mov_b64 s[14:15], 0
	v_mov_b32_e32 v47, v37
	v_mov_b32_e32 v46, v32
.LBB47_20:                              ;   Parent Loop BB47_2 Depth=1
                                        ; =>  This Inner Loop Header: Depth=2
	v_sub_u32_e32 v48, v46, v47
	v_lshrrev_b32_e32 v49, 31, v48
	v_add_u32_e32 v48, v48, v49
	v_ashrrev_i32_e32 v48, 1, v48
	v_add_u32_e32 v48, v48, v47
	v_not_b32_e32 v50, v48
	v_add_u32_e32 v49, v6, v48
	v_add3_u32 v50, v7, v50, v18
	ds_read_i8 v49, v49
	ds_read_i8 v50, v50
	v_add_u32_e32 v51, 1, v48
	s_waitcnt lgkmcnt(0)
	v_cmp_lt_i16_e64 s[10:11], v50, v49
	s_nop 1
	v_cndmask_b32_e64 v46, v46, v48, s[10:11]
	v_cndmask_b32_e64 v47, v51, v47, s[10:11]
	v_cmp_ge_i32_e64 s[10:11], v47, v46
	s_or_b64 s[14:15], s[10:11], s[14:15]
	s_andn2_b64 exec, exec, s[14:15]
	s_cbranch_execnz .LBB47_20
; %bb.21:                               ;   in Loop: Header=BB47_2 Depth=1
	s_or_b64 exec, exec, s[14:15]
.LBB47_22:                              ;   in Loop: Header=BB47_2 Depth=1
	s_or_b64 exec, exec, s[12:13]
	v_add_u32_e32 v46, v47, v6
	v_sub_u32_e32 v47, v27, v47
	ds_read_u8 v48, v46
	ds_read_u8 v49, v47
	v_cmp_le_i32_e64 s[12:13], v18, v46
	v_cmp_gt_i32_e64 s[10:11], v19, v47
                                        ; implicit-def: $vgpr50
	s_waitcnt lgkmcnt(1)
	v_bfe_i32 v48, v48, 0, 8
	s_waitcnt lgkmcnt(0)
	v_bfe_i32 v49, v49, 0, 8
	v_cmp_lt_i16_e64 s[14:15], v49, v48
	s_or_b64 s[12:13], s[12:13], s[14:15]
	s_and_b64 s[10:11], s[10:11], s[12:13]
	s_xor_b64 s[12:13], s[10:11], -1
	s_and_saveexec_b64 s[14:15], s[12:13]
	s_xor_b64 s[12:13], exec, s[14:15]
	s_cbranch_execz .LBB47_24
; %bb.23:                               ;   in Loop: Header=BB47_2 Depth=1
	ds_read_u8 v50, v46 offset:1
.LBB47_24:                              ;   in Loop: Header=BB47_2 Depth=1
	s_or_saveexec_b64 s[12:13], s[12:13]
	v_mov_b32_e32 v51, v49
	s_xor_b64 exec, exec, s[12:13]
	s_cbranch_execz .LBB47_26
; %bb.25:                               ;   in Loop: Header=BB47_2 Depth=1
	ds_read_u8 v51, v47 offset:1
	s_waitcnt lgkmcnt(1)
	v_mov_b32_e32 v50, v48
.LBB47_26:                              ;   in Loop: Header=BB47_2 Depth=1
	s_or_b64 exec, exec, s[12:13]
	v_add_u32_e32 v53, 1, v46
	v_add_u32_e32 v52, 1, v47
	v_cndmask_b32_e64 v53, v53, v46, s[10:11]
	v_cndmask_b32_e64 v52, v47, v52, s[10:11]
	v_cmp_ge_i32_e64 s[14:15], v53, v18
	s_waitcnt lgkmcnt(0)
	v_cmp_lt_i16_sdwa s[16:17], sext(v51), sext(v50) src0_sel:BYTE_0 src1_sel:BYTE_0
	v_cmp_lt_i32_e64 s[12:13], v52, v19
	s_or_b64 s[14:15], s[14:15], s[16:17]
	s_and_b64 s[12:13], s[12:13], s[14:15]
	s_xor_b64 s[14:15], s[12:13], -1
                                        ; implicit-def: $vgpr54
	s_and_saveexec_b64 s[16:17], s[14:15]
	s_xor_b64 s[14:15], exec, s[16:17]
	s_cbranch_execz .LBB47_28
; %bb.27:                               ;   in Loop: Header=BB47_2 Depth=1
	ds_read_u8 v54, v53 offset:1
.LBB47_28:                              ;   in Loop: Header=BB47_2 Depth=1
	s_or_saveexec_b64 s[14:15], s[14:15]
	v_mov_b32_e32 v55, v51
	s_xor_b64 exec, exec, s[14:15]
	s_cbranch_execz .LBB47_30
; %bb.29:                               ;   in Loop: Header=BB47_2 Depth=1
	ds_read_u8 v55, v52 offset:1
	s_waitcnt lgkmcnt(1)
	v_mov_b32_e32 v54, v50
.LBB47_30:                              ;   in Loop: Header=BB47_2 Depth=1
	s_or_b64 exec, exec, s[14:15]
	v_add_u32_e32 v57, 1, v53
	v_add_u32_e32 v56, 1, v52
	v_cndmask_b32_e64 v57, v57, v53, s[12:13]
	v_cndmask_b32_e64 v56, v52, v56, s[12:13]
	v_cmp_ge_i32_e64 s[16:17], v57, v18
	s_waitcnt lgkmcnt(0)
	v_cmp_lt_i16_sdwa s[18:19], sext(v55), sext(v54) src0_sel:BYTE_0 src1_sel:BYTE_0
	v_cmp_lt_i32_e64 s[14:15], v56, v19
	s_or_b64 s[16:17], s[16:17], s[18:19]
	s_and_b64 s[14:15], s[14:15], s[16:17]
	s_xor_b64 s[16:17], s[14:15], -1
                                        ; implicit-def: $vgpr58
	s_and_saveexec_b64 s[18:19], s[16:17]
	s_xor_b64 s[16:17], exec, s[18:19]
	s_cbranch_execz .LBB47_32
; %bb.31:                               ;   in Loop: Header=BB47_2 Depth=1
	ds_read_u8 v58, v57 offset:1
.LBB47_32:                              ;   in Loop: Header=BB47_2 Depth=1
	s_or_saveexec_b64 s[16:17], s[16:17]
	v_mov_b32_e32 v59, v55
	s_xor_b64 exec, exec, s[16:17]
	s_cbranch_execz .LBB47_34
; %bb.33:                               ;   in Loop: Header=BB47_2 Depth=1
	ds_read_u8 v59, v56 offset:1
	s_waitcnt lgkmcnt(1)
	v_mov_b32_e32 v58, v54
.LBB47_34:                              ;   in Loop: Header=BB47_2 Depth=1
	s_or_b64 exec, exec, s[16:17]
	v_add_u32_e32 v60, 1, v57
	v_cndmask_b32_e64 v54, v54, v55, s[14:15]
	v_add_u32_e32 v55, 1, v56
	v_cndmask_b32_e64 v60, v60, v57, s[14:15]
	v_cndmask_b32_e64 v55, v56, v55, s[14:15]
	;; [unrolled: 1-line block ×5, first 2 shown]
	v_cmp_ge_i32_e64 s[12:13], v60, v18
	s_waitcnt lgkmcnt(0)
	v_cmp_lt_i16_sdwa s[14:15], sext(v59), sext(v58) src0_sel:BYTE_0 src1_sel:BYTE_0
	v_cndmask_b32_e64 v48, v48, v49, s[10:11]
	v_cndmask_b32_e64 v46, v46, v47, s[10:11]
	v_cmp_lt_i32_e64 s[10:11], v55, v19
	s_or_b64 s[12:13], s[12:13], s[14:15]
	s_and_b64 s[10:11], s[10:11], s[12:13]
	v_cndmask_b32_e64 v49, v60, v55, s[10:11]
	s_waitcnt lgkmcnt(0)
	; wave barrier
	ds_write_b8 v3, v43
	ds_write_b8 v3, v44 offset:1
	ds_write_b8 v3, v45 offset:2
	;; [unrolled: 1-line block ×3, first 2 shown]
	s_waitcnt lgkmcnt(0)
	; wave barrier
	s_waitcnt lgkmcnt(0)
	ds_read_u8 v42, v49
	ds_read_u8 v43, v46
	;; [unrolled: 1-line block ×4, first 2 shown]
	v_cndmask_b32_e64 v47, v58, v59, s[10:11]
	s_waitcnt lgkmcnt(0)
	; wave barrier
	s_waitcnt lgkmcnt(0)
	ds_write_b8 v3, v48
	ds_write_b8 v3, v50 offset:1
	ds_write_b8 v3, v54 offset:2
	;; [unrolled: 1-line block ×3, first 2 shown]
	v_mov_b32_e32 v47, v38
	s_waitcnt lgkmcnt(0)
	; wave barrier
	s_waitcnt lgkmcnt(0)
	s_and_saveexec_b64 s[12:13], s[4:5]
	s_cbranch_execz .LBB47_38
; %bb.35:                               ;   in Loop: Header=BB47_2 Depth=1
	s_mov_b64 s[14:15], 0
	v_mov_b32_e32 v47, v38
	v_mov_b32_e32 v46, v33
.LBB47_36:                              ;   Parent Loop BB47_2 Depth=1
                                        ; =>  This Inner Loop Header: Depth=2
	v_sub_u32_e32 v48, v46, v47
	v_lshrrev_b32_e32 v49, 31, v48
	v_add_u32_e32 v48, v48, v49
	v_ashrrev_i32_e32 v48, 1, v48
	v_add_u32_e32 v48, v48, v47
	v_not_b32_e32 v50, v48
	v_add_u32_e32 v49, v8, v48
	v_add3_u32 v50, v9, v50, v20
	ds_read_i8 v49, v49
	ds_read_i8 v50, v50
	v_add_u32_e32 v51, 1, v48
	s_waitcnt lgkmcnt(0)
	v_cmp_lt_i16_e64 s[10:11], v50, v49
	s_nop 1
	v_cndmask_b32_e64 v46, v46, v48, s[10:11]
	v_cndmask_b32_e64 v47, v51, v47, s[10:11]
	v_cmp_ge_i32_e64 s[10:11], v47, v46
	s_or_b64 s[14:15], s[10:11], s[14:15]
	s_andn2_b64 exec, exec, s[14:15]
	s_cbranch_execnz .LBB47_36
; %bb.37:                               ;   in Loop: Header=BB47_2 Depth=1
	s_or_b64 exec, exec, s[14:15]
.LBB47_38:                              ;   in Loop: Header=BB47_2 Depth=1
	s_or_b64 exec, exec, s[12:13]
	v_add_u32_e32 v46, v47, v8
	v_sub_u32_e32 v47, v28, v47
	ds_read_u8 v48, v46
	ds_read_u8 v49, v47
	v_cmp_le_i32_e64 s[12:13], v20, v46
	v_cmp_gt_i32_e64 s[10:11], v21, v47
                                        ; implicit-def: $vgpr50
	s_waitcnt lgkmcnt(1)
	v_bfe_i32 v48, v48, 0, 8
	s_waitcnt lgkmcnt(0)
	v_bfe_i32 v49, v49, 0, 8
	v_cmp_lt_i16_e64 s[14:15], v49, v48
	s_or_b64 s[12:13], s[12:13], s[14:15]
	s_and_b64 s[10:11], s[10:11], s[12:13]
	s_xor_b64 s[12:13], s[10:11], -1
	s_and_saveexec_b64 s[14:15], s[12:13]
	s_xor_b64 s[12:13], exec, s[14:15]
	s_cbranch_execz .LBB47_40
; %bb.39:                               ;   in Loop: Header=BB47_2 Depth=1
	ds_read_u8 v50, v46 offset:1
.LBB47_40:                              ;   in Loop: Header=BB47_2 Depth=1
	s_or_saveexec_b64 s[12:13], s[12:13]
	v_mov_b32_e32 v51, v49
	s_xor_b64 exec, exec, s[12:13]
	s_cbranch_execz .LBB47_42
; %bb.41:                               ;   in Loop: Header=BB47_2 Depth=1
	ds_read_u8 v51, v47 offset:1
	s_waitcnt lgkmcnt(1)
	v_mov_b32_e32 v50, v48
.LBB47_42:                              ;   in Loop: Header=BB47_2 Depth=1
	s_or_b64 exec, exec, s[12:13]
	v_add_u32_e32 v53, 1, v46
	v_add_u32_e32 v52, 1, v47
	v_cndmask_b32_e64 v53, v53, v46, s[10:11]
	v_cndmask_b32_e64 v52, v47, v52, s[10:11]
	v_cmp_ge_i32_e64 s[14:15], v53, v20
	s_waitcnt lgkmcnt(0)
	v_cmp_lt_i16_sdwa s[16:17], sext(v51), sext(v50) src0_sel:BYTE_0 src1_sel:BYTE_0
	v_cmp_lt_i32_e64 s[12:13], v52, v21
	s_or_b64 s[14:15], s[14:15], s[16:17]
	s_and_b64 s[12:13], s[12:13], s[14:15]
	s_xor_b64 s[14:15], s[12:13], -1
                                        ; implicit-def: $vgpr54
	s_and_saveexec_b64 s[16:17], s[14:15]
	s_xor_b64 s[14:15], exec, s[16:17]
	s_cbranch_execz .LBB47_44
; %bb.43:                               ;   in Loop: Header=BB47_2 Depth=1
	ds_read_u8 v54, v53 offset:1
.LBB47_44:                              ;   in Loop: Header=BB47_2 Depth=1
	s_or_saveexec_b64 s[14:15], s[14:15]
	v_mov_b32_e32 v55, v51
	s_xor_b64 exec, exec, s[14:15]
	s_cbranch_execz .LBB47_46
; %bb.45:                               ;   in Loop: Header=BB47_2 Depth=1
	ds_read_u8 v55, v52 offset:1
	s_waitcnt lgkmcnt(1)
	v_mov_b32_e32 v54, v50
.LBB47_46:                              ;   in Loop: Header=BB47_2 Depth=1
	s_or_b64 exec, exec, s[14:15]
	v_add_u32_e32 v57, 1, v53
	v_add_u32_e32 v56, 1, v52
	v_cndmask_b32_e64 v57, v57, v53, s[12:13]
	v_cndmask_b32_e64 v56, v52, v56, s[12:13]
	v_cmp_ge_i32_e64 s[16:17], v57, v20
	s_waitcnt lgkmcnt(0)
	v_cmp_lt_i16_sdwa s[18:19], sext(v55), sext(v54) src0_sel:BYTE_0 src1_sel:BYTE_0
	v_cmp_lt_i32_e64 s[14:15], v56, v21
	s_or_b64 s[16:17], s[16:17], s[18:19]
	s_and_b64 s[14:15], s[14:15], s[16:17]
	s_xor_b64 s[16:17], s[14:15], -1
                                        ; implicit-def: $vgpr58
	s_and_saveexec_b64 s[18:19], s[16:17]
	s_xor_b64 s[16:17], exec, s[18:19]
	s_cbranch_execz .LBB47_48
; %bb.47:                               ;   in Loop: Header=BB47_2 Depth=1
	ds_read_u8 v58, v57 offset:1
.LBB47_48:                              ;   in Loop: Header=BB47_2 Depth=1
	s_or_saveexec_b64 s[16:17], s[16:17]
	v_mov_b32_e32 v59, v55
	s_xor_b64 exec, exec, s[16:17]
	s_cbranch_execz .LBB47_50
; %bb.49:                               ;   in Loop: Header=BB47_2 Depth=1
	ds_read_u8 v59, v56 offset:1
	s_waitcnt lgkmcnt(1)
	v_mov_b32_e32 v58, v54
.LBB47_50:                              ;   in Loop: Header=BB47_2 Depth=1
	s_or_b64 exec, exec, s[16:17]
	v_add_u32_e32 v60, 1, v57
	v_cndmask_b32_e64 v54, v54, v55, s[14:15]
	v_add_u32_e32 v55, 1, v56
	v_cndmask_b32_e64 v60, v60, v57, s[14:15]
	v_cndmask_b32_e64 v55, v56, v55, s[14:15]
	;; [unrolled: 1-line block ×5, first 2 shown]
	v_cmp_ge_i32_e64 s[12:13], v60, v20
	s_waitcnt lgkmcnt(0)
	v_cmp_lt_i16_sdwa s[14:15], sext(v59), sext(v58) src0_sel:BYTE_0 src1_sel:BYTE_0
	v_cndmask_b32_e64 v48, v48, v49, s[10:11]
	v_cndmask_b32_e64 v46, v46, v47, s[10:11]
	v_cmp_lt_i32_e64 s[10:11], v55, v21
	s_or_b64 s[12:13], s[12:13], s[14:15]
	s_and_b64 s[10:11], s[10:11], s[12:13]
	v_cndmask_b32_e64 v49, v60, v55, s[10:11]
	s_waitcnt lgkmcnt(0)
	; wave barrier
	ds_write_b8 v3, v43
	ds_write_b8 v3, v44 offset:1
	ds_write_b8 v3, v45 offset:2
	;; [unrolled: 1-line block ×3, first 2 shown]
	s_waitcnt lgkmcnt(0)
	; wave barrier
	s_waitcnt lgkmcnt(0)
	ds_read_u8 v42, v49
	ds_read_u8 v43, v46
	;; [unrolled: 1-line block ×4, first 2 shown]
	v_cndmask_b32_e64 v47, v58, v59, s[10:11]
	s_waitcnt lgkmcnt(0)
	; wave barrier
	s_waitcnt lgkmcnt(0)
	ds_write_b8 v3, v48
	ds_write_b8 v3, v50 offset:1
	ds_write_b8 v3, v54 offset:2
	;; [unrolled: 1-line block ×3, first 2 shown]
	v_mov_b32_e32 v47, v39
	s_waitcnt lgkmcnt(0)
	; wave barrier
	s_waitcnt lgkmcnt(0)
	s_and_saveexec_b64 s[12:13], s[6:7]
	s_cbranch_execz .LBB47_54
; %bb.51:                               ;   in Loop: Header=BB47_2 Depth=1
	s_mov_b64 s[14:15], 0
	v_mov_b32_e32 v47, v39
	v_mov_b32_e32 v46, v34
.LBB47_52:                              ;   Parent Loop BB47_2 Depth=1
                                        ; =>  This Inner Loop Header: Depth=2
	v_sub_u32_e32 v48, v46, v47
	v_lshrrev_b32_e32 v49, 31, v48
	v_add_u32_e32 v48, v48, v49
	v_ashrrev_i32_e32 v48, 1, v48
	v_add_u32_e32 v48, v48, v47
	v_not_b32_e32 v50, v48
	v_add_u32_e32 v49, v10, v48
	v_add3_u32 v50, v11, v50, v22
	ds_read_i8 v49, v49
	ds_read_i8 v50, v50
	v_add_u32_e32 v51, 1, v48
	s_waitcnt lgkmcnt(0)
	v_cmp_lt_i16_e64 s[10:11], v50, v49
	s_nop 1
	v_cndmask_b32_e64 v46, v46, v48, s[10:11]
	v_cndmask_b32_e64 v47, v51, v47, s[10:11]
	v_cmp_ge_i32_e64 s[10:11], v47, v46
	s_or_b64 s[14:15], s[10:11], s[14:15]
	s_andn2_b64 exec, exec, s[14:15]
	s_cbranch_execnz .LBB47_52
; %bb.53:                               ;   in Loop: Header=BB47_2 Depth=1
	s_or_b64 exec, exec, s[14:15]
.LBB47_54:                              ;   in Loop: Header=BB47_2 Depth=1
	s_or_b64 exec, exec, s[12:13]
	v_add_u32_e32 v46, v47, v10
	v_sub_u32_e32 v47, v29, v47
	ds_read_u8 v48, v46
	ds_read_u8 v49, v47
	v_cmp_le_i32_e64 s[12:13], v22, v46
	v_cmp_gt_i32_e64 s[10:11], v23, v47
                                        ; implicit-def: $vgpr50
	s_waitcnt lgkmcnt(1)
	v_bfe_i32 v48, v48, 0, 8
	s_waitcnt lgkmcnt(0)
	v_bfe_i32 v49, v49, 0, 8
	v_cmp_lt_i16_e64 s[14:15], v49, v48
	s_or_b64 s[12:13], s[12:13], s[14:15]
	s_and_b64 s[10:11], s[10:11], s[12:13]
	s_xor_b64 s[12:13], s[10:11], -1
	s_and_saveexec_b64 s[14:15], s[12:13]
	s_xor_b64 s[12:13], exec, s[14:15]
	s_cbranch_execz .LBB47_56
; %bb.55:                               ;   in Loop: Header=BB47_2 Depth=1
	ds_read_u8 v50, v46 offset:1
.LBB47_56:                              ;   in Loop: Header=BB47_2 Depth=1
	s_or_saveexec_b64 s[12:13], s[12:13]
	v_mov_b32_e32 v51, v49
	s_xor_b64 exec, exec, s[12:13]
	s_cbranch_execz .LBB47_58
; %bb.57:                               ;   in Loop: Header=BB47_2 Depth=1
	ds_read_u8 v51, v47 offset:1
	s_waitcnt lgkmcnt(1)
	v_mov_b32_e32 v50, v48
.LBB47_58:                              ;   in Loop: Header=BB47_2 Depth=1
	s_or_b64 exec, exec, s[12:13]
	v_add_u32_e32 v53, 1, v46
	v_add_u32_e32 v52, 1, v47
	v_cndmask_b32_e64 v53, v53, v46, s[10:11]
	v_cndmask_b32_e64 v52, v47, v52, s[10:11]
	v_cmp_ge_i32_e64 s[14:15], v53, v22
	s_waitcnt lgkmcnt(0)
	v_cmp_lt_i16_sdwa s[16:17], sext(v51), sext(v50) src0_sel:BYTE_0 src1_sel:BYTE_0
	v_cmp_lt_i32_e64 s[12:13], v52, v23
	s_or_b64 s[14:15], s[14:15], s[16:17]
	s_and_b64 s[12:13], s[12:13], s[14:15]
	s_xor_b64 s[14:15], s[12:13], -1
                                        ; implicit-def: $vgpr54
	s_and_saveexec_b64 s[16:17], s[14:15]
	s_xor_b64 s[14:15], exec, s[16:17]
	s_cbranch_execz .LBB47_60
; %bb.59:                               ;   in Loop: Header=BB47_2 Depth=1
	ds_read_u8 v54, v53 offset:1
.LBB47_60:                              ;   in Loop: Header=BB47_2 Depth=1
	s_or_saveexec_b64 s[14:15], s[14:15]
	v_mov_b32_e32 v55, v51
	s_xor_b64 exec, exec, s[14:15]
	s_cbranch_execz .LBB47_62
; %bb.61:                               ;   in Loop: Header=BB47_2 Depth=1
	ds_read_u8 v55, v52 offset:1
	s_waitcnt lgkmcnt(1)
	v_mov_b32_e32 v54, v50
.LBB47_62:                              ;   in Loop: Header=BB47_2 Depth=1
	s_or_b64 exec, exec, s[14:15]
	v_add_u32_e32 v57, 1, v53
	v_add_u32_e32 v56, 1, v52
	v_cndmask_b32_e64 v57, v57, v53, s[12:13]
	v_cndmask_b32_e64 v56, v52, v56, s[12:13]
	v_cmp_ge_i32_e64 s[16:17], v57, v22
	s_waitcnt lgkmcnt(0)
	v_cmp_lt_i16_sdwa s[18:19], sext(v55), sext(v54) src0_sel:BYTE_0 src1_sel:BYTE_0
	v_cmp_lt_i32_e64 s[14:15], v56, v23
	s_or_b64 s[16:17], s[16:17], s[18:19]
	s_and_b64 s[14:15], s[14:15], s[16:17]
	s_xor_b64 s[16:17], s[14:15], -1
                                        ; implicit-def: $vgpr58
	s_and_saveexec_b64 s[18:19], s[16:17]
	s_xor_b64 s[16:17], exec, s[18:19]
	s_cbranch_execz .LBB47_64
; %bb.63:                               ;   in Loop: Header=BB47_2 Depth=1
	ds_read_u8 v58, v57 offset:1
.LBB47_64:                              ;   in Loop: Header=BB47_2 Depth=1
	s_or_saveexec_b64 s[16:17], s[16:17]
	v_mov_b32_e32 v59, v55
	s_xor_b64 exec, exec, s[16:17]
	s_cbranch_execz .LBB47_66
; %bb.65:                               ;   in Loop: Header=BB47_2 Depth=1
	ds_read_u8 v59, v56 offset:1
	s_waitcnt lgkmcnt(1)
	v_mov_b32_e32 v58, v54
.LBB47_66:                              ;   in Loop: Header=BB47_2 Depth=1
	s_or_b64 exec, exec, s[16:17]
	v_add_u32_e32 v60, 1, v57
	v_cndmask_b32_e64 v54, v54, v55, s[14:15]
	v_add_u32_e32 v55, 1, v56
	v_cndmask_b32_e64 v60, v60, v57, s[14:15]
	v_cndmask_b32_e64 v55, v56, v55, s[14:15]
	;; [unrolled: 1-line block ×5, first 2 shown]
	v_cmp_ge_i32_e64 s[12:13], v60, v22
	s_waitcnt lgkmcnt(0)
	v_cmp_lt_i16_sdwa s[14:15], sext(v59), sext(v58) src0_sel:BYTE_0 src1_sel:BYTE_0
	v_cndmask_b32_e64 v48, v48, v49, s[10:11]
	v_cndmask_b32_e64 v46, v46, v47, s[10:11]
	v_cmp_lt_i32_e64 s[10:11], v55, v23
	s_or_b64 s[12:13], s[12:13], s[14:15]
	s_and_b64 s[10:11], s[10:11], s[12:13]
	v_cndmask_b32_e64 v49, v60, v55, s[10:11]
	s_waitcnt lgkmcnt(0)
	; wave barrier
	ds_write_b8 v3, v43
	ds_write_b8 v3, v44 offset:1
	ds_write_b8 v3, v45 offset:2
	ds_write_b8 v3, v42 offset:3
	s_waitcnt lgkmcnt(0)
	; wave barrier
	s_waitcnt lgkmcnt(0)
	ds_read_u8 v42, v49
	ds_read_u8 v43, v46
	;; [unrolled: 1-line block ×4, first 2 shown]
	v_cndmask_b32_e64 v47, v58, v59, s[10:11]
	s_waitcnt lgkmcnt(0)
	; wave barrier
	s_waitcnt lgkmcnt(0)
	ds_write_b8 v3, v48
	ds_write_b8 v3, v50 offset:1
	ds_write_b8 v3, v54 offset:2
	;; [unrolled: 1-line block ×3, first 2 shown]
	v_mov_b32_e32 v47, v40
	s_waitcnt lgkmcnt(0)
	; wave barrier
	s_waitcnt lgkmcnt(0)
	s_and_saveexec_b64 s[12:13], s[8:9]
	s_cbranch_execz .LBB47_70
; %bb.67:                               ;   in Loop: Header=BB47_2 Depth=1
	s_mov_b64 s[14:15], 0
	v_mov_b32_e32 v47, v40
	v_mov_b32_e32 v46, v35
.LBB47_68:                              ;   Parent Loop BB47_2 Depth=1
                                        ; =>  This Inner Loop Header: Depth=2
	v_sub_u32_e32 v48, v46, v47
	v_lshrrev_b32_e32 v49, 31, v48
	v_add_u32_e32 v48, v48, v49
	v_ashrrev_i32_e32 v48, 1, v48
	v_add_u32_e32 v48, v48, v47
	v_not_b32_e32 v50, v48
	v_add_u32_e32 v49, v12, v48
	v_add3_u32 v50, v13, v50, v24
	ds_read_i8 v49, v49
	ds_read_i8 v50, v50
	v_add_u32_e32 v51, 1, v48
	s_waitcnt lgkmcnt(0)
	v_cmp_lt_i16_e64 s[10:11], v50, v49
	s_nop 1
	v_cndmask_b32_e64 v46, v46, v48, s[10:11]
	v_cndmask_b32_e64 v47, v51, v47, s[10:11]
	v_cmp_ge_i32_e64 s[10:11], v47, v46
	s_or_b64 s[14:15], s[10:11], s[14:15]
	s_andn2_b64 exec, exec, s[14:15]
	s_cbranch_execnz .LBB47_68
; %bb.69:                               ;   in Loop: Header=BB47_2 Depth=1
	s_or_b64 exec, exec, s[14:15]
.LBB47_70:                              ;   in Loop: Header=BB47_2 Depth=1
	s_or_b64 exec, exec, s[12:13]
	v_add_u32_e32 v46, v47, v12
	v_sub_u32_e32 v47, v30, v47
	ds_read_u8 v48, v46
	ds_read_u8 v49, v47
	v_cmp_le_i32_e64 s[12:13], v24, v46
	v_cmp_gt_i32_e64 s[10:11], v25, v47
                                        ; implicit-def: $vgpr50
	s_waitcnt lgkmcnt(1)
	v_bfe_i32 v48, v48, 0, 8
	s_waitcnt lgkmcnt(0)
	v_bfe_i32 v49, v49, 0, 8
	v_cmp_lt_i16_e64 s[14:15], v49, v48
	s_or_b64 s[12:13], s[12:13], s[14:15]
	s_and_b64 s[10:11], s[10:11], s[12:13]
	s_xor_b64 s[12:13], s[10:11], -1
	s_and_saveexec_b64 s[14:15], s[12:13]
	s_xor_b64 s[12:13], exec, s[14:15]
	s_cbranch_execz .LBB47_72
; %bb.71:                               ;   in Loop: Header=BB47_2 Depth=1
	ds_read_u8 v50, v46 offset:1
.LBB47_72:                              ;   in Loop: Header=BB47_2 Depth=1
	s_or_saveexec_b64 s[12:13], s[12:13]
	v_mov_b32_e32 v51, v49
	s_xor_b64 exec, exec, s[12:13]
	s_cbranch_execz .LBB47_74
; %bb.73:                               ;   in Loop: Header=BB47_2 Depth=1
	ds_read_u8 v51, v47 offset:1
	s_waitcnt lgkmcnt(1)
	v_mov_b32_e32 v50, v48
.LBB47_74:                              ;   in Loop: Header=BB47_2 Depth=1
	s_or_b64 exec, exec, s[12:13]
	v_add_u32_e32 v53, 1, v46
	v_add_u32_e32 v52, 1, v47
	v_cndmask_b32_e64 v53, v53, v46, s[10:11]
	v_cndmask_b32_e64 v52, v47, v52, s[10:11]
	v_cmp_ge_i32_e64 s[14:15], v53, v24
	s_waitcnt lgkmcnt(0)
	v_cmp_lt_i16_sdwa s[16:17], sext(v51), sext(v50) src0_sel:BYTE_0 src1_sel:BYTE_0
	v_cmp_lt_i32_e64 s[12:13], v52, v25
	s_or_b64 s[14:15], s[14:15], s[16:17]
	s_and_b64 s[12:13], s[12:13], s[14:15]
	s_xor_b64 s[14:15], s[12:13], -1
                                        ; implicit-def: $vgpr54
	s_and_saveexec_b64 s[16:17], s[14:15]
	s_xor_b64 s[14:15], exec, s[16:17]
	s_cbranch_execz .LBB47_76
; %bb.75:                               ;   in Loop: Header=BB47_2 Depth=1
	ds_read_u8 v54, v53 offset:1
.LBB47_76:                              ;   in Loop: Header=BB47_2 Depth=1
	s_or_saveexec_b64 s[14:15], s[14:15]
	v_mov_b32_e32 v55, v51
	s_xor_b64 exec, exec, s[14:15]
	s_cbranch_execz .LBB47_78
; %bb.77:                               ;   in Loop: Header=BB47_2 Depth=1
	ds_read_u8 v55, v52 offset:1
	s_waitcnt lgkmcnt(1)
	v_mov_b32_e32 v54, v50
.LBB47_78:                              ;   in Loop: Header=BB47_2 Depth=1
	s_or_b64 exec, exec, s[14:15]
	v_add_u32_e32 v57, 1, v53
	v_add_u32_e32 v56, 1, v52
	v_cndmask_b32_e64 v57, v57, v53, s[12:13]
	v_cndmask_b32_e64 v56, v52, v56, s[12:13]
	v_cmp_ge_i32_e64 s[16:17], v57, v24
	s_waitcnt lgkmcnt(0)
	v_cmp_lt_i16_sdwa s[18:19], sext(v55), sext(v54) src0_sel:BYTE_0 src1_sel:BYTE_0
	v_cmp_lt_i32_e64 s[14:15], v56, v25
	s_or_b64 s[16:17], s[16:17], s[18:19]
	s_and_b64 s[14:15], s[14:15], s[16:17]
	s_xor_b64 s[16:17], s[14:15], -1
                                        ; implicit-def: $vgpr58
	s_and_saveexec_b64 s[18:19], s[16:17]
	s_xor_b64 s[16:17], exec, s[18:19]
	s_cbranch_execz .LBB47_80
; %bb.79:                               ;   in Loop: Header=BB47_2 Depth=1
	ds_read_u8 v58, v57 offset:1
.LBB47_80:                              ;   in Loop: Header=BB47_2 Depth=1
	s_or_saveexec_b64 s[16:17], s[16:17]
	v_mov_b32_e32 v59, v55
	s_xor_b64 exec, exec, s[16:17]
	s_cbranch_execz .LBB47_82
; %bb.81:                               ;   in Loop: Header=BB47_2 Depth=1
	ds_read_u8 v59, v56 offset:1
	s_waitcnt lgkmcnt(1)
	v_mov_b32_e32 v58, v54
.LBB47_82:                              ;   in Loop: Header=BB47_2 Depth=1
	s_or_b64 exec, exec, s[16:17]
	v_add_u32_e32 v60, 1, v57
	v_cndmask_b32_e64 v54, v54, v55, s[14:15]
	v_add_u32_e32 v55, 1, v56
	v_cndmask_b32_e64 v60, v60, v57, s[14:15]
	v_cndmask_b32_e64 v55, v56, v55, s[14:15]
	;; [unrolled: 1-line block ×5, first 2 shown]
	v_cmp_ge_i32_e64 s[12:13], v60, v24
	s_waitcnt lgkmcnt(0)
	v_cmp_lt_i16_sdwa s[14:15], sext(v59), sext(v58) src0_sel:BYTE_0 src1_sel:BYTE_0
	v_cndmask_b32_e64 v48, v48, v49, s[10:11]
	v_cndmask_b32_e64 v46, v46, v47, s[10:11]
	v_cmp_lt_i32_e64 s[10:11], v55, v25
	s_or_b64 s[12:13], s[12:13], s[14:15]
	s_and_b64 s[10:11], s[10:11], s[12:13]
	v_cndmask_b32_e64 v49, v60, v55, s[10:11]
	s_waitcnt lgkmcnt(0)
	; wave barrier
	ds_write_b8 v3, v43
	ds_write_b8 v3, v44 offset:1
	ds_write_b8 v3, v45 offset:2
	;; [unrolled: 1-line block ×3, first 2 shown]
	s_waitcnt lgkmcnt(0)
	; wave barrier
	s_waitcnt lgkmcnt(0)
	ds_read_u8 v42, v49
	ds_read_u8 v43, v46
	;; [unrolled: 1-line block ×4, first 2 shown]
	v_mov_b32_e32 v46, v14
	v_cndmask_b32_e64 v47, v58, v59, s[10:11]
	s_waitcnt lgkmcnt(0)
	; wave barrier
	s_waitcnt lgkmcnt(0)
	ds_write_b8 v3, v48
	ds_write_b8 v3, v50 offset:1
	ds_write_b8 v3, v54 offset:2
	ds_write_b8 v3, v47 offset:3
	s_waitcnt lgkmcnt(0)
	; wave barrier
	s_waitcnt lgkmcnt(0)
	s_and_saveexec_b64 s[12:13], vcc
	s_cbranch_execz .LBB47_86
; %bb.83:                               ;   in Loop: Header=BB47_2 Depth=1
	s_mov_b64 s[14:15], 0
	v_mov_b32_e32 v46, v14
	v_mov_b32_e32 v47, v15
.LBB47_84:                              ;   Parent Loop BB47_2 Depth=1
                                        ; =>  This Inner Loop Header: Depth=2
	v_sub_u32_e32 v48, v47, v46
	v_lshrrev_b32_e32 v49, 31, v48
	v_add_u32_e32 v48, v48, v49
	v_ashrrev_i32_e32 v48, 1, v48
	v_add_u32_e32 v48, v48, v46
	v_not_b32_e32 v49, v48
	v_add3_u32 v49, v3, v49, v2
	ds_read_i8 v50, v48
	ds_read_i8 v49, v49
	v_add_u32_e32 v51, 1, v48
	s_waitcnt lgkmcnt(0)
	v_cmp_lt_i16_e64 s[10:11], v49, v50
	s_nop 1
	v_cndmask_b32_e64 v47, v47, v48, s[10:11]
	v_cndmask_b32_e64 v46, v51, v46, s[10:11]
	v_cmp_ge_i32_e64 s[10:11], v46, v47
	s_or_b64 s[14:15], s[10:11], s[14:15]
	s_andn2_b64 exec, exec, s[14:15]
	s_cbranch_execnz .LBB47_84
; %bb.85:                               ;   in Loop: Header=BB47_2 Depth=1
	s_or_b64 exec, exec, s[14:15]
.LBB47_86:                              ;   in Loop: Header=BB47_2 Depth=1
	s_or_b64 exec, exec, s[12:13]
	v_sub_u32_e32 v47, v41, v46
	ds_read_u8 v48, v46
	ds_read_u8 v49, v47
	v_cmp_le_i32_e64 s[12:13], v2, v46
	v_cmp_gt_i32_e64 s[10:11], s36, v47
                                        ; implicit-def: $vgpr50
	s_waitcnt lgkmcnt(1)
	v_bfe_i32 v48, v48, 0, 8
	s_waitcnt lgkmcnt(0)
	v_bfe_i32 v49, v49, 0, 8
	v_cmp_lt_i16_e64 s[14:15], v49, v48
	s_or_b64 s[12:13], s[12:13], s[14:15]
	s_and_b64 s[10:11], s[10:11], s[12:13]
	s_xor_b64 s[12:13], s[10:11], -1
	s_and_saveexec_b64 s[14:15], s[12:13]
	s_xor_b64 s[12:13], exec, s[14:15]
	s_cbranch_execz .LBB47_88
; %bb.87:                               ;   in Loop: Header=BB47_2 Depth=1
	ds_read_u8 v50, v46 offset:1
.LBB47_88:                              ;   in Loop: Header=BB47_2 Depth=1
	s_or_saveexec_b64 s[12:13], s[12:13]
	v_mov_b32_e32 v51, v49
	s_xor_b64 exec, exec, s[12:13]
	s_cbranch_execz .LBB47_90
; %bb.89:                               ;   in Loop: Header=BB47_2 Depth=1
	ds_read_u8 v51, v47 offset:1
	s_waitcnt lgkmcnt(1)
	v_mov_b32_e32 v50, v48
.LBB47_90:                              ;   in Loop: Header=BB47_2 Depth=1
	s_or_b64 exec, exec, s[12:13]
	v_add_u32_e32 v53, 1, v46
	v_add_u32_e32 v52, 1, v47
	v_cndmask_b32_e64 v53, v53, v46, s[10:11]
	v_cndmask_b32_e64 v52, v47, v52, s[10:11]
	v_cmp_ge_i32_e64 s[14:15], v53, v2
	s_waitcnt lgkmcnt(0)
	v_cmp_lt_i16_sdwa s[16:17], sext(v51), sext(v50) src0_sel:BYTE_0 src1_sel:BYTE_0
	v_cmp_gt_i32_e64 s[12:13], s36, v52
	s_or_b64 s[14:15], s[14:15], s[16:17]
	s_and_b64 s[12:13], s[12:13], s[14:15]
	s_xor_b64 s[14:15], s[12:13], -1
                                        ; implicit-def: $vgpr54
	s_and_saveexec_b64 s[16:17], s[14:15]
	s_xor_b64 s[14:15], exec, s[16:17]
	s_cbranch_execz .LBB47_92
; %bb.91:                               ;   in Loop: Header=BB47_2 Depth=1
	ds_read_u8 v54, v53 offset:1
.LBB47_92:                              ;   in Loop: Header=BB47_2 Depth=1
	s_or_saveexec_b64 s[14:15], s[14:15]
	v_mov_b32_e32 v55, v51
	s_xor_b64 exec, exec, s[14:15]
	s_cbranch_execz .LBB47_94
; %bb.93:                               ;   in Loop: Header=BB47_2 Depth=1
	ds_read_u8 v55, v52 offset:1
	s_waitcnt lgkmcnt(1)
	v_mov_b32_e32 v54, v50
.LBB47_94:                              ;   in Loop: Header=BB47_2 Depth=1
	s_or_b64 exec, exec, s[14:15]
	v_add_u32_e32 v57, 1, v53
	v_add_u32_e32 v56, 1, v52
	v_cndmask_b32_e64 v60, v57, v53, s[12:13]
	v_cndmask_b32_e64 v56, v52, v56, s[12:13]
	v_cmp_ge_i32_e64 s[16:17], v60, v2
	s_waitcnt lgkmcnt(0)
	v_cmp_lt_i16_sdwa s[18:19], sext(v55), sext(v54) src0_sel:BYTE_0 src1_sel:BYTE_0
	v_cmp_gt_i32_e64 s[14:15], s36, v56
	s_or_b64 s[16:17], s[16:17], s[18:19]
	s_and_b64 s[14:15], s[14:15], s[16:17]
	s_xor_b64 s[16:17], s[14:15], -1
                                        ; implicit-def: $vgpr58
                                        ; implicit-def: $vgpr57
	s_and_saveexec_b64 s[18:19], s[16:17]
	s_xor_b64 s[16:17], exec, s[18:19]
	s_cbranch_execz .LBB47_96
; %bb.95:                               ;   in Loop: Header=BB47_2 Depth=1
	ds_read_u8 v58, v60 offset:1
	v_add_u32_e32 v57, 1, v60
.LBB47_96:                              ;   in Loop: Header=BB47_2 Depth=1
	s_or_saveexec_b64 s[16:17], s[16:17]
	v_mov_b32_e32 v59, v60
	v_mov_b32_e32 v61, v55
	s_xor_b64 exec, exec, s[16:17]
	s_cbranch_execz .LBB47_1
; %bb.97:                               ;   in Loop: Header=BB47_2 Depth=1
	ds_read_u8 v61, v56 offset:1
	s_waitcnt lgkmcnt(1)
	v_add_u32_e32 v58, 1, v56
	v_mov_b32_e32 v59, v56
	v_mov_b32_e32 v57, v60
	;; [unrolled: 1-line block ×4, first 2 shown]
	s_branch .LBB47_1
.LBB47_98:
	s_add_u32 s0, s30, s33
	s_addc_u32 s1, s31, 0
	v_add_u16_e32 v2, v48, v47
	v_lshl_add_u64 v[0:1], s[0:1], 0, v[0:1]
	v_add_u16_e32 v3, v49, v51
	v_add_u16_e32 v4, v50, v44
	v_add_u16_e32 v5, v46, v45
	global_store_byte v[0:1], v2, off
	global_store_byte v[0:1], v3, off offset:64
	global_store_byte v[0:1], v4, off offset:128
	;; [unrolled: 1-line block ×3, first 2 shown]
	s_endpgm
	.section	.rodata,"a",@progbits
	.p2align	6, 0x0
	.amdhsa_kernel _Z17sort_pairs_kernelIaLj64ELj4EN10test_utils4lessELj10EEvPKT_PS2_T2_
		.amdhsa_group_segment_fixed_size 257
		.amdhsa_private_segment_fixed_size 0
		.amdhsa_kernarg_size 20
		.amdhsa_user_sgpr_count 2
		.amdhsa_user_sgpr_dispatch_ptr 0
		.amdhsa_user_sgpr_queue_ptr 0
		.amdhsa_user_sgpr_kernarg_segment_ptr 1
		.amdhsa_user_sgpr_dispatch_id 0
		.amdhsa_user_sgpr_kernarg_preload_length 0
		.amdhsa_user_sgpr_kernarg_preload_offset 0
		.amdhsa_user_sgpr_private_segment_size 0
		.amdhsa_uses_dynamic_stack 0
		.amdhsa_enable_private_segment 0
		.amdhsa_system_sgpr_workgroup_id_x 1
		.amdhsa_system_sgpr_workgroup_id_y 0
		.amdhsa_system_sgpr_workgroup_id_z 0
		.amdhsa_system_sgpr_workgroup_info 0
		.amdhsa_system_vgpr_workitem_id 0
		.amdhsa_next_free_vgpr 62
		.amdhsa_next_free_sgpr 44
		.amdhsa_accum_offset 64
		.amdhsa_reserve_vcc 1
		.amdhsa_float_round_mode_32 0
		.amdhsa_float_round_mode_16_64 0
		.amdhsa_float_denorm_mode_32 3
		.amdhsa_float_denorm_mode_16_64 3
		.amdhsa_dx10_clamp 1
		.amdhsa_ieee_mode 1
		.amdhsa_fp16_overflow 0
		.amdhsa_tg_split 0
		.amdhsa_exception_fp_ieee_invalid_op 0
		.amdhsa_exception_fp_denorm_src 0
		.amdhsa_exception_fp_ieee_div_zero 0
		.amdhsa_exception_fp_ieee_overflow 0
		.amdhsa_exception_fp_ieee_underflow 0
		.amdhsa_exception_fp_ieee_inexact 0
		.amdhsa_exception_int_div_zero 0
	.end_amdhsa_kernel
	.section	.text._Z17sort_pairs_kernelIaLj64ELj4EN10test_utils4lessELj10EEvPKT_PS2_T2_,"axG",@progbits,_Z17sort_pairs_kernelIaLj64ELj4EN10test_utils4lessELj10EEvPKT_PS2_T2_,comdat
.Lfunc_end47:
	.size	_Z17sort_pairs_kernelIaLj64ELj4EN10test_utils4lessELj10EEvPKT_PS2_T2_, .Lfunc_end47-_Z17sort_pairs_kernelIaLj64ELj4EN10test_utils4lessELj10EEvPKT_PS2_T2_
                                        ; -- End function
	.section	.AMDGPU.csdata,"",@progbits
; Kernel info:
; codeLenInByte = 5712
; NumSgprs: 50
; NumVgprs: 62
; NumAgprs: 0
; TotalNumVgprs: 62
; ScratchSize: 0
; MemoryBound: 0
; FloatMode: 240
; IeeeMode: 1
; LDSByteSize: 257 bytes/workgroup (compile time only)
; SGPRBlocks: 6
; VGPRBlocks: 7
; NumSGPRsForWavesPerEU: 50
; NumVGPRsForWavesPerEU: 62
; AccumOffset: 64
; Occupancy: 8
; WaveLimiterHint : 0
; COMPUTE_PGM_RSRC2:SCRATCH_EN: 0
; COMPUTE_PGM_RSRC2:USER_SGPR: 2
; COMPUTE_PGM_RSRC2:TRAP_HANDLER: 0
; COMPUTE_PGM_RSRC2:TGID_X_EN: 1
; COMPUTE_PGM_RSRC2:TGID_Y_EN: 0
; COMPUTE_PGM_RSRC2:TGID_Z_EN: 0
; COMPUTE_PGM_RSRC2:TIDIG_COMP_CNT: 0
; COMPUTE_PGM_RSRC3_GFX90A:ACCUM_OFFSET: 15
; COMPUTE_PGM_RSRC3_GFX90A:TG_SPLIT: 0
	.section	.text._Z16sort_keys_kernelIaLj64ELj8EN10test_utils4lessELj10EEvPKT_PS2_T2_,"axG",@progbits,_Z16sort_keys_kernelIaLj64ELj8EN10test_utils4lessELj10EEvPKT_PS2_T2_,comdat
	.protected	_Z16sort_keys_kernelIaLj64ELj8EN10test_utils4lessELj10EEvPKT_PS2_T2_ ; -- Begin function _Z16sort_keys_kernelIaLj64ELj8EN10test_utils4lessELj10EEvPKT_PS2_T2_
	.globl	_Z16sort_keys_kernelIaLj64ELj8EN10test_utils4lessELj10EEvPKT_PS2_T2_
	.p2align	8
	.type	_Z16sort_keys_kernelIaLj64ELj8EN10test_utils4lessELj10EEvPKT_PS2_T2_,@function
_Z16sort_keys_kernelIaLj64ELj8EN10test_utils4lessELj10EEvPKT_PS2_T2_: ; @_Z16sort_keys_kernelIaLj64ELj8EN10test_utils4lessELj10EEvPKT_PS2_T2_
; %bb.0:
	s_load_dwordx4 s[24:27], s[0:1], 0x0
	s_lshl_b32 s28, s2, 9
	v_lshlrev_b32_e32 v3, 3, v0
	v_and_b32_e32 v4, 0x1f0, v3
	v_and_b32_e32 v6, 0x1e0, v3
	s_waitcnt lgkmcnt(0)
	s_add_u32 s0, s24, s28
	s_addc_u32 s1, s25, 0
	global_load_ubyte v42, v0, s[0:1] offset:64
	global_load_ubyte v43, v0, s[0:1] offset:192
	;; [unrolled: 1-line block ×3, first 2 shown]
	global_load_ubyte v45, v0, s[0:1]
	global_load_ubyte v46, v0, s[0:1] offset:128
	global_load_ubyte v47, v0, s[0:1] offset:256
	;; [unrolled: 1-line block ×4, first 2 shown]
	v_or_b32_e32 v17, 8, v4
	v_add_u32_e32 v18, 16, v4
	v_and_b32_e32 v5, 8, v3
	v_and_b32_e32 v8, 0x1c0, v3
	v_or_b32_e32 v19, 16, v6
	v_add_u32_e32 v20, 32, v6
	v_sub_u32_e32 v37, v18, v17
	v_and_b32_e32 v7, 24, v3
	v_and_b32_e32 v10, 0x180, v3
	v_or_b32_e32 v21, 32, v8
	v_add_u32_e32 v22, 64, v8
	v_sub_u32_e32 v38, v20, v19
	v_sub_u32_e32 v50, v5, v37
	v_cmp_ge_i32_e64 s[0:1], v5, v37
	v_and_b32_e32 v9, 56, v3
	v_and_b32_e32 v12, 0x100, v3
	v_or_b32_e32 v23, 64, v10
	v_add_u32_e32 v24, 0x80, v10
	v_sub_u32_e32 v39, v22, v21
	v_sub_u32_e32 v51, v7, v38
	v_cndmask_b32_e64 v37, 0, v50, s[0:1]
	v_cmp_ge_i32_e64 s[0:1], v7, v38
	v_and_b32_e32 v11, 0x78, v3
	v_or_b32_e32 v25, 0x80, v12
	v_add_u32_e32 v26, 0x100, v12
	v_sub_u32_e32 v40, v24, v23
	v_sub_u32_e32 v52, v9, v39
	v_cndmask_b32_e64 v38, 0, v51, s[0:1]
	v_cmp_ge_i32_e64 s[0:1], v9, v39
	v_and_b32_e32 v13, 0xf8, v3
	v_sub_u32_e32 v41, v26, v25
	v_sub_u32_e32 v53, v11, v40
	v_cndmask_b32_e64 v39, 0, v52, s[0:1]
	v_cmp_ge_i32_e64 s[0:1], v11, v40
	v_mov_b32_e32 v2, 0x100
	v_sub_u32_e32 v32, v17, v4
	v_sub_u32_e32 v33, v19, v6
	;; [unrolled: 1-line block ×6, first 2 shown]
	v_cndmask_b32_e64 v40, 0, v53, s[0:1]
	v_cmp_ge_i32_e64 s[0:1], v13, v41
	v_sub_u32_e64 v14, v3, v2 clamp
	v_min_i32_e32 v15, 0x100, v3
	v_min_i32_e32 v32, v5, v32
	;; [unrolled: 1-line block ×6, first 2 shown]
	v_cndmask_b32_e64 v41, 0, v54, s[0:1]
	s_mov_b32 s29, 0
	v_mov_b32_e32 v1, 0
	s_mov_b32 s30, 0xffff
	v_add_u32_e32 v16, 0x100, v3
	v_cmp_lt_i32_e32 vcc, v14, v15
	v_add_u32_e32 v27, v17, v5
	v_add_u32_e32 v28, v19, v7
	;; [unrolled: 1-line block ×5, first 2 shown]
	v_cmp_lt_i32_e64 s[0:1], v37, v32
	v_cmp_lt_i32_e64 s[2:3], v38, v33
	;; [unrolled: 1-line block ×5, first 2 shown]
	s_mov_b32 s31, 0x7060405
	s_mov_b32 s33, 0xc0c0001
	;; [unrolled: 1-line block ×3, first 2 shown]
	s_movk_i32 s35, 0xff00
	s_movk_i32 s36, 0xff
	s_mov_b32 s37, 0x3020104
	s_waitcnt vmcnt(7)
	v_lshlrev_b16_e32 v42, 8, v42
	s_waitcnt vmcnt(6)
	v_lshlrev_b16_e32 v43, 8, v43
	;; [unrolled: 2-line block ×3, first 2 shown]
	s_waitcnt vmcnt(4)
	v_or_b32_e32 v42, v45, v42
	s_waitcnt vmcnt(3)
	v_or_b32_sdwa v43, v46, v43 dst_sel:WORD_1 dst_unused:UNUSED_PAD src0_sel:DWORD src1_sel:DWORD
	s_waitcnt vmcnt(2)
	v_or_b32_e32 v44, v47, v44
	v_or_b32_sdwa v43, v42, v43 dst_sel:DWORD dst_unused:UNUSED_PAD src0_sel:WORD_0 src1_sel:DWORD
	s_waitcnt vmcnt(1)
	v_lshlrev_b16_e32 v42, 8, v48
	s_waitcnt vmcnt(0)
	v_or_b32_sdwa v42, v49, v42 dst_sel:WORD_1 dst_unused:UNUSED_PAD src0_sel:DWORD src1_sel:DWORD
	s_mov_b32 s38, 0xffff0000
	v_or_b32_sdwa v42, v44, v42 dst_sel:DWORD dst_unused:UNUSED_PAD src0_sel:WORD_0 src1_sel:DWORD
	s_movk_i32 s39, 0x200
	s_branch .LBB48_2
.LBB48_1:                               ;   in Loop: Header=BB48_2 Depth=1
	s_or_b64 exec, exec, s[24:25]
	v_cndmask_b32_e64 v44, v44, v45, s[12:13]
	v_cndmask_b32_e64 v45, v46, v47, s[14:15]
	v_cmp_ge_i32_e64 s[12:13], v58, v2
	s_waitcnt lgkmcnt(0)
	v_cmp_lt_i16_sdwa s[14:15], sext(v60), sext(v57) src0_sel:BYTE_0 src1_sel:BYTE_0
	v_cndmask_b32_e64 v59, v42, v43, s[10:11]
	v_cndmask_b32_e64 v46, v48, v49, s[16:17]
	v_cmp_gt_i32_e64 s[10:11], s39, v56
	s_or_b64 s[12:13], s[12:13], s[14:15]
	s_and_b64 s[10:11], s[10:11], s[12:13]
	v_lshlrev_b16_e32 v42, 8, v44
	v_lshlrev_b16_e32 v43, 8, v46
	v_cndmask_b32_e64 v47, v50, v51, s[18:19]
	v_cndmask_b32_e64 v48, v52, v53, s[20:21]
	;; [unrolled: 1-line block ×3, first 2 shown]
	v_or_b32_sdwa v42, v59, v42 dst_sel:DWORD dst_unused:UNUSED_PAD src0_sel:BYTE_0 src1_sel:DWORD
	v_or_b32_sdwa v43, v45, v43 dst_sel:WORD_1 dst_unused:UNUSED_PAD src0_sel:BYTE_0 src1_sel:DWORD
	v_cndmask_b32_e64 v49, v54, v55, s[22:23]
	v_or_b32_sdwa v43, v42, v43 dst_sel:DWORD dst_unused:UNUSED_PAD src0_sel:WORD_0 src1_sel:DWORD
	v_lshlrev_b16_e32 v42, 8, v48
	v_lshlrev_b16_e32 v51, 8, v50
	s_add_i32 s29, s29, 1
	v_or_b32_sdwa v42, v47, v42 dst_sel:DWORD dst_unused:UNUSED_PAD src0_sel:BYTE_0 src1_sel:DWORD
	v_or_b32_sdwa v51, v49, v51 dst_sel:WORD_1 dst_unused:UNUSED_PAD src0_sel:BYTE_0 src1_sel:DWORD
	s_cmp_eq_u32 s29, 10
	v_or_b32_sdwa v42, v42, v51 dst_sel:DWORD dst_unused:UNUSED_PAD src0_sel:WORD_0 src1_sel:DWORD
	s_cbranch_scc1 .LBB48_194
.LBB48_2:                               ; =>This Loop Header: Depth=1
                                        ;     Child Loop BB48_4 Depth 2
                                        ;     Child Loop BB48_36 Depth 2
	;; [unrolled: 1-line block ×6, first 2 shown]
	v_lshrrev_b32_e32 v45, 8, v43
	v_perm_b32 v44, v43, v43, s31
	v_cmp_lt_i16_sdwa s[10:11], sext(v45), sext(v43) src0_sel:BYTE_0 src1_sel:BYTE_0
	v_min_i16_sdwa v48, sext(v45), sext(v43) dst_sel:DWORD dst_unused:UNUSED_PAD src0_sel:BYTE_0 src1_sel:BYTE_0
	s_nop 0
	v_cndmask_b32_e64 v44, v43, v44, s[10:11]
	v_lshrrev_b32_e32 v46, 16, v44
	v_perm_b32 v47, 0, v46, s33
	v_max_i16_sdwa v43, sext(v45), sext(v43) dst_sel:DWORD dst_unused:UNUSED_PAD src0_sel:BYTE_0 src1_sel:BYTE_0
	v_lshrrev_b32_e32 v45, 24, v44
	v_lshlrev_b32_e32 v47, 16, v47
	v_and_or_b32 v47, v44, s30, v47
	v_cmp_lt_i16_sdwa s[10:11], sext(v45), sext(v46) src0_sel:BYTE_0 src1_sel:BYTE_0
	v_max_i16_sdwa v49, sext(v45), sext(v46) dst_sel:DWORD dst_unused:UNUSED_PAD src0_sel:BYTE_0 src1_sel:BYTE_0
	v_min_i16_sdwa v45, sext(v45), sext(v46) dst_sel:DWORD dst_unused:UNUSED_PAD src0_sel:BYTE_0 src1_sel:BYTE_0
	v_lshrrev_b32_e32 v46, 8, v42
	v_cndmask_b32_e64 v44, v44, v47, s[10:11]
	v_perm_b32 v47, v42, v42, s31
	v_cmp_lt_i16_sdwa s[10:11], sext(v46), sext(v42) src0_sel:BYTE_0 src1_sel:BYTE_0
	v_max_i16_sdwa v50, sext(v46), sext(v42) dst_sel:DWORD dst_unused:UNUSED_PAD src0_sel:BYTE_0 src1_sel:BYTE_0
	v_and_b32_sdwa v53, v44, s35 dst_sel:DWORD dst_unused:UNUSED_PAD src0_sel:WORD_1 src1_sel:DWORD
	v_cndmask_b32_e64 v47, v42, v47, s[10:11]
	v_min_i16_sdwa v42, sext(v46), sext(v42) dst_sel:DWORD dst_unused:UNUSED_PAD src0_sel:BYTE_0 src1_sel:BYTE_0
	v_lshrrev_b32_e32 v46, 24, v47
	v_lshrrev_b32_e32 v51, 16, v47
	v_perm_b32 v52, v47, v47, s34
	v_cmp_lt_i16_sdwa s[10:11], sext(v46), sext(v51) src0_sel:BYTE_0 src1_sel:BYTE_0
	v_or_b32_sdwa v53, v43, v53 dst_sel:WORD_1 dst_unused:UNUSED_PAD src0_sel:BYTE_0 src1_sel:DWORD
	v_lshlrev_b16_e32 v55, 8, v42
	v_cndmask_b32_e64 v47, v47, v52, s[10:11]
	v_max_i16_sdwa v52, sext(v46), sext(v51) dst_sel:DWORD dst_unused:UNUSED_PAD src0_sel:BYTE_0 src1_sel:BYTE_0
	v_min_i16_sdwa v46, sext(v46), sext(v51) dst_sel:DWORD dst_unused:UNUSED_PAD src0_sel:BYTE_0 src1_sel:BYTE_0
	v_lshlrev_b16_e32 v51, 8, v45
	v_or_b32_sdwa v51, v44, v51 dst_sel:DWORD dst_unused:UNUSED_PAD src0_sel:BYTE_0 src1_sel:DWORD
	v_or_b32_sdwa v51, v51, v53 dst_sel:DWORD dst_unused:UNUSED_PAD src0_sel:WORD_0 src1_sel:DWORD
	v_cmp_lt_i16_e64 s[10:11], v45, v43
	v_perm_b32 v53, v49, v47, s37
	v_max_i16_e32 v54, v45, v43
	v_cndmask_b32_e64 v44, v44, v51, s[10:11]
	v_and_b32_sdwa v51, v44, s36 dst_sel:DWORD dst_unused:UNUSED_PAD src0_sel:WORD_1 src1_sel:DWORD
	v_or_b32_sdwa v51, v51, v55 dst_sel:WORD_1 dst_unused:UNUSED_PAD src0_sel:DWORD src1_sel:DWORD
	v_cmp_lt_i16_e64 s[10:11], v42, v49
	v_and_or_b32 v51, v44, s30, v51
	v_min_i16_e32 v43, v45, v43
	v_cndmask_b32_e64 v47, v47, v53, s[10:11]
	v_cndmask_b32_e64 v44, v44, v51, s[10:11]
	v_and_b32_sdwa v51, v47, s35 dst_sel:DWORD dst_unused:UNUSED_PAD src0_sel:WORD_1 src1_sel:DWORD
	v_max_i16_e32 v53, v42, v49
	v_min_i16_e32 v42, v42, v49
	v_lshlrev_b16_e32 v49, 8, v46
	v_or_b32_sdwa v51, v50, v51 dst_sel:WORD_1 dst_unused:UNUSED_PAD src0_sel:BYTE_0 src1_sel:DWORD
	v_or_b32_sdwa v49, v47, v49 dst_sel:DWORD dst_unused:UNUSED_PAD src0_sel:BYTE_0 src1_sel:DWORD
	v_or_b32_sdwa v49, v49, v51 dst_sel:DWORD dst_unused:UNUSED_PAD src0_sel:WORD_0 src1_sel:DWORD
	v_lshlrev_b16_e32 v51, 8, v48
	v_or_b32_sdwa v51, v43, v51 dst_sel:DWORD dst_unused:UNUSED_PAD src0_sel:BYTE_0 src1_sel:DWORD
	v_cmp_lt_i16_e64 s[10:11], v46, v50
	v_and_b32_e32 v51, 0xffff, v51
	v_and_or_b32 v51, v44, s38, v51
	v_cndmask_b32_e64 v47, v47, v49, s[10:11]
	v_cmp_lt_i16_e64 s[10:11], v45, v48
	v_max_i16_e32 v49, v46, v50
	v_min_i16_e32 v46, v46, v50
	v_cndmask_b32_e64 v45, v48, v43, s[10:11]
	v_cndmask_b32_e64 v43, v43, v48, s[10:11]
	v_lshlrev_b16_e32 v48, 8, v54
	v_cndmask_b32_e64 v44, v44, v51, s[10:11]
	v_or_b32_sdwa v48, v42, v48 dst_sel:WORD_1 dst_unused:UNUSED_PAD src0_sel:BYTE_0 src1_sel:DWORD
	v_cmp_lt_i16_e64 s[10:11], v42, v54
	v_and_or_b32 v48, v44, s30, v48
	v_max_i16_e32 v51, v42, v54
	v_cndmask_b32_e64 v44, v44, v48, s[10:11]
	v_lshlrev_b16_e32 v48, 8, v53
	v_or_b32_sdwa v48, v46, v48 dst_sel:DWORD dst_unused:UNUSED_PAD src0_sel:BYTE_0 src1_sel:DWORD
	v_and_b32_e32 v48, 0xffff, v48
	v_and_or_b32 v48, v47, s38, v48
	v_cmp_lt_i16_e64 s[10:11], v46, v53
	v_min_i16_e32 v42, v42, v54
	v_and_b32_sdwa v54, v44, s35 dst_sel:DWORD dst_unused:UNUSED_PAD src0_sel:WORD_1 src1_sel:DWORD
	v_cndmask_b32_e64 v47, v47, v48, s[10:11]
	v_max_i16_e32 v48, v46, v53
	v_min_i16_e32 v46, v46, v53
	v_lshlrev_b16_e32 v53, 8, v49
	v_cmp_gt_i16_e64 s[10:11], v50, v52
	v_or_b32_sdwa v53, v52, v53 dst_sel:WORD_1 dst_unused:UNUSED_PAD src0_sel:BYTE_0 src1_sel:DWORD
	v_or_b32_sdwa v54, v43, v54 dst_sel:WORD_1 dst_unused:UNUSED_PAD src0_sel:BYTE_0 src1_sel:DWORD
	v_cndmask_b32_e64 v50, v52, v49, s[10:11]
	v_cndmask_b32_e64 v49, v49, v52, s[10:11]
	v_lshlrev_b16_e32 v52, 8, v42
	v_and_or_b32 v53, v47, s30, v53
	v_or_b32_sdwa v52, v44, v52 dst_sel:DWORD dst_unused:UNUSED_PAD src0_sel:BYTE_0 src1_sel:DWORD
	v_cndmask_b32_e64 v47, v47, v53, s[10:11]
	v_or_b32_sdwa v52, v52, v54 dst_sel:DWORD dst_unused:UNUSED_PAD src0_sel:WORD_0 src1_sel:DWORD
	v_cmp_lt_i16_e64 s[10:11], v42, v43
	v_max_i16_e32 v54, v42, v43
	v_min_i16_e32 v42, v42, v43
	v_cndmask_b32_e64 v44, v44, v52, s[10:11]
	v_and_b32_sdwa v52, v44, s36 dst_sel:DWORD dst_unused:UNUSED_PAD src0_sel:WORD_1 src1_sel:DWORD
	v_lshlrev_b16_e32 v43, 8, v46
	v_or_b32_sdwa v43, v52, v43 dst_sel:WORD_1 dst_unused:UNUSED_PAD src0_sel:DWORD src1_sel:DWORD
	v_perm_b32 v53, v51, v47, s37
	v_and_or_b32 v43, v44, s30, v43
	v_cmp_lt_i16_e64 s[10:11], v46, v51
	v_max_i16_e32 v52, v46, v51
	v_min_i16_e32 v46, v46, v51
	v_cndmask_b32_e64 v43, v44, v43, s[10:11]
	v_cndmask_b32_e64 v44, v47, v53, s[10:11]
	v_and_b32_sdwa v47, v44, s35 dst_sel:DWORD dst_unused:UNUSED_PAD src0_sel:WORD_1 src1_sel:DWORD
	v_lshlrev_b16_e32 v51, 8, v49
	v_or_b32_sdwa v47, v48, v47 dst_sel:WORD_1 dst_unused:UNUSED_PAD src0_sel:BYTE_0 src1_sel:DWORD
	v_or_b32_sdwa v51, v44, v51 dst_sel:DWORD dst_unused:UNUSED_PAD src0_sel:BYTE_0 src1_sel:DWORD
	v_or_b32_sdwa v47, v51, v47 dst_sel:DWORD dst_unused:UNUSED_PAD src0_sel:WORD_0 src1_sel:DWORD
	v_lshlrev_b16_e32 v51, 8, v45
	v_or_b32_sdwa v51, v42, v51 dst_sel:DWORD dst_unused:UNUSED_PAD src0_sel:BYTE_0 src1_sel:DWORD
	v_and_b32_e32 v51, 0xffff, v51
	v_cmp_lt_i16_e64 s[10:11], v49, v48
	v_and_or_b32 v51, v43, s38, v51
	; wave barrier
	s_nop 0
	v_cndmask_b32_e64 v44, v44, v47, s[10:11]
	v_max_i16_e32 v47, v49, v48
	v_min_i16_e32 v48, v49, v48
	v_cmp_lt_i16_e64 s[10:11], v42, v45
	v_min_i16_e32 v49, v42, v45
	v_max_i16_e32 v42, v42, v45
	v_lshlrev_b16_e32 v45, 8, v54
	v_cndmask_b32_e64 v43, v43, v51, s[10:11]
	v_or_b32_sdwa v45, v46, v45 dst_sel:WORD_1 dst_unused:UNUSED_PAD src0_sel:BYTE_0 src1_sel:DWORD
	v_cmp_lt_i16_e64 s[10:11], v46, v54
	v_and_or_b32 v45, v43, s30, v45
	v_max_i16_e32 v51, v46, v54
	v_cndmask_b32_e64 v43, v43, v45, s[10:11]
	v_lshlrev_b16_e32 v45, 8, v52
	v_or_b32_sdwa v45, v48, v45 dst_sel:DWORD dst_unused:UNUSED_PAD src0_sel:BYTE_0 src1_sel:DWORD
	v_and_b32_e32 v45, 0xffff, v45
	v_and_or_b32 v45, v44, s38, v45
	v_cmp_lt_i16_e64 s[10:11], v48, v52
	v_min_i16_e32 v46, v46, v54
	v_and_b32_sdwa v53, v43, s35 dst_sel:DWORD dst_unused:UNUSED_PAD src0_sel:WORD_1 src1_sel:DWORD
	v_cndmask_b32_e64 v44, v44, v45, s[10:11]
	v_max_i16_e32 v45, v48, v52
	v_min_i16_e32 v48, v48, v52
	v_lshlrev_b16_e32 v52, 8, v47
	v_or_b32_sdwa v52, v50, v52 dst_sel:WORD_1 dst_unused:UNUSED_PAD src0_sel:BYTE_0 src1_sel:DWORD
	v_cmp_lt_i16_e64 s[10:11], v50, v47
	v_and_or_b32 v52, v44, s30, v52
	v_or_b32_sdwa v53, v42, v53 dst_sel:WORD_1 dst_unused:UNUSED_PAD src0_sel:BYTE_0 src1_sel:DWORD
	v_cndmask_b32_e64 v44, v44, v52, s[10:11]
	v_max_i16_e32 v52, v50, v47
	v_min_i16_e32 v47, v50, v47
	v_lshlrev_b16_e32 v50, 8, v46
	v_or_b32_sdwa v50, v43, v50 dst_sel:DWORD dst_unused:UNUSED_PAD src0_sel:BYTE_0 src1_sel:DWORD
	v_or_b32_sdwa v50, v50, v53 dst_sel:DWORD dst_unused:UNUSED_PAD src0_sel:WORD_0 src1_sel:DWORD
	v_cmp_lt_i16_e64 s[10:11], v46, v42
	v_lshlrev_b16_e32 v55, 8, v48
	v_perm_b32 v53, v51, v44, s37
	v_cndmask_b32_e64 v43, v43, v50, s[10:11]
	v_and_b32_sdwa v50, v43, s36 dst_sel:DWORD dst_unused:UNUSED_PAD src0_sel:WORD_1 src1_sel:DWORD
	v_or_b32_sdwa v50, v50, v55 dst_sel:WORD_1 dst_unused:UNUSED_PAD src0_sel:DWORD src1_sel:DWORD
	v_cmp_lt_i16_e64 s[10:11], v48, v51
	v_and_or_b32 v50, v43, s30, v50
	v_max_i16_e32 v54, v46, v42
	v_cndmask_b32_e64 v44, v44, v53, s[10:11]
	v_cndmask_b32_e64 v43, v43, v50, s[10:11]
	v_and_b32_sdwa v50, v44, s35 dst_sel:DWORD dst_unused:UNUSED_PAD src0_sel:WORD_1 src1_sel:DWORD
	v_max_i16_e32 v53, v48, v51
	v_min_i16_e32 v48, v48, v51
	v_lshlrev_b16_e32 v51, 8, v47
	v_or_b32_sdwa v50, v45, v50 dst_sel:WORD_1 dst_unused:UNUSED_PAD src0_sel:BYTE_0 src1_sel:DWORD
	v_or_b32_sdwa v51, v44, v51 dst_sel:DWORD dst_unused:UNUSED_PAD src0_sel:BYTE_0 src1_sel:DWORD
	v_min_i16_e32 v42, v46, v42
	v_or_b32_sdwa v50, v51, v50 dst_sel:DWORD dst_unused:UNUSED_PAD src0_sel:WORD_0 src1_sel:DWORD
	v_lshlrev_b16_e32 v51, 8, v49
	v_or_b32_sdwa v51, v42, v51 dst_sel:DWORD dst_unused:UNUSED_PAD src0_sel:BYTE_0 src1_sel:DWORD
	v_and_b32_e32 v51, 0xffff, v51
	v_cmp_lt_i16_e64 s[10:11], v47, v45
	v_and_or_b32 v51, v43, s38, v51
	s_nop 0
	v_cndmask_b32_e64 v44, v44, v50, s[10:11]
	v_cmp_lt_i16_e64 s[10:11], v46, v49
	v_lshlrev_b16_e32 v46, 8, v54
	v_or_b32_sdwa v46, v48, v46 dst_sel:WORD_1 dst_unused:UNUSED_PAD src0_sel:BYTE_0 src1_sel:DWORD
	v_cndmask_b32_e64 v43, v43, v51, s[10:11]
	v_cndmask_b32_e64 v42, v42, v49, s[10:11]
	v_and_or_b32 v46, v43, s30, v46
	v_cmp_lt_i16_e64 s[10:11], v48, v54
	v_max_i16_e32 v50, v47, v45
	v_min_i16_e32 v47, v47, v45
	v_cndmask_b32_e64 v43, v43, v46, s[10:11]
	v_lshlrev_b16_e32 v46, 8, v53
	v_or_b32_sdwa v46, v47, v46 dst_sel:DWORD dst_unused:UNUSED_PAD src0_sel:BYTE_0 src1_sel:DWORD
	v_and_b32_e32 v46, 0xffff, v46
	v_and_or_b32 v46, v44, s38, v46
	v_cmp_lt_i16_e64 s[10:11], v47, v53
	v_max_i16_e32 v49, v48, v54
	v_min_i16_e32 v48, v48, v54
	v_cndmask_b32_e64 v44, v44, v46, s[10:11]
	v_lshlrev_b16_e32 v51, 8, v50
	v_cmp_gt_i16_e64 s[10:11], v45, v52
	v_max_i16_e32 v46, v47, v53
	v_min_i16_e32 v47, v47, v53
	v_or_b32_sdwa v51, v52, v51 dst_sel:WORD_1 dst_unused:UNUSED_PAD src0_sel:BYTE_0 src1_sel:DWORD
	v_and_b32_sdwa v53, v43, s35 dst_sel:DWORD dst_unused:UNUSED_PAD src0_sel:WORD_1 src1_sel:DWORD
	v_cndmask_b32_e64 v45, v50, v52, s[10:11]
	v_lshlrev_b16_e32 v50, 8, v48
	v_and_or_b32 v51, v44, s30, v51
	v_or_b32_sdwa v53, v42, v53 dst_sel:WORD_1 dst_unused:UNUSED_PAD src0_sel:BYTE_0 src1_sel:DWORD
	v_or_b32_sdwa v50, v43, v50 dst_sel:DWORD dst_unused:UNUSED_PAD src0_sel:BYTE_0 src1_sel:DWORD
	v_cndmask_b32_e64 v44, v44, v51, s[10:11]
	v_or_b32_sdwa v50, v50, v53 dst_sel:DWORD dst_unused:UNUSED_PAD src0_sel:WORD_0 src1_sel:DWORD
	v_cmp_lt_i16_e64 s[10:11], v48, v42
	v_perm_b32 v48, v49, v44, s37
	s_nop 0
	v_cndmask_b32_e64 v42, v43, v50, s[10:11]
	v_and_b32_sdwa v43, v42, s36 dst_sel:DWORD dst_unused:UNUSED_PAD src0_sel:WORD_1 src1_sel:DWORD
	v_lshlrev_b16_e32 v50, 8, v47
	v_or_b32_sdwa v43, v43, v50 dst_sel:WORD_1 dst_unused:UNUSED_PAD src0_sel:DWORD src1_sel:DWORD
	v_cmp_lt_i16_e64 s[10:11], v47, v49
	v_and_or_b32 v43, v42, s30, v43
	v_lshlrev_b16_e32 v47, 8, v45
	v_cndmask_b32_e64 v42, v42, v43, s[10:11]
	v_cndmask_b32_e64 v43, v44, v48, s[10:11]
	v_and_b32_sdwa v44, v43, s35 dst_sel:DWORD dst_unused:UNUSED_PAD src0_sel:WORD_1 src1_sel:DWORD
	v_or_b32_sdwa v44, v46, v44 dst_sel:WORD_1 dst_unused:UNUSED_PAD src0_sel:BYTE_0 src1_sel:DWORD
	v_or_b32_sdwa v47, v43, v47 dst_sel:DWORD dst_unused:UNUSED_PAD src0_sel:BYTE_0 src1_sel:DWORD
	v_or_b32_sdwa v44, v47, v44 dst_sel:DWORD dst_unused:UNUSED_PAD src0_sel:WORD_0 src1_sel:DWORD
	v_cmp_lt_i16_e64 s[10:11], v45, v46
	s_nop 1
	v_cndmask_b32_e64 v43, v43, v44, s[10:11]
	ds_write_b64 v3, v[42:43]
	v_mov_b32_e32 v42, v37
	s_waitcnt lgkmcnt(0)
	; wave barrier
	s_waitcnt lgkmcnt(0)
	s_and_saveexec_b64 s[12:13], s[0:1]
	s_cbranch_execz .LBB48_6
; %bb.3:                                ;   in Loop: Header=BB48_2 Depth=1
	s_mov_b64 s[14:15], 0
	v_mov_b32_e32 v42, v37
	v_mov_b32_e32 v43, v32
.LBB48_4:                               ;   Parent Loop BB48_2 Depth=1
                                        ; =>  This Inner Loop Header: Depth=2
	v_sub_u32_e32 v44, v43, v42
	v_lshrrev_b32_e32 v45, 31, v44
	v_add_u32_e32 v44, v44, v45
	v_ashrrev_i32_e32 v44, 1, v44
	v_add_u32_e32 v44, v44, v42
	v_not_b32_e32 v46, v44
	v_add_u32_e32 v45, v4, v44
	v_add3_u32 v46, v5, v46, v17
	ds_read_i8 v45, v45
	ds_read_i8 v46, v46
	v_add_u32_e32 v47, 1, v44
	s_waitcnt lgkmcnt(0)
	v_cmp_lt_i16_e64 s[10:11], v46, v45
	s_nop 1
	v_cndmask_b32_e64 v43, v43, v44, s[10:11]
	v_cndmask_b32_e64 v42, v47, v42, s[10:11]
	v_cmp_ge_i32_e64 s[10:11], v42, v43
	s_or_b64 s[14:15], s[10:11], s[14:15]
	s_andn2_b64 exec, exec, s[14:15]
	s_cbranch_execnz .LBB48_4
; %bb.5:                                ;   in Loop: Header=BB48_2 Depth=1
	s_or_b64 exec, exec, s[14:15]
.LBB48_6:                               ;   in Loop: Header=BB48_2 Depth=1
	s_or_b64 exec, exec, s[12:13]
	v_add_u32_e32 v46, v42, v4
	v_sub_u32_e32 v47, v27, v42
	ds_read_u8 v42, v46
	ds_read_u8 v43, v47
	v_cmp_le_i32_e64 s[12:13], v17, v46
	v_cmp_gt_i32_e64 s[10:11], v18, v47
                                        ; implicit-def: $vgpr44
	s_waitcnt lgkmcnt(1)
	v_bfe_i32 v42, v42, 0, 8
	s_waitcnt lgkmcnt(0)
	v_bfe_i32 v43, v43, 0, 8
	v_cmp_lt_i16_e64 s[14:15], v43, v42
	s_or_b64 s[12:13], s[12:13], s[14:15]
	s_and_b64 s[10:11], s[10:11], s[12:13]
	s_xor_b64 s[12:13], s[10:11], -1
	s_and_saveexec_b64 s[14:15], s[12:13]
	s_xor_b64 s[12:13], exec, s[14:15]
	s_cbranch_execz .LBB48_8
; %bb.7:                                ;   in Loop: Header=BB48_2 Depth=1
	ds_read_u8 v44, v46 offset:1
.LBB48_8:                               ;   in Loop: Header=BB48_2 Depth=1
	s_or_saveexec_b64 s[12:13], s[12:13]
	v_mov_b32_e32 v45, v43
	s_xor_b64 exec, exec, s[12:13]
	s_cbranch_execz .LBB48_10
; %bb.9:                                ;   in Loop: Header=BB48_2 Depth=1
	ds_read_u8 v45, v47 offset:1
	s_waitcnt lgkmcnt(1)
	v_mov_b32_e32 v44, v42
.LBB48_10:                              ;   in Loop: Header=BB48_2 Depth=1
	s_or_b64 exec, exec, s[12:13]
	v_add_u32_e32 v49, 1, v46
	v_add_u32_e32 v48, 1, v47
	v_cndmask_b32_e64 v49, v49, v46, s[10:11]
	v_cndmask_b32_e64 v48, v47, v48, s[10:11]
	v_cmp_ge_i32_e64 s[14:15], v49, v17
	s_waitcnt lgkmcnt(0)
	v_cmp_lt_i16_sdwa s[16:17], sext(v45), sext(v44) src0_sel:BYTE_0 src1_sel:BYTE_0
	v_cmp_lt_i32_e64 s[12:13], v48, v18
	s_or_b64 s[14:15], s[14:15], s[16:17]
	s_and_b64 s[12:13], s[12:13], s[14:15]
	s_xor_b64 s[14:15], s[12:13], -1
                                        ; implicit-def: $vgpr46
	s_and_saveexec_b64 s[16:17], s[14:15]
	s_xor_b64 s[14:15], exec, s[16:17]
	s_cbranch_execz .LBB48_12
; %bb.11:                               ;   in Loop: Header=BB48_2 Depth=1
	ds_read_u8 v46, v49 offset:1
.LBB48_12:                              ;   in Loop: Header=BB48_2 Depth=1
	s_or_saveexec_b64 s[14:15], s[14:15]
	v_mov_b32_e32 v47, v45
	s_xor_b64 exec, exec, s[14:15]
	s_cbranch_execz .LBB48_14
; %bb.13:                               ;   in Loop: Header=BB48_2 Depth=1
	ds_read_u8 v47, v48 offset:1
	s_waitcnt lgkmcnt(1)
	v_mov_b32_e32 v46, v44
.LBB48_14:                              ;   in Loop: Header=BB48_2 Depth=1
	s_or_b64 exec, exec, s[14:15]
	v_add_u32_e32 v51, 1, v49
	v_add_u32_e32 v50, 1, v48
	v_cndmask_b32_e64 v51, v51, v49, s[12:13]
	v_cndmask_b32_e64 v50, v48, v50, s[12:13]
	v_cmp_ge_i32_e64 s[16:17], v51, v17
	s_waitcnt lgkmcnt(0)
	v_cmp_lt_i16_sdwa s[18:19], sext(v47), sext(v46) src0_sel:BYTE_0 src1_sel:BYTE_0
	v_cmp_lt_i32_e64 s[14:15], v50, v18
	s_or_b64 s[16:17], s[16:17], s[18:19]
	s_and_b64 s[14:15], s[14:15], s[16:17]
	s_xor_b64 s[16:17], s[14:15], -1
                                        ; implicit-def: $vgpr48
	s_and_saveexec_b64 s[18:19], s[16:17]
	s_xor_b64 s[16:17], exec, s[18:19]
	s_cbranch_execz .LBB48_16
; %bb.15:                               ;   in Loop: Header=BB48_2 Depth=1
	ds_read_u8 v48, v51 offset:1
.LBB48_16:                              ;   in Loop: Header=BB48_2 Depth=1
	s_or_saveexec_b64 s[16:17], s[16:17]
	v_mov_b32_e32 v49, v47
	s_xor_b64 exec, exec, s[16:17]
	s_cbranch_execz .LBB48_18
; %bb.17:                               ;   in Loop: Header=BB48_2 Depth=1
	ds_read_u8 v49, v50 offset:1
	s_waitcnt lgkmcnt(1)
	v_mov_b32_e32 v48, v46
.LBB48_18:                              ;   in Loop: Header=BB48_2 Depth=1
	s_or_b64 exec, exec, s[16:17]
	v_add_u32_e32 v53, 1, v51
	v_add_u32_e32 v52, 1, v50
	v_cndmask_b32_e64 v53, v53, v51, s[14:15]
	v_cndmask_b32_e64 v52, v50, v52, s[14:15]
	v_cmp_ge_i32_e64 s[18:19], v53, v17
	s_waitcnt lgkmcnt(0)
	v_cmp_lt_i16_sdwa s[20:21], sext(v49), sext(v48) src0_sel:BYTE_0 src1_sel:BYTE_0
	v_cmp_lt_i32_e64 s[16:17], v52, v18
	s_or_b64 s[18:19], s[18:19], s[20:21]
	s_and_b64 s[16:17], s[16:17], s[18:19]
	s_xor_b64 s[18:19], s[16:17], -1
                                        ; implicit-def: $vgpr50
	s_and_saveexec_b64 s[20:21], s[18:19]
	s_xor_b64 s[18:19], exec, s[20:21]
	s_cbranch_execz .LBB48_20
; %bb.19:                               ;   in Loop: Header=BB48_2 Depth=1
	ds_read_u8 v50, v53 offset:1
.LBB48_20:                              ;   in Loop: Header=BB48_2 Depth=1
	s_or_saveexec_b64 s[18:19], s[18:19]
	v_mov_b32_e32 v51, v49
	s_xor_b64 exec, exec, s[18:19]
	s_cbranch_execz .LBB48_22
; %bb.21:                               ;   in Loop: Header=BB48_2 Depth=1
	ds_read_u8 v51, v52 offset:1
	s_waitcnt lgkmcnt(1)
	v_mov_b32_e32 v50, v48
.LBB48_22:                              ;   in Loop: Header=BB48_2 Depth=1
	s_or_b64 exec, exec, s[18:19]
	v_add_u32_e32 v55, 1, v53
	v_add_u32_e32 v54, 1, v52
	v_cndmask_b32_e64 v55, v55, v53, s[16:17]
	v_cndmask_b32_e64 v54, v52, v54, s[16:17]
	v_cmp_ge_i32_e64 s[20:21], v55, v17
	s_waitcnt lgkmcnt(0)
	v_cmp_lt_i16_sdwa s[22:23], sext(v51), sext(v50) src0_sel:BYTE_0 src1_sel:BYTE_0
	v_cmp_lt_i32_e64 s[18:19], v54, v18
	s_or_b64 s[20:21], s[20:21], s[22:23]
	s_and_b64 s[18:19], s[18:19], s[20:21]
	s_xor_b64 s[20:21], s[18:19], -1
                                        ; implicit-def: $vgpr52
	s_and_saveexec_b64 s[22:23], s[20:21]
	s_xor_b64 s[20:21], exec, s[22:23]
	s_cbranch_execz .LBB48_24
; %bb.23:                               ;   in Loop: Header=BB48_2 Depth=1
	ds_read_u8 v52, v55 offset:1
.LBB48_24:                              ;   in Loop: Header=BB48_2 Depth=1
	s_or_saveexec_b64 s[20:21], s[20:21]
	v_mov_b32_e32 v53, v51
	s_xor_b64 exec, exec, s[20:21]
	s_cbranch_execz .LBB48_26
; %bb.25:                               ;   in Loop: Header=BB48_2 Depth=1
	ds_read_u8 v53, v54 offset:1
	s_waitcnt lgkmcnt(1)
	v_mov_b32_e32 v52, v50
.LBB48_26:                              ;   in Loop: Header=BB48_2 Depth=1
	s_or_b64 exec, exec, s[20:21]
	v_add_u32_e32 v57, 1, v55
	v_add_u32_e32 v56, 1, v54
	v_cndmask_b32_e64 v58, v57, v55, s[18:19]
	v_cndmask_b32_e64 v56, v54, v56, s[18:19]
	v_cmp_ge_i32_e64 s[22:23], v58, v17
	s_waitcnt lgkmcnt(0)
	v_cmp_lt_i16_sdwa s[24:25], sext(v53), sext(v52) src0_sel:BYTE_0 src1_sel:BYTE_0
	v_cmp_lt_i32_e64 s[20:21], v56, v18
	s_or_b64 s[22:23], s[22:23], s[24:25]
	s_and_b64 s[20:21], s[20:21], s[22:23]
	s_xor_b64 s[22:23], s[20:21], -1
                                        ; implicit-def: $vgpr54
	s_and_saveexec_b64 s[24:25], s[22:23]
	s_xor_b64 s[22:23], exec, s[24:25]
	s_cbranch_execz .LBB48_28
; %bb.27:                               ;   in Loop: Header=BB48_2 Depth=1
	ds_read_u8 v54, v58 offset:1
.LBB48_28:                              ;   in Loop: Header=BB48_2 Depth=1
	s_or_saveexec_b64 s[22:23], s[22:23]
	v_mov_b32_e32 v55, v53
	s_xor_b64 exec, exec, s[22:23]
	s_cbranch_execz .LBB48_30
; %bb.29:                               ;   in Loop: Header=BB48_2 Depth=1
	ds_read_u8 v55, v56 offset:1
	s_waitcnt lgkmcnt(1)
	v_mov_b32_e32 v54, v52
.LBB48_30:                              ;   in Loop: Header=BB48_2 Depth=1
	s_or_b64 exec, exec, s[22:23]
	v_add_u32_e32 v59, 1, v58
	v_add_u32_e32 v57, 1, v56
	v_cndmask_b32_e64 v58, v59, v58, s[20:21]
	v_cndmask_b32_e64 v57, v56, v57, s[20:21]
	v_cmp_ge_i32_e64 s[24:25], v58, v17
	s_waitcnt lgkmcnt(0)
	v_cmp_lt_i16_sdwa s[40:41], sext(v55), sext(v54) src0_sel:BYTE_0 src1_sel:BYTE_0
	v_cmp_lt_i32_e64 s[22:23], v57, v18
	s_or_b64 s[24:25], s[24:25], s[40:41]
	s_and_b64 s[22:23], s[22:23], s[24:25]
	s_xor_b64 s[24:25], s[22:23], -1
                                        ; implicit-def: $vgpr56
	s_and_saveexec_b64 s[40:41], s[24:25]
	s_xor_b64 s[24:25], exec, s[40:41]
	s_cbranch_execz .LBB48_32
; %bb.31:                               ;   in Loop: Header=BB48_2 Depth=1
	ds_read_u8 v56, v58 offset:1
.LBB48_32:                              ;   in Loop: Header=BB48_2 Depth=1
	s_or_saveexec_b64 s[24:25], s[24:25]
	v_mov_b32_e32 v59, v55
	s_xor_b64 exec, exec, s[24:25]
	s_cbranch_execz .LBB48_34
; %bb.33:                               ;   in Loop: Header=BB48_2 Depth=1
	ds_read_u8 v59, v57 offset:1
	s_waitcnt lgkmcnt(1)
	v_mov_b32_e32 v56, v54
.LBB48_34:                              ;   in Loop: Header=BB48_2 Depth=1
	s_or_b64 exec, exec, s[24:25]
	v_cndmask_b32_e64 v54, v54, v55, s[22:23]
	v_add_u32_e32 v55, 1, v57
	v_add_u32_e32 v60, 1, v58
	v_cndmask_b32_e64 v55, v57, v55, s[22:23]
	v_cndmask_b32_e64 v57, v60, v58, s[22:23]
	;; [unrolled: 1-line block ×4, first 2 shown]
	v_cmp_ge_i32_e64 s[12:13], v57, v17
	s_waitcnt lgkmcnt(0)
	v_cmp_lt_i16_sdwa s[14:15], sext(v59), sext(v56) src0_sel:BYTE_0 src1_sel:BYTE_0
	v_cndmask_b32_e64 v48, v48, v49, s[16:17]
	v_cndmask_b32_e64 v42, v42, v43, s[10:11]
	v_cmp_lt_i32_e64 s[10:11], v55, v18
	s_or_b64 s[12:13], s[12:13], s[14:15]
	v_lshlrev_b16_e32 v44, 8, v44
	s_and_b64 s[10:11], s[10:11], s[12:13]
	v_or_b32_sdwa v42, v42, v44 dst_sel:DWORD dst_unused:UNUSED_PAD src0_sel:BYTE_0 src1_sel:DWORD
	v_lshlrev_b16_e32 v44, 8, v48
	v_cndmask_b32_e64 v52, v52, v53, s[20:21]
	v_cndmask_b32_e64 v43, v56, v59, s[10:11]
	v_or_b32_sdwa v44, v46, v44 dst_sel:WORD_1 dst_unused:UNUSED_PAD src0_sel:BYTE_0 src1_sel:DWORD
	v_cndmask_b32_e64 v50, v50, v51, s[18:19]
	v_or_b32_sdwa v42, v42, v44 dst_sel:DWORD dst_unused:UNUSED_PAD src0_sel:WORD_0 src1_sel:DWORD
	v_lshlrev_b16_e32 v44, 8, v52
	v_lshlrev_b16_e32 v43, 8, v43
	v_or_b32_sdwa v44, v50, v44 dst_sel:DWORD dst_unused:UNUSED_PAD src0_sel:BYTE_0 src1_sel:DWORD
	v_or_b32_sdwa v43, v54, v43 dst_sel:WORD_1 dst_unused:UNUSED_PAD src0_sel:BYTE_0 src1_sel:DWORD
	s_nop 0
	v_or_b32_sdwa v43, v44, v43 dst_sel:DWORD dst_unused:UNUSED_PAD src0_sel:WORD_0 src1_sel:DWORD
	; wave barrier
	ds_write_b64 v3, v[42:43]
	v_mov_b32_e32 v42, v38
	s_waitcnt lgkmcnt(0)
	; wave barrier
	s_waitcnt lgkmcnt(0)
	s_and_saveexec_b64 s[12:13], s[2:3]
	s_cbranch_execz .LBB48_38
; %bb.35:                               ;   in Loop: Header=BB48_2 Depth=1
	s_mov_b64 s[14:15], 0
	v_mov_b32_e32 v42, v38
	v_mov_b32_e32 v43, v33
.LBB48_36:                              ;   Parent Loop BB48_2 Depth=1
                                        ; =>  This Inner Loop Header: Depth=2
	v_sub_u32_e32 v44, v43, v42
	v_lshrrev_b32_e32 v45, 31, v44
	v_add_u32_e32 v44, v44, v45
	v_ashrrev_i32_e32 v44, 1, v44
	v_add_u32_e32 v44, v44, v42
	v_not_b32_e32 v46, v44
	v_add_u32_e32 v45, v6, v44
	v_add3_u32 v46, v7, v46, v19
	ds_read_i8 v45, v45
	ds_read_i8 v46, v46
	v_add_u32_e32 v47, 1, v44
	s_waitcnt lgkmcnt(0)
	v_cmp_lt_i16_e64 s[10:11], v46, v45
	s_nop 1
	v_cndmask_b32_e64 v43, v43, v44, s[10:11]
	v_cndmask_b32_e64 v42, v47, v42, s[10:11]
	v_cmp_ge_i32_e64 s[10:11], v42, v43
	s_or_b64 s[14:15], s[10:11], s[14:15]
	s_andn2_b64 exec, exec, s[14:15]
	s_cbranch_execnz .LBB48_36
; %bb.37:                               ;   in Loop: Header=BB48_2 Depth=1
	s_or_b64 exec, exec, s[14:15]
.LBB48_38:                              ;   in Loop: Header=BB48_2 Depth=1
	s_or_b64 exec, exec, s[12:13]
	v_add_u32_e32 v46, v42, v6
	v_sub_u32_e32 v47, v28, v42
	ds_read_u8 v42, v46
	ds_read_u8 v43, v47
	v_cmp_le_i32_e64 s[12:13], v19, v46
	v_cmp_gt_i32_e64 s[10:11], v20, v47
                                        ; implicit-def: $vgpr44
	s_waitcnt lgkmcnt(1)
	v_bfe_i32 v42, v42, 0, 8
	s_waitcnt lgkmcnt(0)
	v_bfe_i32 v43, v43, 0, 8
	v_cmp_lt_i16_e64 s[14:15], v43, v42
	s_or_b64 s[12:13], s[12:13], s[14:15]
	s_and_b64 s[10:11], s[10:11], s[12:13]
	s_xor_b64 s[12:13], s[10:11], -1
	s_and_saveexec_b64 s[14:15], s[12:13]
	s_xor_b64 s[12:13], exec, s[14:15]
	s_cbranch_execz .LBB48_40
; %bb.39:                               ;   in Loop: Header=BB48_2 Depth=1
	ds_read_u8 v44, v46 offset:1
.LBB48_40:                              ;   in Loop: Header=BB48_2 Depth=1
	s_or_saveexec_b64 s[12:13], s[12:13]
	v_mov_b32_e32 v45, v43
	s_xor_b64 exec, exec, s[12:13]
	s_cbranch_execz .LBB48_42
; %bb.41:                               ;   in Loop: Header=BB48_2 Depth=1
	ds_read_u8 v45, v47 offset:1
	s_waitcnt lgkmcnt(1)
	v_mov_b32_e32 v44, v42
.LBB48_42:                              ;   in Loop: Header=BB48_2 Depth=1
	s_or_b64 exec, exec, s[12:13]
	v_add_u32_e32 v49, 1, v46
	v_add_u32_e32 v48, 1, v47
	v_cndmask_b32_e64 v49, v49, v46, s[10:11]
	v_cndmask_b32_e64 v48, v47, v48, s[10:11]
	v_cmp_ge_i32_e64 s[14:15], v49, v19
	s_waitcnt lgkmcnt(0)
	v_cmp_lt_i16_sdwa s[16:17], sext(v45), sext(v44) src0_sel:BYTE_0 src1_sel:BYTE_0
	v_cmp_lt_i32_e64 s[12:13], v48, v20
	s_or_b64 s[14:15], s[14:15], s[16:17]
	s_and_b64 s[12:13], s[12:13], s[14:15]
	s_xor_b64 s[14:15], s[12:13], -1
                                        ; implicit-def: $vgpr46
	s_and_saveexec_b64 s[16:17], s[14:15]
	s_xor_b64 s[14:15], exec, s[16:17]
	s_cbranch_execz .LBB48_44
; %bb.43:                               ;   in Loop: Header=BB48_2 Depth=1
	ds_read_u8 v46, v49 offset:1
.LBB48_44:                              ;   in Loop: Header=BB48_2 Depth=1
	s_or_saveexec_b64 s[14:15], s[14:15]
	v_mov_b32_e32 v47, v45
	s_xor_b64 exec, exec, s[14:15]
	s_cbranch_execz .LBB48_46
; %bb.45:                               ;   in Loop: Header=BB48_2 Depth=1
	ds_read_u8 v47, v48 offset:1
	s_waitcnt lgkmcnt(1)
	v_mov_b32_e32 v46, v44
.LBB48_46:                              ;   in Loop: Header=BB48_2 Depth=1
	s_or_b64 exec, exec, s[14:15]
	v_add_u32_e32 v51, 1, v49
	v_add_u32_e32 v50, 1, v48
	v_cndmask_b32_e64 v51, v51, v49, s[12:13]
	v_cndmask_b32_e64 v50, v48, v50, s[12:13]
	v_cmp_ge_i32_e64 s[16:17], v51, v19
	s_waitcnt lgkmcnt(0)
	v_cmp_lt_i16_sdwa s[18:19], sext(v47), sext(v46) src0_sel:BYTE_0 src1_sel:BYTE_0
	v_cmp_lt_i32_e64 s[14:15], v50, v20
	s_or_b64 s[16:17], s[16:17], s[18:19]
	s_and_b64 s[14:15], s[14:15], s[16:17]
	s_xor_b64 s[16:17], s[14:15], -1
                                        ; implicit-def: $vgpr48
	s_and_saveexec_b64 s[18:19], s[16:17]
	s_xor_b64 s[16:17], exec, s[18:19]
	s_cbranch_execz .LBB48_48
; %bb.47:                               ;   in Loop: Header=BB48_2 Depth=1
	ds_read_u8 v48, v51 offset:1
.LBB48_48:                              ;   in Loop: Header=BB48_2 Depth=1
	s_or_saveexec_b64 s[16:17], s[16:17]
	v_mov_b32_e32 v49, v47
	s_xor_b64 exec, exec, s[16:17]
	s_cbranch_execz .LBB48_50
; %bb.49:                               ;   in Loop: Header=BB48_2 Depth=1
	ds_read_u8 v49, v50 offset:1
	s_waitcnt lgkmcnt(1)
	v_mov_b32_e32 v48, v46
.LBB48_50:                              ;   in Loop: Header=BB48_2 Depth=1
	s_or_b64 exec, exec, s[16:17]
	v_add_u32_e32 v53, 1, v51
	v_add_u32_e32 v52, 1, v50
	v_cndmask_b32_e64 v53, v53, v51, s[14:15]
	v_cndmask_b32_e64 v52, v50, v52, s[14:15]
	v_cmp_ge_i32_e64 s[18:19], v53, v19
	s_waitcnt lgkmcnt(0)
	v_cmp_lt_i16_sdwa s[20:21], sext(v49), sext(v48) src0_sel:BYTE_0 src1_sel:BYTE_0
	v_cmp_lt_i32_e64 s[16:17], v52, v20
	s_or_b64 s[18:19], s[18:19], s[20:21]
	s_and_b64 s[16:17], s[16:17], s[18:19]
	s_xor_b64 s[18:19], s[16:17], -1
                                        ; implicit-def: $vgpr50
	s_and_saveexec_b64 s[20:21], s[18:19]
	s_xor_b64 s[18:19], exec, s[20:21]
	s_cbranch_execz .LBB48_52
; %bb.51:                               ;   in Loop: Header=BB48_2 Depth=1
	ds_read_u8 v50, v53 offset:1
.LBB48_52:                              ;   in Loop: Header=BB48_2 Depth=1
	s_or_saveexec_b64 s[18:19], s[18:19]
	v_mov_b32_e32 v51, v49
	s_xor_b64 exec, exec, s[18:19]
	s_cbranch_execz .LBB48_54
; %bb.53:                               ;   in Loop: Header=BB48_2 Depth=1
	ds_read_u8 v51, v52 offset:1
	s_waitcnt lgkmcnt(1)
	v_mov_b32_e32 v50, v48
.LBB48_54:                              ;   in Loop: Header=BB48_2 Depth=1
	s_or_b64 exec, exec, s[18:19]
	v_add_u32_e32 v55, 1, v53
	v_add_u32_e32 v54, 1, v52
	v_cndmask_b32_e64 v55, v55, v53, s[16:17]
	v_cndmask_b32_e64 v54, v52, v54, s[16:17]
	v_cmp_ge_i32_e64 s[20:21], v55, v19
	s_waitcnt lgkmcnt(0)
	v_cmp_lt_i16_sdwa s[22:23], sext(v51), sext(v50) src0_sel:BYTE_0 src1_sel:BYTE_0
	v_cmp_lt_i32_e64 s[18:19], v54, v20
	s_or_b64 s[20:21], s[20:21], s[22:23]
	s_and_b64 s[18:19], s[18:19], s[20:21]
	s_xor_b64 s[20:21], s[18:19], -1
                                        ; implicit-def: $vgpr52
	s_and_saveexec_b64 s[22:23], s[20:21]
	s_xor_b64 s[20:21], exec, s[22:23]
	s_cbranch_execz .LBB48_56
; %bb.55:                               ;   in Loop: Header=BB48_2 Depth=1
	ds_read_u8 v52, v55 offset:1
.LBB48_56:                              ;   in Loop: Header=BB48_2 Depth=1
	s_or_saveexec_b64 s[20:21], s[20:21]
	v_mov_b32_e32 v53, v51
	s_xor_b64 exec, exec, s[20:21]
	s_cbranch_execz .LBB48_58
; %bb.57:                               ;   in Loop: Header=BB48_2 Depth=1
	ds_read_u8 v53, v54 offset:1
	s_waitcnt lgkmcnt(1)
	v_mov_b32_e32 v52, v50
.LBB48_58:                              ;   in Loop: Header=BB48_2 Depth=1
	s_or_b64 exec, exec, s[20:21]
	v_add_u32_e32 v57, 1, v55
	v_add_u32_e32 v56, 1, v54
	v_cndmask_b32_e64 v58, v57, v55, s[18:19]
	v_cndmask_b32_e64 v56, v54, v56, s[18:19]
	v_cmp_ge_i32_e64 s[22:23], v58, v19
	s_waitcnt lgkmcnt(0)
	v_cmp_lt_i16_sdwa s[24:25], sext(v53), sext(v52) src0_sel:BYTE_0 src1_sel:BYTE_0
	v_cmp_lt_i32_e64 s[20:21], v56, v20
	s_or_b64 s[22:23], s[22:23], s[24:25]
	s_and_b64 s[20:21], s[20:21], s[22:23]
	s_xor_b64 s[22:23], s[20:21], -1
                                        ; implicit-def: $vgpr54
	s_and_saveexec_b64 s[24:25], s[22:23]
	s_xor_b64 s[22:23], exec, s[24:25]
	s_cbranch_execz .LBB48_60
; %bb.59:                               ;   in Loop: Header=BB48_2 Depth=1
	ds_read_u8 v54, v58 offset:1
.LBB48_60:                              ;   in Loop: Header=BB48_2 Depth=1
	s_or_saveexec_b64 s[22:23], s[22:23]
	v_mov_b32_e32 v55, v53
	s_xor_b64 exec, exec, s[22:23]
	s_cbranch_execz .LBB48_62
; %bb.61:                               ;   in Loop: Header=BB48_2 Depth=1
	ds_read_u8 v55, v56 offset:1
	s_waitcnt lgkmcnt(1)
	v_mov_b32_e32 v54, v52
.LBB48_62:                              ;   in Loop: Header=BB48_2 Depth=1
	s_or_b64 exec, exec, s[22:23]
	v_add_u32_e32 v59, 1, v58
	v_add_u32_e32 v57, 1, v56
	v_cndmask_b32_e64 v58, v59, v58, s[20:21]
	v_cndmask_b32_e64 v57, v56, v57, s[20:21]
	v_cmp_ge_i32_e64 s[24:25], v58, v19
	s_waitcnt lgkmcnt(0)
	v_cmp_lt_i16_sdwa s[40:41], sext(v55), sext(v54) src0_sel:BYTE_0 src1_sel:BYTE_0
	v_cmp_lt_i32_e64 s[22:23], v57, v20
	s_or_b64 s[24:25], s[24:25], s[40:41]
	s_and_b64 s[22:23], s[22:23], s[24:25]
	s_xor_b64 s[24:25], s[22:23], -1
                                        ; implicit-def: $vgpr56
	s_and_saveexec_b64 s[40:41], s[24:25]
	s_xor_b64 s[24:25], exec, s[40:41]
	s_cbranch_execz .LBB48_64
; %bb.63:                               ;   in Loop: Header=BB48_2 Depth=1
	ds_read_u8 v56, v58 offset:1
.LBB48_64:                              ;   in Loop: Header=BB48_2 Depth=1
	s_or_saveexec_b64 s[24:25], s[24:25]
	v_mov_b32_e32 v59, v55
	s_xor_b64 exec, exec, s[24:25]
	s_cbranch_execz .LBB48_66
; %bb.65:                               ;   in Loop: Header=BB48_2 Depth=1
	ds_read_u8 v59, v57 offset:1
	s_waitcnt lgkmcnt(1)
	v_mov_b32_e32 v56, v54
.LBB48_66:                              ;   in Loop: Header=BB48_2 Depth=1
	s_or_b64 exec, exec, s[24:25]
	v_cndmask_b32_e64 v54, v54, v55, s[22:23]
	v_add_u32_e32 v55, 1, v57
	v_add_u32_e32 v60, 1, v58
	v_cndmask_b32_e64 v55, v57, v55, s[22:23]
	v_cndmask_b32_e64 v57, v60, v58, s[22:23]
	;; [unrolled: 1-line block ×4, first 2 shown]
	v_cmp_ge_i32_e64 s[12:13], v57, v19
	s_waitcnt lgkmcnt(0)
	v_cmp_lt_i16_sdwa s[14:15], sext(v59), sext(v56) src0_sel:BYTE_0 src1_sel:BYTE_0
	v_cndmask_b32_e64 v48, v48, v49, s[16:17]
	v_cndmask_b32_e64 v42, v42, v43, s[10:11]
	v_cmp_lt_i32_e64 s[10:11], v55, v20
	s_or_b64 s[12:13], s[12:13], s[14:15]
	v_lshlrev_b16_e32 v44, 8, v44
	s_and_b64 s[10:11], s[10:11], s[12:13]
	v_or_b32_sdwa v42, v42, v44 dst_sel:DWORD dst_unused:UNUSED_PAD src0_sel:BYTE_0 src1_sel:DWORD
	v_lshlrev_b16_e32 v44, 8, v48
	v_cndmask_b32_e64 v52, v52, v53, s[20:21]
	v_cndmask_b32_e64 v43, v56, v59, s[10:11]
	v_or_b32_sdwa v44, v46, v44 dst_sel:WORD_1 dst_unused:UNUSED_PAD src0_sel:BYTE_0 src1_sel:DWORD
	v_cndmask_b32_e64 v50, v50, v51, s[18:19]
	v_or_b32_sdwa v42, v42, v44 dst_sel:DWORD dst_unused:UNUSED_PAD src0_sel:WORD_0 src1_sel:DWORD
	v_lshlrev_b16_e32 v44, 8, v52
	v_lshlrev_b16_e32 v43, 8, v43
	v_or_b32_sdwa v44, v50, v44 dst_sel:DWORD dst_unused:UNUSED_PAD src0_sel:BYTE_0 src1_sel:DWORD
	v_or_b32_sdwa v43, v54, v43 dst_sel:WORD_1 dst_unused:UNUSED_PAD src0_sel:BYTE_0 src1_sel:DWORD
	s_nop 0
	v_or_b32_sdwa v43, v44, v43 dst_sel:DWORD dst_unused:UNUSED_PAD src0_sel:WORD_0 src1_sel:DWORD
	; wave barrier
	ds_write_b64 v3, v[42:43]
	v_mov_b32_e32 v42, v39
	s_waitcnt lgkmcnt(0)
	; wave barrier
	s_waitcnt lgkmcnt(0)
	s_and_saveexec_b64 s[12:13], s[4:5]
	s_cbranch_execz .LBB48_70
; %bb.67:                               ;   in Loop: Header=BB48_2 Depth=1
	s_mov_b64 s[14:15], 0
	v_mov_b32_e32 v42, v39
	v_mov_b32_e32 v43, v34
.LBB48_68:                              ;   Parent Loop BB48_2 Depth=1
                                        ; =>  This Inner Loop Header: Depth=2
	v_sub_u32_e32 v44, v43, v42
	v_lshrrev_b32_e32 v45, 31, v44
	v_add_u32_e32 v44, v44, v45
	v_ashrrev_i32_e32 v44, 1, v44
	v_add_u32_e32 v44, v44, v42
	v_not_b32_e32 v46, v44
	v_add_u32_e32 v45, v8, v44
	v_add3_u32 v46, v9, v46, v21
	ds_read_i8 v45, v45
	ds_read_i8 v46, v46
	v_add_u32_e32 v47, 1, v44
	s_waitcnt lgkmcnt(0)
	v_cmp_lt_i16_e64 s[10:11], v46, v45
	s_nop 1
	v_cndmask_b32_e64 v43, v43, v44, s[10:11]
	v_cndmask_b32_e64 v42, v47, v42, s[10:11]
	v_cmp_ge_i32_e64 s[10:11], v42, v43
	s_or_b64 s[14:15], s[10:11], s[14:15]
	s_andn2_b64 exec, exec, s[14:15]
	s_cbranch_execnz .LBB48_68
; %bb.69:                               ;   in Loop: Header=BB48_2 Depth=1
	s_or_b64 exec, exec, s[14:15]
.LBB48_70:                              ;   in Loop: Header=BB48_2 Depth=1
	s_or_b64 exec, exec, s[12:13]
	v_add_u32_e32 v46, v42, v8
	v_sub_u32_e32 v47, v29, v42
	ds_read_u8 v42, v46
	ds_read_u8 v43, v47
	v_cmp_le_i32_e64 s[12:13], v21, v46
	v_cmp_gt_i32_e64 s[10:11], v22, v47
                                        ; implicit-def: $vgpr44
	s_waitcnt lgkmcnt(1)
	v_bfe_i32 v42, v42, 0, 8
	s_waitcnt lgkmcnt(0)
	v_bfe_i32 v43, v43, 0, 8
	v_cmp_lt_i16_e64 s[14:15], v43, v42
	s_or_b64 s[12:13], s[12:13], s[14:15]
	s_and_b64 s[10:11], s[10:11], s[12:13]
	s_xor_b64 s[12:13], s[10:11], -1
	s_and_saveexec_b64 s[14:15], s[12:13]
	s_xor_b64 s[12:13], exec, s[14:15]
	s_cbranch_execz .LBB48_72
; %bb.71:                               ;   in Loop: Header=BB48_2 Depth=1
	ds_read_u8 v44, v46 offset:1
.LBB48_72:                              ;   in Loop: Header=BB48_2 Depth=1
	s_or_saveexec_b64 s[12:13], s[12:13]
	v_mov_b32_e32 v45, v43
	s_xor_b64 exec, exec, s[12:13]
	s_cbranch_execz .LBB48_74
; %bb.73:                               ;   in Loop: Header=BB48_2 Depth=1
	ds_read_u8 v45, v47 offset:1
	s_waitcnt lgkmcnt(1)
	v_mov_b32_e32 v44, v42
.LBB48_74:                              ;   in Loop: Header=BB48_2 Depth=1
	s_or_b64 exec, exec, s[12:13]
	v_add_u32_e32 v49, 1, v46
	v_add_u32_e32 v48, 1, v47
	v_cndmask_b32_e64 v49, v49, v46, s[10:11]
	v_cndmask_b32_e64 v48, v47, v48, s[10:11]
	v_cmp_ge_i32_e64 s[14:15], v49, v21
	s_waitcnt lgkmcnt(0)
	v_cmp_lt_i16_sdwa s[16:17], sext(v45), sext(v44) src0_sel:BYTE_0 src1_sel:BYTE_0
	v_cmp_lt_i32_e64 s[12:13], v48, v22
	s_or_b64 s[14:15], s[14:15], s[16:17]
	s_and_b64 s[12:13], s[12:13], s[14:15]
	s_xor_b64 s[14:15], s[12:13], -1
                                        ; implicit-def: $vgpr46
	s_and_saveexec_b64 s[16:17], s[14:15]
	s_xor_b64 s[14:15], exec, s[16:17]
	s_cbranch_execz .LBB48_76
; %bb.75:                               ;   in Loop: Header=BB48_2 Depth=1
	ds_read_u8 v46, v49 offset:1
.LBB48_76:                              ;   in Loop: Header=BB48_2 Depth=1
	s_or_saveexec_b64 s[14:15], s[14:15]
	v_mov_b32_e32 v47, v45
	s_xor_b64 exec, exec, s[14:15]
	s_cbranch_execz .LBB48_78
; %bb.77:                               ;   in Loop: Header=BB48_2 Depth=1
	ds_read_u8 v47, v48 offset:1
	s_waitcnt lgkmcnt(1)
	v_mov_b32_e32 v46, v44
.LBB48_78:                              ;   in Loop: Header=BB48_2 Depth=1
	s_or_b64 exec, exec, s[14:15]
	v_add_u32_e32 v51, 1, v49
	v_add_u32_e32 v50, 1, v48
	v_cndmask_b32_e64 v51, v51, v49, s[12:13]
	v_cndmask_b32_e64 v50, v48, v50, s[12:13]
	v_cmp_ge_i32_e64 s[16:17], v51, v21
	s_waitcnt lgkmcnt(0)
	v_cmp_lt_i16_sdwa s[18:19], sext(v47), sext(v46) src0_sel:BYTE_0 src1_sel:BYTE_0
	v_cmp_lt_i32_e64 s[14:15], v50, v22
	s_or_b64 s[16:17], s[16:17], s[18:19]
	s_and_b64 s[14:15], s[14:15], s[16:17]
	s_xor_b64 s[16:17], s[14:15], -1
                                        ; implicit-def: $vgpr48
	s_and_saveexec_b64 s[18:19], s[16:17]
	s_xor_b64 s[16:17], exec, s[18:19]
	s_cbranch_execz .LBB48_80
; %bb.79:                               ;   in Loop: Header=BB48_2 Depth=1
	ds_read_u8 v48, v51 offset:1
.LBB48_80:                              ;   in Loop: Header=BB48_2 Depth=1
	s_or_saveexec_b64 s[16:17], s[16:17]
	v_mov_b32_e32 v49, v47
	s_xor_b64 exec, exec, s[16:17]
	s_cbranch_execz .LBB48_82
; %bb.81:                               ;   in Loop: Header=BB48_2 Depth=1
	ds_read_u8 v49, v50 offset:1
	s_waitcnt lgkmcnt(1)
	v_mov_b32_e32 v48, v46
.LBB48_82:                              ;   in Loop: Header=BB48_2 Depth=1
	s_or_b64 exec, exec, s[16:17]
	v_add_u32_e32 v53, 1, v51
	v_add_u32_e32 v52, 1, v50
	v_cndmask_b32_e64 v53, v53, v51, s[14:15]
	v_cndmask_b32_e64 v52, v50, v52, s[14:15]
	v_cmp_ge_i32_e64 s[18:19], v53, v21
	s_waitcnt lgkmcnt(0)
	v_cmp_lt_i16_sdwa s[20:21], sext(v49), sext(v48) src0_sel:BYTE_0 src1_sel:BYTE_0
	v_cmp_lt_i32_e64 s[16:17], v52, v22
	s_or_b64 s[18:19], s[18:19], s[20:21]
	s_and_b64 s[16:17], s[16:17], s[18:19]
	s_xor_b64 s[18:19], s[16:17], -1
                                        ; implicit-def: $vgpr50
	s_and_saveexec_b64 s[20:21], s[18:19]
	s_xor_b64 s[18:19], exec, s[20:21]
	s_cbranch_execz .LBB48_84
; %bb.83:                               ;   in Loop: Header=BB48_2 Depth=1
	ds_read_u8 v50, v53 offset:1
.LBB48_84:                              ;   in Loop: Header=BB48_2 Depth=1
	s_or_saveexec_b64 s[18:19], s[18:19]
	v_mov_b32_e32 v51, v49
	s_xor_b64 exec, exec, s[18:19]
	s_cbranch_execz .LBB48_86
; %bb.85:                               ;   in Loop: Header=BB48_2 Depth=1
	ds_read_u8 v51, v52 offset:1
	s_waitcnt lgkmcnt(1)
	v_mov_b32_e32 v50, v48
.LBB48_86:                              ;   in Loop: Header=BB48_2 Depth=1
	s_or_b64 exec, exec, s[18:19]
	v_add_u32_e32 v55, 1, v53
	v_add_u32_e32 v54, 1, v52
	v_cndmask_b32_e64 v55, v55, v53, s[16:17]
	v_cndmask_b32_e64 v54, v52, v54, s[16:17]
	v_cmp_ge_i32_e64 s[20:21], v55, v21
	s_waitcnt lgkmcnt(0)
	v_cmp_lt_i16_sdwa s[22:23], sext(v51), sext(v50) src0_sel:BYTE_0 src1_sel:BYTE_0
	v_cmp_lt_i32_e64 s[18:19], v54, v22
	s_or_b64 s[20:21], s[20:21], s[22:23]
	s_and_b64 s[18:19], s[18:19], s[20:21]
	s_xor_b64 s[20:21], s[18:19], -1
                                        ; implicit-def: $vgpr52
	s_and_saveexec_b64 s[22:23], s[20:21]
	s_xor_b64 s[20:21], exec, s[22:23]
	s_cbranch_execz .LBB48_88
; %bb.87:                               ;   in Loop: Header=BB48_2 Depth=1
	ds_read_u8 v52, v55 offset:1
.LBB48_88:                              ;   in Loop: Header=BB48_2 Depth=1
	s_or_saveexec_b64 s[20:21], s[20:21]
	v_mov_b32_e32 v53, v51
	s_xor_b64 exec, exec, s[20:21]
	s_cbranch_execz .LBB48_90
; %bb.89:                               ;   in Loop: Header=BB48_2 Depth=1
	ds_read_u8 v53, v54 offset:1
	s_waitcnt lgkmcnt(1)
	v_mov_b32_e32 v52, v50
.LBB48_90:                              ;   in Loop: Header=BB48_2 Depth=1
	s_or_b64 exec, exec, s[20:21]
	v_add_u32_e32 v57, 1, v55
	v_add_u32_e32 v56, 1, v54
	v_cndmask_b32_e64 v58, v57, v55, s[18:19]
	v_cndmask_b32_e64 v56, v54, v56, s[18:19]
	v_cmp_ge_i32_e64 s[22:23], v58, v21
	s_waitcnt lgkmcnt(0)
	v_cmp_lt_i16_sdwa s[24:25], sext(v53), sext(v52) src0_sel:BYTE_0 src1_sel:BYTE_0
	v_cmp_lt_i32_e64 s[20:21], v56, v22
	s_or_b64 s[22:23], s[22:23], s[24:25]
	s_and_b64 s[20:21], s[20:21], s[22:23]
	s_xor_b64 s[22:23], s[20:21], -1
                                        ; implicit-def: $vgpr54
	s_and_saveexec_b64 s[24:25], s[22:23]
	s_xor_b64 s[22:23], exec, s[24:25]
	s_cbranch_execz .LBB48_92
; %bb.91:                               ;   in Loop: Header=BB48_2 Depth=1
	ds_read_u8 v54, v58 offset:1
.LBB48_92:                              ;   in Loop: Header=BB48_2 Depth=1
	s_or_saveexec_b64 s[22:23], s[22:23]
	v_mov_b32_e32 v55, v53
	s_xor_b64 exec, exec, s[22:23]
	s_cbranch_execz .LBB48_94
; %bb.93:                               ;   in Loop: Header=BB48_2 Depth=1
	ds_read_u8 v55, v56 offset:1
	s_waitcnt lgkmcnt(1)
	v_mov_b32_e32 v54, v52
.LBB48_94:                              ;   in Loop: Header=BB48_2 Depth=1
	s_or_b64 exec, exec, s[22:23]
	v_add_u32_e32 v59, 1, v58
	v_add_u32_e32 v57, 1, v56
	v_cndmask_b32_e64 v58, v59, v58, s[20:21]
	v_cndmask_b32_e64 v57, v56, v57, s[20:21]
	v_cmp_ge_i32_e64 s[24:25], v58, v21
	s_waitcnt lgkmcnt(0)
	v_cmp_lt_i16_sdwa s[40:41], sext(v55), sext(v54) src0_sel:BYTE_0 src1_sel:BYTE_0
	v_cmp_lt_i32_e64 s[22:23], v57, v22
	s_or_b64 s[24:25], s[24:25], s[40:41]
	s_and_b64 s[22:23], s[22:23], s[24:25]
	s_xor_b64 s[24:25], s[22:23], -1
                                        ; implicit-def: $vgpr56
	s_and_saveexec_b64 s[40:41], s[24:25]
	s_xor_b64 s[24:25], exec, s[40:41]
	s_cbranch_execz .LBB48_96
; %bb.95:                               ;   in Loop: Header=BB48_2 Depth=1
	ds_read_u8 v56, v58 offset:1
.LBB48_96:                              ;   in Loop: Header=BB48_2 Depth=1
	s_or_saveexec_b64 s[24:25], s[24:25]
	v_mov_b32_e32 v59, v55
	s_xor_b64 exec, exec, s[24:25]
	s_cbranch_execz .LBB48_98
; %bb.97:                               ;   in Loop: Header=BB48_2 Depth=1
	ds_read_u8 v59, v57 offset:1
	s_waitcnt lgkmcnt(1)
	v_mov_b32_e32 v56, v54
.LBB48_98:                              ;   in Loop: Header=BB48_2 Depth=1
	s_or_b64 exec, exec, s[24:25]
	v_cndmask_b32_e64 v54, v54, v55, s[22:23]
	v_add_u32_e32 v55, 1, v57
	v_add_u32_e32 v60, 1, v58
	v_cndmask_b32_e64 v55, v57, v55, s[22:23]
	v_cndmask_b32_e64 v57, v60, v58, s[22:23]
	;; [unrolled: 1-line block ×4, first 2 shown]
	v_cmp_ge_i32_e64 s[12:13], v57, v21
	s_waitcnt lgkmcnt(0)
	v_cmp_lt_i16_sdwa s[14:15], sext(v59), sext(v56) src0_sel:BYTE_0 src1_sel:BYTE_0
	v_cndmask_b32_e64 v48, v48, v49, s[16:17]
	v_cndmask_b32_e64 v42, v42, v43, s[10:11]
	v_cmp_lt_i32_e64 s[10:11], v55, v22
	s_or_b64 s[12:13], s[12:13], s[14:15]
	v_lshlrev_b16_e32 v44, 8, v44
	s_and_b64 s[10:11], s[10:11], s[12:13]
	v_or_b32_sdwa v42, v42, v44 dst_sel:DWORD dst_unused:UNUSED_PAD src0_sel:BYTE_0 src1_sel:DWORD
	v_lshlrev_b16_e32 v44, 8, v48
	v_cndmask_b32_e64 v52, v52, v53, s[20:21]
	v_cndmask_b32_e64 v43, v56, v59, s[10:11]
	v_or_b32_sdwa v44, v46, v44 dst_sel:WORD_1 dst_unused:UNUSED_PAD src0_sel:BYTE_0 src1_sel:DWORD
	v_cndmask_b32_e64 v50, v50, v51, s[18:19]
	v_or_b32_sdwa v42, v42, v44 dst_sel:DWORD dst_unused:UNUSED_PAD src0_sel:WORD_0 src1_sel:DWORD
	v_lshlrev_b16_e32 v44, 8, v52
	v_lshlrev_b16_e32 v43, 8, v43
	v_or_b32_sdwa v44, v50, v44 dst_sel:DWORD dst_unused:UNUSED_PAD src0_sel:BYTE_0 src1_sel:DWORD
	v_or_b32_sdwa v43, v54, v43 dst_sel:WORD_1 dst_unused:UNUSED_PAD src0_sel:BYTE_0 src1_sel:DWORD
	s_nop 0
	v_or_b32_sdwa v43, v44, v43 dst_sel:DWORD dst_unused:UNUSED_PAD src0_sel:WORD_0 src1_sel:DWORD
	; wave barrier
	ds_write_b64 v3, v[42:43]
	v_mov_b32_e32 v42, v40
	s_waitcnt lgkmcnt(0)
	; wave barrier
	s_waitcnt lgkmcnt(0)
	s_and_saveexec_b64 s[12:13], s[6:7]
	s_cbranch_execz .LBB48_102
; %bb.99:                               ;   in Loop: Header=BB48_2 Depth=1
	s_mov_b64 s[14:15], 0
	v_mov_b32_e32 v42, v40
	v_mov_b32_e32 v43, v35
.LBB48_100:                             ;   Parent Loop BB48_2 Depth=1
                                        ; =>  This Inner Loop Header: Depth=2
	v_sub_u32_e32 v44, v43, v42
	v_lshrrev_b32_e32 v45, 31, v44
	v_add_u32_e32 v44, v44, v45
	v_ashrrev_i32_e32 v44, 1, v44
	v_add_u32_e32 v44, v44, v42
	v_not_b32_e32 v46, v44
	v_add_u32_e32 v45, v10, v44
	v_add3_u32 v46, v11, v46, v23
	ds_read_i8 v45, v45
	ds_read_i8 v46, v46
	v_add_u32_e32 v47, 1, v44
	s_waitcnt lgkmcnt(0)
	v_cmp_lt_i16_e64 s[10:11], v46, v45
	s_nop 1
	v_cndmask_b32_e64 v43, v43, v44, s[10:11]
	v_cndmask_b32_e64 v42, v47, v42, s[10:11]
	v_cmp_ge_i32_e64 s[10:11], v42, v43
	s_or_b64 s[14:15], s[10:11], s[14:15]
	s_andn2_b64 exec, exec, s[14:15]
	s_cbranch_execnz .LBB48_100
; %bb.101:                              ;   in Loop: Header=BB48_2 Depth=1
	s_or_b64 exec, exec, s[14:15]
.LBB48_102:                             ;   in Loop: Header=BB48_2 Depth=1
	s_or_b64 exec, exec, s[12:13]
	v_add_u32_e32 v46, v42, v10
	v_sub_u32_e32 v47, v30, v42
	ds_read_u8 v42, v46
	ds_read_u8 v43, v47
	v_cmp_le_i32_e64 s[12:13], v23, v46
	v_cmp_gt_i32_e64 s[10:11], v24, v47
                                        ; implicit-def: $vgpr44
	s_waitcnt lgkmcnt(1)
	v_bfe_i32 v42, v42, 0, 8
	s_waitcnt lgkmcnt(0)
	v_bfe_i32 v43, v43, 0, 8
	v_cmp_lt_i16_e64 s[14:15], v43, v42
	s_or_b64 s[12:13], s[12:13], s[14:15]
	s_and_b64 s[10:11], s[10:11], s[12:13]
	s_xor_b64 s[12:13], s[10:11], -1
	s_and_saveexec_b64 s[14:15], s[12:13]
	s_xor_b64 s[12:13], exec, s[14:15]
	s_cbranch_execz .LBB48_104
; %bb.103:                              ;   in Loop: Header=BB48_2 Depth=1
	ds_read_u8 v44, v46 offset:1
.LBB48_104:                             ;   in Loop: Header=BB48_2 Depth=1
	s_or_saveexec_b64 s[12:13], s[12:13]
	v_mov_b32_e32 v45, v43
	s_xor_b64 exec, exec, s[12:13]
	s_cbranch_execz .LBB48_106
; %bb.105:                              ;   in Loop: Header=BB48_2 Depth=1
	ds_read_u8 v45, v47 offset:1
	s_waitcnt lgkmcnt(1)
	v_mov_b32_e32 v44, v42
.LBB48_106:                             ;   in Loop: Header=BB48_2 Depth=1
	s_or_b64 exec, exec, s[12:13]
	v_add_u32_e32 v49, 1, v46
	v_add_u32_e32 v48, 1, v47
	v_cndmask_b32_e64 v49, v49, v46, s[10:11]
	v_cndmask_b32_e64 v48, v47, v48, s[10:11]
	v_cmp_ge_i32_e64 s[14:15], v49, v23
	s_waitcnt lgkmcnt(0)
	v_cmp_lt_i16_sdwa s[16:17], sext(v45), sext(v44) src0_sel:BYTE_0 src1_sel:BYTE_0
	v_cmp_lt_i32_e64 s[12:13], v48, v24
	s_or_b64 s[14:15], s[14:15], s[16:17]
	s_and_b64 s[12:13], s[12:13], s[14:15]
	s_xor_b64 s[14:15], s[12:13], -1
                                        ; implicit-def: $vgpr46
	s_and_saveexec_b64 s[16:17], s[14:15]
	s_xor_b64 s[14:15], exec, s[16:17]
	s_cbranch_execz .LBB48_108
; %bb.107:                              ;   in Loop: Header=BB48_2 Depth=1
	ds_read_u8 v46, v49 offset:1
.LBB48_108:                             ;   in Loop: Header=BB48_2 Depth=1
	s_or_saveexec_b64 s[14:15], s[14:15]
	v_mov_b32_e32 v47, v45
	s_xor_b64 exec, exec, s[14:15]
	s_cbranch_execz .LBB48_110
; %bb.109:                              ;   in Loop: Header=BB48_2 Depth=1
	ds_read_u8 v47, v48 offset:1
	s_waitcnt lgkmcnt(1)
	v_mov_b32_e32 v46, v44
.LBB48_110:                             ;   in Loop: Header=BB48_2 Depth=1
	s_or_b64 exec, exec, s[14:15]
	v_add_u32_e32 v51, 1, v49
	v_add_u32_e32 v50, 1, v48
	v_cndmask_b32_e64 v51, v51, v49, s[12:13]
	v_cndmask_b32_e64 v50, v48, v50, s[12:13]
	v_cmp_ge_i32_e64 s[16:17], v51, v23
	s_waitcnt lgkmcnt(0)
	v_cmp_lt_i16_sdwa s[18:19], sext(v47), sext(v46) src0_sel:BYTE_0 src1_sel:BYTE_0
	v_cmp_lt_i32_e64 s[14:15], v50, v24
	s_or_b64 s[16:17], s[16:17], s[18:19]
	s_and_b64 s[14:15], s[14:15], s[16:17]
	s_xor_b64 s[16:17], s[14:15], -1
                                        ; implicit-def: $vgpr48
	s_and_saveexec_b64 s[18:19], s[16:17]
	s_xor_b64 s[16:17], exec, s[18:19]
	s_cbranch_execz .LBB48_112
; %bb.111:                              ;   in Loop: Header=BB48_2 Depth=1
	ds_read_u8 v48, v51 offset:1
.LBB48_112:                             ;   in Loop: Header=BB48_2 Depth=1
	s_or_saveexec_b64 s[16:17], s[16:17]
	v_mov_b32_e32 v49, v47
	s_xor_b64 exec, exec, s[16:17]
	s_cbranch_execz .LBB48_114
; %bb.113:                              ;   in Loop: Header=BB48_2 Depth=1
	ds_read_u8 v49, v50 offset:1
	s_waitcnt lgkmcnt(1)
	v_mov_b32_e32 v48, v46
.LBB48_114:                             ;   in Loop: Header=BB48_2 Depth=1
	s_or_b64 exec, exec, s[16:17]
	v_add_u32_e32 v53, 1, v51
	v_add_u32_e32 v52, 1, v50
	v_cndmask_b32_e64 v53, v53, v51, s[14:15]
	v_cndmask_b32_e64 v52, v50, v52, s[14:15]
	v_cmp_ge_i32_e64 s[18:19], v53, v23
	s_waitcnt lgkmcnt(0)
	v_cmp_lt_i16_sdwa s[20:21], sext(v49), sext(v48) src0_sel:BYTE_0 src1_sel:BYTE_0
	v_cmp_lt_i32_e64 s[16:17], v52, v24
	s_or_b64 s[18:19], s[18:19], s[20:21]
	s_and_b64 s[16:17], s[16:17], s[18:19]
	s_xor_b64 s[18:19], s[16:17], -1
                                        ; implicit-def: $vgpr50
	s_and_saveexec_b64 s[20:21], s[18:19]
	s_xor_b64 s[18:19], exec, s[20:21]
	s_cbranch_execz .LBB48_116
; %bb.115:                              ;   in Loop: Header=BB48_2 Depth=1
	ds_read_u8 v50, v53 offset:1
.LBB48_116:                             ;   in Loop: Header=BB48_2 Depth=1
	s_or_saveexec_b64 s[18:19], s[18:19]
	v_mov_b32_e32 v51, v49
	s_xor_b64 exec, exec, s[18:19]
	s_cbranch_execz .LBB48_118
; %bb.117:                              ;   in Loop: Header=BB48_2 Depth=1
	ds_read_u8 v51, v52 offset:1
	s_waitcnt lgkmcnt(1)
	v_mov_b32_e32 v50, v48
.LBB48_118:                             ;   in Loop: Header=BB48_2 Depth=1
	s_or_b64 exec, exec, s[18:19]
	v_add_u32_e32 v55, 1, v53
	v_add_u32_e32 v54, 1, v52
	v_cndmask_b32_e64 v55, v55, v53, s[16:17]
	v_cndmask_b32_e64 v54, v52, v54, s[16:17]
	v_cmp_ge_i32_e64 s[20:21], v55, v23
	s_waitcnt lgkmcnt(0)
	v_cmp_lt_i16_sdwa s[22:23], sext(v51), sext(v50) src0_sel:BYTE_0 src1_sel:BYTE_0
	v_cmp_lt_i32_e64 s[18:19], v54, v24
	s_or_b64 s[20:21], s[20:21], s[22:23]
	s_and_b64 s[18:19], s[18:19], s[20:21]
	s_xor_b64 s[20:21], s[18:19], -1
                                        ; implicit-def: $vgpr52
	s_and_saveexec_b64 s[22:23], s[20:21]
	s_xor_b64 s[20:21], exec, s[22:23]
	s_cbranch_execz .LBB48_120
; %bb.119:                              ;   in Loop: Header=BB48_2 Depth=1
	ds_read_u8 v52, v55 offset:1
.LBB48_120:                             ;   in Loop: Header=BB48_2 Depth=1
	s_or_saveexec_b64 s[20:21], s[20:21]
	v_mov_b32_e32 v53, v51
	s_xor_b64 exec, exec, s[20:21]
	s_cbranch_execz .LBB48_122
; %bb.121:                              ;   in Loop: Header=BB48_2 Depth=1
	ds_read_u8 v53, v54 offset:1
	s_waitcnt lgkmcnt(1)
	v_mov_b32_e32 v52, v50
.LBB48_122:                             ;   in Loop: Header=BB48_2 Depth=1
	s_or_b64 exec, exec, s[20:21]
	v_add_u32_e32 v57, 1, v55
	v_add_u32_e32 v56, 1, v54
	v_cndmask_b32_e64 v58, v57, v55, s[18:19]
	v_cndmask_b32_e64 v56, v54, v56, s[18:19]
	v_cmp_ge_i32_e64 s[22:23], v58, v23
	s_waitcnt lgkmcnt(0)
	v_cmp_lt_i16_sdwa s[24:25], sext(v53), sext(v52) src0_sel:BYTE_0 src1_sel:BYTE_0
	v_cmp_lt_i32_e64 s[20:21], v56, v24
	s_or_b64 s[22:23], s[22:23], s[24:25]
	s_and_b64 s[20:21], s[20:21], s[22:23]
	s_xor_b64 s[22:23], s[20:21], -1
                                        ; implicit-def: $vgpr54
	s_and_saveexec_b64 s[24:25], s[22:23]
	s_xor_b64 s[22:23], exec, s[24:25]
	s_cbranch_execz .LBB48_124
; %bb.123:                              ;   in Loop: Header=BB48_2 Depth=1
	ds_read_u8 v54, v58 offset:1
.LBB48_124:                             ;   in Loop: Header=BB48_2 Depth=1
	s_or_saveexec_b64 s[22:23], s[22:23]
	v_mov_b32_e32 v55, v53
	s_xor_b64 exec, exec, s[22:23]
	s_cbranch_execz .LBB48_126
; %bb.125:                              ;   in Loop: Header=BB48_2 Depth=1
	ds_read_u8 v55, v56 offset:1
	s_waitcnt lgkmcnt(1)
	v_mov_b32_e32 v54, v52
.LBB48_126:                             ;   in Loop: Header=BB48_2 Depth=1
	s_or_b64 exec, exec, s[22:23]
	v_add_u32_e32 v59, 1, v58
	v_add_u32_e32 v57, 1, v56
	v_cndmask_b32_e64 v58, v59, v58, s[20:21]
	v_cndmask_b32_e64 v57, v56, v57, s[20:21]
	v_cmp_ge_i32_e64 s[24:25], v58, v23
	s_waitcnt lgkmcnt(0)
	v_cmp_lt_i16_sdwa s[40:41], sext(v55), sext(v54) src0_sel:BYTE_0 src1_sel:BYTE_0
	v_cmp_lt_i32_e64 s[22:23], v57, v24
	s_or_b64 s[24:25], s[24:25], s[40:41]
	s_and_b64 s[22:23], s[22:23], s[24:25]
	s_xor_b64 s[24:25], s[22:23], -1
                                        ; implicit-def: $vgpr56
	s_and_saveexec_b64 s[40:41], s[24:25]
	s_xor_b64 s[24:25], exec, s[40:41]
	s_cbranch_execz .LBB48_128
; %bb.127:                              ;   in Loop: Header=BB48_2 Depth=1
	ds_read_u8 v56, v58 offset:1
.LBB48_128:                             ;   in Loop: Header=BB48_2 Depth=1
	s_or_saveexec_b64 s[24:25], s[24:25]
	v_mov_b32_e32 v59, v55
	s_xor_b64 exec, exec, s[24:25]
	s_cbranch_execz .LBB48_130
; %bb.129:                              ;   in Loop: Header=BB48_2 Depth=1
	ds_read_u8 v59, v57 offset:1
	s_waitcnt lgkmcnt(1)
	v_mov_b32_e32 v56, v54
.LBB48_130:                             ;   in Loop: Header=BB48_2 Depth=1
	s_or_b64 exec, exec, s[24:25]
	v_cndmask_b32_e64 v54, v54, v55, s[22:23]
	v_add_u32_e32 v55, 1, v57
	v_add_u32_e32 v60, 1, v58
	v_cndmask_b32_e64 v55, v57, v55, s[22:23]
	v_cndmask_b32_e64 v57, v60, v58, s[22:23]
	v_cndmask_b32_e64 v46, v46, v47, s[14:15]
	v_cndmask_b32_e64 v44, v44, v45, s[12:13]
	v_cmp_ge_i32_e64 s[12:13], v57, v23
	s_waitcnt lgkmcnt(0)
	v_cmp_lt_i16_sdwa s[14:15], sext(v59), sext(v56) src0_sel:BYTE_0 src1_sel:BYTE_0
	v_cndmask_b32_e64 v48, v48, v49, s[16:17]
	v_cndmask_b32_e64 v42, v42, v43, s[10:11]
	v_cmp_lt_i32_e64 s[10:11], v55, v24
	s_or_b64 s[12:13], s[12:13], s[14:15]
	v_lshlrev_b16_e32 v44, 8, v44
	s_and_b64 s[10:11], s[10:11], s[12:13]
	v_or_b32_sdwa v42, v42, v44 dst_sel:DWORD dst_unused:UNUSED_PAD src0_sel:BYTE_0 src1_sel:DWORD
	v_lshlrev_b16_e32 v44, 8, v48
	v_cndmask_b32_e64 v52, v52, v53, s[20:21]
	v_cndmask_b32_e64 v43, v56, v59, s[10:11]
	v_or_b32_sdwa v44, v46, v44 dst_sel:WORD_1 dst_unused:UNUSED_PAD src0_sel:BYTE_0 src1_sel:DWORD
	v_cndmask_b32_e64 v50, v50, v51, s[18:19]
	v_or_b32_sdwa v42, v42, v44 dst_sel:DWORD dst_unused:UNUSED_PAD src0_sel:WORD_0 src1_sel:DWORD
	v_lshlrev_b16_e32 v44, 8, v52
	v_lshlrev_b16_e32 v43, 8, v43
	v_or_b32_sdwa v44, v50, v44 dst_sel:DWORD dst_unused:UNUSED_PAD src0_sel:BYTE_0 src1_sel:DWORD
	v_or_b32_sdwa v43, v54, v43 dst_sel:WORD_1 dst_unused:UNUSED_PAD src0_sel:BYTE_0 src1_sel:DWORD
	s_nop 0
	v_or_b32_sdwa v43, v44, v43 dst_sel:DWORD dst_unused:UNUSED_PAD src0_sel:WORD_0 src1_sel:DWORD
	; wave barrier
	ds_write_b64 v3, v[42:43]
	v_mov_b32_e32 v42, v41
	s_waitcnt lgkmcnt(0)
	; wave barrier
	s_waitcnt lgkmcnt(0)
	s_and_saveexec_b64 s[12:13], s[8:9]
	s_cbranch_execz .LBB48_134
; %bb.131:                              ;   in Loop: Header=BB48_2 Depth=1
	s_mov_b64 s[14:15], 0
	v_mov_b32_e32 v42, v41
	v_mov_b32_e32 v43, v36
.LBB48_132:                             ;   Parent Loop BB48_2 Depth=1
                                        ; =>  This Inner Loop Header: Depth=2
	v_sub_u32_e32 v44, v43, v42
	v_lshrrev_b32_e32 v45, 31, v44
	v_add_u32_e32 v44, v44, v45
	v_ashrrev_i32_e32 v44, 1, v44
	v_add_u32_e32 v44, v44, v42
	v_not_b32_e32 v46, v44
	v_add_u32_e32 v45, v12, v44
	v_add3_u32 v46, v13, v46, v25
	ds_read_i8 v45, v45
	ds_read_i8 v46, v46
	v_add_u32_e32 v47, 1, v44
	s_waitcnt lgkmcnt(0)
	v_cmp_lt_i16_e64 s[10:11], v46, v45
	s_nop 1
	v_cndmask_b32_e64 v43, v43, v44, s[10:11]
	v_cndmask_b32_e64 v42, v47, v42, s[10:11]
	v_cmp_ge_i32_e64 s[10:11], v42, v43
	s_or_b64 s[14:15], s[10:11], s[14:15]
	s_andn2_b64 exec, exec, s[14:15]
	s_cbranch_execnz .LBB48_132
; %bb.133:                              ;   in Loop: Header=BB48_2 Depth=1
	s_or_b64 exec, exec, s[14:15]
.LBB48_134:                             ;   in Loop: Header=BB48_2 Depth=1
	s_or_b64 exec, exec, s[12:13]
	v_add_u32_e32 v46, v42, v12
	v_sub_u32_e32 v47, v31, v42
	ds_read_u8 v42, v46
	ds_read_u8 v43, v47
	v_cmp_le_i32_e64 s[12:13], v25, v46
	v_cmp_gt_i32_e64 s[10:11], v26, v47
                                        ; implicit-def: $vgpr44
	s_waitcnt lgkmcnt(1)
	v_bfe_i32 v42, v42, 0, 8
	s_waitcnt lgkmcnt(0)
	v_bfe_i32 v43, v43, 0, 8
	v_cmp_lt_i16_e64 s[14:15], v43, v42
	s_or_b64 s[12:13], s[12:13], s[14:15]
	s_and_b64 s[10:11], s[10:11], s[12:13]
	s_xor_b64 s[12:13], s[10:11], -1
	s_and_saveexec_b64 s[14:15], s[12:13]
	s_xor_b64 s[12:13], exec, s[14:15]
	s_cbranch_execz .LBB48_136
; %bb.135:                              ;   in Loop: Header=BB48_2 Depth=1
	ds_read_u8 v44, v46 offset:1
.LBB48_136:                             ;   in Loop: Header=BB48_2 Depth=1
	s_or_saveexec_b64 s[12:13], s[12:13]
	v_mov_b32_e32 v45, v43
	s_xor_b64 exec, exec, s[12:13]
	s_cbranch_execz .LBB48_138
; %bb.137:                              ;   in Loop: Header=BB48_2 Depth=1
	ds_read_u8 v45, v47 offset:1
	s_waitcnt lgkmcnt(1)
	v_mov_b32_e32 v44, v42
.LBB48_138:                             ;   in Loop: Header=BB48_2 Depth=1
	s_or_b64 exec, exec, s[12:13]
	v_add_u32_e32 v49, 1, v46
	v_add_u32_e32 v48, 1, v47
	v_cndmask_b32_e64 v49, v49, v46, s[10:11]
	v_cndmask_b32_e64 v48, v47, v48, s[10:11]
	v_cmp_ge_i32_e64 s[14:15], v49, v25
	s_waitcnt lgkmcnt(0)
	v_cmp_lt_i16_sdwa s[16:17], sext(v45), sext(v44) src0_sel:BYTE_0 src1_sel:BYTE_0
	v_cmp_lt_i32_e64 s[12:13], v48, v26
	s_or_b64 s[14:15], s[14:15], s[16:17]
	s_and_b64 s[12:13], s[12:13], s[14:15]
	s_xor_b64 s[14:15], s[12:13], -1
                                        ; implicit-def: $vgpr46
	s_and_saveexec_b64 s[16:17], s[14:15]
	s_xor_b64 s[14:15], exec, s[16:17]
	s_cbranch_execz .LBB48_140
; %bb.139:                              ;   in Loop: Header=BB48_2 Depth=1
	ds_read_u8 v46, v49 offset:1
.LBB48_140:                             ;   in Loop: Header=BB48_2 Depth=1
	s_or_saveexec_b64 s[14:15], s[14:15]
	v_mov_b32_e32 v47, v45
	s_xor_b64 exec, exec, s[14:15]
	s_cbranch_execz .LBB48_142
; %bb.141:                              ;   in Loop: Header=BB48_2 Depth=1
	ds_read_u8 v47, v48 offset:1
	s_waitcnt lgkmcnt(1)
	v_mov_b32_e32 v46, v44
.LBB48_142:                             ;   in Loop: Header=BB48_2 Depth=1
	s_or_b64 exec, exec, s[14:15]
	v_add_u32_e32 v51, 1, v49
	v_add_u32_e32 v50, 1, v48
	v_cndmask_b32_e64 v51, v51, v49, s[12:13]
	v_cndmask_b32_e64 v50, v48, v50, s[12:13]
	v_cmp_ge_i32_e64 s[16:17], v51, v25
	s_waitcnt lgkmcnt(0)
	v_cmp_lt_i16_sdwa s[18:19], sext(v47), sext(v46) src0_sel:BYTE_0 src1_sel:BYTE_0
	v_cmp_lt_i32_e64 s[14:15], v50, v26
	s_or_b64 s[16:17], s[16:17], s[18:19]
	s_and_b64 s[14:15], s[14:15], s[16:17]
	s_xor_b64 s[16:17], s[14:15], -1
                                        ; implicit-def: $vgpr48
	s_and_saveexec_b64 s[18:19], s[16:17]
	s_xor_b64 s[16:17], exec, s[18:19]
	s_cbranch_execz .LBB48_144
; %bb.143:                              ;   in Loop: Header=BB48_2 Depth=1
	ds_read_u8 v48, v51 offset:1
.LBB48_144:                             ;   in Loop: Header=BB48_2 Depth=1
	s_or_saveexec_b64 s[16:17], s[16:17]
	v_mov_b32_e32 v49, v47
	s_xor_b64 exec, exec, s[16:17]
	s_cbranch_execz .LBB48_146
; %bb.145:                              ;   in Loop: Header=BB48_2 Depth=1
	ds_read_u8 v49, v50 offset:1
	s_waitcnt lgkmcnt(1)
	v_mov_b32_e32 v48, v46
.LBB48_146:                             ;   in Loop: Header=BB48_2 Depth=1
	s_or_b64 exec, exec, s[16:17]
	v_add_u32_e32 v53, 1, v51
	v_add_u32_e32 v52, 1, v50
	v_cndmask_b32_e64 v53, v53, v51, s[14:15]
	v_cndmask_b32_e64 v52, v50, v52, s[14:15]
	v_cmp_ge_i32_e64 s[18:19], v53, v25
	s_waitcnt lgkmcnt(0)
	v_cmp_lt_i16_sdwa s[20:21], sext(v49), sext(v48) src0_sel:BYTE_0 src1_sel:BYTE_0
	v_cmp_lt_i32_e64 s[16:17], v52, v26
	s_or_b64 s[18:19], s[18:19], s[20:21]
	s_and_b64 s[16:17], s[16:17], s[18:19]
	s_xor_b64 s[18:19], s[16:17], -1
                                        ; implicit-def: $vgpr50
	s_and_saveexec_b64 s[20:21], s[18:19]
	s_xor_b64 s[18:19], exec, s[20:21]
	s_cbranch_execz .LBB48_148
; %bb.147:                              ;   in Loop: Header=BB48_2 Depth=1
	ds_read_u8 v50, v53 offset:1
.LBB48_148:                             ;   in Loop: Header=BB48_2 Depth=1
	s_or_saveexec_b64 s[18:19], s[18:19]
	v_mov_b32_e32 v51, v49
	s_xor_b64 exec, exec, s[18:19]
	s_cbranch_execz .LBB48_150
; %bb.149:                              ;   in Loop: Header=BB48_2 Depth=1
	ds_read_u8 v51, v52 offset:1
	s_waitcnt lgkmcnt(1)
	v_mov_b32_e32 v50, v48
.LBB48_150:                             ;   in Loop: Header=BB48_2 Depth=1
	s_or_b64 exec, exec, s[18:19]
	v_add_u32_e32 v55, 1, v53
	v_add_u32_e32 v54, 1, v52
	v_cndmask_b32_e64 v55, v55, v53, s[16:17]
	v_cndmask_b32_e64 v54, v52, v54, s[16:17]
	v_cmp_ge_i32_e64 s[20:21], v55, v25
	s_waitcnt lgkmcnt(0)
	v_cmp_lt_i16_sdwa s[22:23], sext(v51), sext(v50) src0_sel:BYTE_0 src1_sel:BYTE_0
	v_cmp_lt_i32_e64 s[18:19], v54, v26
	s_or_b64 s[20:21], s[20:21], s[22:23]
	s_and_b64 s[18:19], s[18:19], s[20:21]
	s_xor_b64 s[20:21], s[18:19], -1
                                        ; implicit-def: $vgpr52
	s_and_saveexec_b64 s[22:23], s[20:21]
	s_xor_b64 s[20:21], exec, s[22:23]
	s_cbranch_execz .LBB48_152
; %bb.151:                              ;   in Loop: Header=BB48_2 Depth=1
	ds_read_u8 v52, v55 offset:1
.LBB48_152:                             ;   in Loop: Header=BB48_2 Depth=1
	s_or_saveexec_b64 s[20:21], s[20:21]
	v_mov_b32_e32 v53, v51
	s_xor_b64 exec, exec, s[20:21]
	s_cbranch_execz .LBB48_154
; %bb.153:                              ;   in Loop: Header=BB48_2 Depth=1
	ds_read_u8 v53, v54 offset:1
	s_waitcnt lgkmcnt(1)
	v_mov_b32_e32 v52, v50
.LBB48_154:                             ;   in Loop: Header=BB48_2 Depth=1
	s_or_b64 exec, exec, s[20:21]
	v_add_u32_e32 v57, 1, v55
	v_add_u32_e32 v56, 1, v54
	v_cndmask_b32_e64 v58, v57, v55, s[18:19]
	v_cndmask_b32_e64 v56, v54, v56, s[18:19]
	v_cmp_ge_i32_e64 s[22:23], v58, v25
	s_waitcnt lgkmcnt(0)
	v_cmp_lt_i16_sdwa s[24:25], sext(v53), sext(v52) src0_sel:BYTE_0 src1_sel:BYTE_0
	v_cmp_lt_i32_e64 s[20:21], v56, v26
	s_or_b64 s[22:23], s[22:23], s[24:25]
	s_and_b64 s[20:21], s[20:21], s[22:23]
	s_xor_b64 s[22:23], s[20:21], -1
                                        ; implicit-def: $vgpr54
	s_and_saveexec_b64 s[24:25], s[22:23]
	s_xor_b64 s[22:23], exec, s[24:25]
	s_cbranch_execz .LBB48_156
; %bb.155:                              ;   in Loop: Header=BB48_2 Depth=1
	ds_read_u8 v54, v58 offset:1
.LBB48_156:                             ;   in Loop: Header=BB48_2 Depth=1
	s_or_saveexec_b64 s[22:23], s[22:23]
	v_mov_b32_e32 v55, v53
	s_xor_b64 exec, exec, s[22:23]
	s_cbranch_execz .LBB48_158
; %bb.157:                              ;   in Loop: Header=BB48_2 Depth=1
	ds_read_u8 v55, v56 offset:1
	s_waitcnt lgkmcnt(1)
	v_mov_b32_e32 v54, v52
.LBB48_158:                             ;   in Loop: Header=BB48_2 Depth=1
	s_or_b64 exec, exec, s[22:23]
	v_add_u32_e32 v59, 1, v58
	v_add_u32_e32 v57, 1, v56
	v_cndmask_b32_e64 v58, v59, v58, s[20:21]
	v_cndmask_b32_e64 v57, v56, v57, s[20:21]
	v_cmp_ge_i32_e64 s[24:25], v58, v25
	s_waitcnt lgkmcnt(0)
	v_cmp_lt_i16_sdwa s[40:41], sext(v55), sext(v54) src0_sel:BYTE_0 src1_sel:BYTE_0
	v_cmp_lt_i32_e64 s[22:23], v57, v26
	s_or_b64 s[24:25], s[24:25], s[40:41]
	s_and_b64 s[22:23], s[22:23], s[24:25]
	s_xor_b64 s[24:25], s[22:23], -1
                                        ; implicit-def: $vgpr56
	s_and_saveexec_b64 s[40:41], s[24:25]
	s_xor_b64 s[24:25], exec, s[40:41]
	s_cbranch_execz .LBB48_160
; %bb.159:                              ;   in Loop: Header=BB48_2 Depth=1
	ds_read_u8 v56, v58 offset:1
.LBB48_160:                             ;   in Loop: Header=BB48_2 Depth=1
	s_or_saveexec_b64 s[24:25], s[24:25]
	v_mov_b32_e32 v59, v55
	s_xor_b64 exec, exec, s[24:25]
	s_cbranch_execz .LBB48_162
; %bb.161:                              ;   in Loop: Header=BB48_2 Depth=1
	ds_read_u8 v59, v57 offset:1
	s_waitcnt lgkmcnt(1)
	v_mov_b32_e32 v56, v54
.LBB48_162:                             ;   in Loop: Header=BB48_2 Depth=1
	s_or_b64 exec, exec, s[24:25]
	v_cndmask_b32_e64 v54, v54, v55, s[22:23]
	v_add_u32_e32 v55, 1, v57
	v_add_u32_e32 v60, 1, v58
	v_cndmask_b32_e64 v55, v57, v55, s[22:23]
	v_cndmask_b32_e64 v57, v60, v58, s[22:23]
	v_cndmask_b32_e64 v46, v46, v47, s[14:15]
	v_cndmask_b32_e64 v44, v44, v45, s[12:13]
	v_cmp_ge_i32_e64 s[12:13], v57, v25
	s_waitcnt lgkmcnt(0)
	v_cmp_lt_i16_sdwa s[14:15], sext(v59), sext(v56) src0_sel:BYTE_0 src1_sel:BYTE_0
	v_cndmask_b32_e64 v48, v48, v49, s[16:17]
	v_cndmask_b32_e64 v42, v42, v43, s[10:11]
	v_cmp_lt_i32_e64 s[10:11], v55, v26
	s_or_b64 s[12:13], s[12:13], s[14:15]
	v_lshlrev_b16_e32 v44, 8, v44
	s_and_b64 s[10:11], s[10:11], s[12:13]
	v_or_b32_sdwa v42, v42, v44 dst_sel:DWORD dst_unused:UNUSED_PAD src0_sel:BYTE_0 src1_sel:DWORD
	v_lshlrev_b16_e32 v44, 8, v48
	v_cndmask_b32_e64 v52, v52, v53, s[20:21]
	v_cndmask_b32_e64 v43, v56, v59, s[10:11]
	v_or_b32_sdwa v44, v46, v44 dst_sel:WORD_1 dst_unused:UNUSED_PAD src0_sel:BYTE_0 src1_sel:DWORD
	v_cndmask_b32_e64 v50, v50, v51, s[18:19]
	v_or_b32_sdwa v42, v42, v44 dst_sel:DWORD dst_unused:UNUSED_PAD src0_sel:WORD_0 src1_sel:DWORD
	v_lshlrev_b16_e32 v44, 8, v52
	v_lshlrev_b16_e32 v43, 8, v43
	v_or_b32_sdwa v44, v50, v44 dst_sel:DWORD dst_unused:UNUSED_PAD src0_sel:BYTE_0 src1_sel:DWORD
	v_or_b32_sdwa v43, v54, v43 dst_sel:WORD_1 dst_unused:UNUSED_PAD src0_sel:BYTE_0 src1_sel:DWORD
	v_mov_b32_e32 v46, v14
	v_or_b32_sdwa v43, v44, v43 dst_sel:DWORD dst_unused:UNUSED_PAD src0_sel:WORD_0 src1_sel:DWORD
	s_waitcnt lgkmcnt(0)
	; wave barrier
	ds_write_b64 v3, v[42:43]
	s_waitcnt lgkmcnt(0)
	; wave barrier
	s_waitcnt lgkmcnt(0)
	s_and_saveexec_b64 s[12:13], vcc
	s_cbranch_execz .LBB48_166
; %bb.163:                              ;   in Loop: Header=BB48_2 Depth=1
	s_mov_b64 s[14:15], 0
	v_mov_b32_e32 v46, v14
	v_mov_b32_e32 v42, v15
.LBB48_164:                             ;   Parent Loop BB48_2 Depth=1
                                        ; =>  This Inner Loop Header: Depth=2
	v_sub_u32_e32 v43, v42, v46
	v_lshrrev_b32_e32 v44, 31, v43
	v_add_u32_e32 v43, v43, v44
	v_ashrrev_i32_e32 v43, 1, v43
	v_add_u32_e32 v43, v43, v46
	v_not_b32_e32 v44, v43
	v_add3_u32 v44, v3, v44, v2
	ds_read_i8 v45, v43
	ds_read_i8 v44, v44
	v_add_u32_e32 v47, 1, v43
	s_waitcnt lgkmcnt(0)
	v_cmp_lt_i16_e64 s[10:11], v44, v45
	s_nop 1
	v_cndmask_b32_e64 v42, v42, v43, s[10:11]
	v_cndmask_b32_e64 v46, v47, v46, s[10:11]
	v_cmp_ge_i32_e64 s[10:11], v46, v42
	s_or_b64 s[14:15], s[10:11], s[14:15]
	s_andn2_b64 exec, exec, s[14:15]
	s_cbranch_execnz .LBB48_164
; %bb.165:                              ;   in Loop: Header=BB48_2 Depth=1
	s_or_b64 exec, exec, s[14:15]
.LBB48_166:                             ;   in Loop: Header=BB48_2 Depth=1
	s_or_b64 exec, exec, s[12:13]
	v_sub_u32_e32 v47, v16, v46
	ds_read_u8 v42, v46
	ds_read_u8 v43, v47
	v_cmp_le_i32_e64 s[12:13], v2, v46
	v_cmp_gt_i32_e64 s[10:11], s39, v47
                                        ; implicit-def: $vgpr44
	s_waitcnt lgkmcnt(1)
	v_bfe_i32 v42, v42, 0, 8
	s_waitcnt lgkmcnt(0)
	v_bfe_i32 v43, v43, 0, 8
	v_cmp_lt_i16_e64 s[14:15], v43, v42
	s_or_b64 s[12:13], s[12:13], s[14:15]
	s_and_b64 s[10:11], s[10:11], s[12:13]
	s_xor_b64 s[12:13], s[10:11], -1
	s_and_saveexec_b64 s[14:15], s[12:13]
	s_xor_b64 s[12:13], exec, s[14:15]
	s_cbranch_execz .LBB48_168
; %bb.167:                              ;   in Loop: Header=BB48_2 Depth=1
	ds_read_u8 v44, v46 offset:1
.LBB48_168:                             ;   in Loop: Header=BB48_2 Depth=1
	s_or_saveexec_b64 s[12:13], s[12:13]
	v_mov_b32_e32 v45, v43
	s_xor_b64 exec, exec, s[12:13]
	s_cbranch_execz .LBB48_170
; %bb.169:                              ;   in Loop: Header=BB48_2 Depth=1
	ds_read_u8 v45, v47 offset:1
	s_waitcnt lgkmcnt(1)
	v_mov_b32_e32 v44, v42
.LBB48_170:                             ;   in Loop: Header=BB48_2 Depth=1
	s_or_b64 exec, exec, s[12:13]
	v_add_u32_e32 v49, 1, v46
	v_add_u32_e32 v48, 1, v47
	v_cndmask_b32_e64 v49, v49, v46, s[10:11]
	v_cndmask_b32_e64 v48, v47, v48, s[10:11]
	v_cmp_ge_i32_e64 s[14:15], v49, v2
	s_waitcnt lgkmcnt(0)
	v_cmp_lt_i16_sdwa s[16:17], sext(v45), sext(v44) src0_sel:BYTE_0 src1_sel:BYTE_0
	v_cmp_gt_i32_e64 s[12:13], s39, v48
	s_or_b64 s[14:15], s[14:15], s[16:17]
	s_and_b64 s[12:13], s[12:13], s[14:15]
	s_xor_b64 s[14:15], s[12:13], -1
                                        ; implicit-def: $vgpr46
	s_and_saveexec_b64 s[16:17], s[14:15]
	s_xor_b64 s[14:15], exec, s[16:17]
	s_cbranch_execz .LBB48_172
; %bb.171:                              ;   in Loop: Header=BB48_2 Depth=1
	ds_read_u8 v46, v49 offset:1
.LBB48_172:                             ;   in Loop: Header=BB48_2 Depth=1
	s_or_saveexec_b64 s[14:15], s[14:15]
	v_mov_b32_e32 v47, v45
	s_xor_b64 exec, exec, s[14:15]
	s_cbranch_execz .LBB48_174
; %bb.173:                              ;   in Loop: Header=BB48_2 Depth=1
	ds_read_u8 v47, v48 offset:1
	s_waitcnt lgkmcnt(1)
	v_mov_b32_e32 v46, v44
.LBB48_174:                             ;   in Loop: Header=BB48_2 Depth=1
	s_or_b64 exec, exec, s[14:15]
	v_add_u32_e32 v51, 1, v49
	v_add_u32_e32 v50, 1, v48
	v_cndmask_b32_e64 v51, v51, v49, s[12:13]
	v_cndmask_b32_e64 v50, v48, v50, s[12:13]
	v_cmp_ge_i32_e64 s[16:17], v51, v2
	s_waitcnt lgkmcnt(0)
	v_cmp_lt_i16_sdwa s[18:19], sext(v47), sext(v46) src0_sel:BYTE_0 src1_sel:BYTE_0
	v_cmp_gt_i32_e64 s[14:15], s39, v50
	s_or_b64 s[16:17], s[16:17], s[18:19]
	s_and_b64 s[14:15], s[14:15], s[16:17]
	s_xor_b64 s[16:17], s[14:15], -1
                                        ; implicit-def: $vgpr48
	s_and_saveexec_b64 s[18:19], s[16:17]
	s_xor_b64 s[16:17], exec, s[18:19]
	s_cbranch_execz .LBB48_176
; %bb.175:                              ;   in Loop: Header=BB48_2 Depth=1
	ds_read_u8 v48, v51 offset:1
.LBB48_176:                             ;   in Loop: Header=BB48_2 Depth=1
	s_or_saveexec_b64 s[16:17], s[16:17]
	v_mov_b32_e32 v49, v47
	s_xor_b64 exec, exec, s[16:17]
	s_cbranch_execz .LBB48_178
; %bb.177:                              ;   in Loop: Header=BB48_2 Depth=1
	ds_read_u8 v49, v50 offset:1
	s_waitcnt lgkmcnt(1)
	v_mov_b32_e32 v48, v46
.LBB48_178:                             ;   in Loop: Header=BB48_2 Depth=1
	s_or_b64 exec, exec, s[16:17]
	v_add_u32_e32 v53, 1, v51
	v_add_u32_e32 v52, 1, v50
	v_cndmask_b32_e64 v53, v53, v51, s[14:15]
	v_cndmask_b32_e64 v52, v50, v52, s[14:15]
	v_cmp_ge_i32_e64 s[18:19], v53, v2
	s_waitcnt lgkmcnt(0)
	v_cmp_lt_i16_sdwa s[20:21], sext(v49), sext(v48) src0_sel:BYTE_0 src1_sel:BYTE_0
	v_cmp_gt_i32_e64 s[16:17], s39, v52
	s_or_b64 s[18:19], s[18:19], s[20:21]
	s_and_b64 s[16:17], s[16:17], s[18:19]
	s_xor_b64 s[18:19], s[16:17], -1
                                        ; implicit-def: $vgpr50
	s_and_saveexec_b64 s[20:21], s[18:19]
	s_xor_b64 s[18:19], exec, s[20:21]
	s_cbranch_execz .LBB48_180
; %bb.179:                              ;   in Loop: Header=BB48_2 Depth=1
	ds_read_u8 v50, v53 offset:1
.LBB48_180:                             ;   in Loop: Header=BB48_2 Depth=1
	s_or_saveexec_b64 s[18:19], s[18:19]
	v_mov_b32_e32 v51, v49
	s_xor_b64 exec, exec, s[18:19]
	s_cbranch_execz .LBB48_182
; %bb.181:                              ;   in Loop: Header=BB48_2 Depth=1
	ds_read_u8 v51, v52 offset:1
	s_waitcnt lgkmcnt(1)
	v_mov_b32_e32 v50, v48
.LBB48_182:                             ;   in Loop: Header=BB48_2 Depth=1
	s_or_b64 exec, exec, s[18:19]
	v_add_u32_e32 v55, 1, v53
	v_add_u32_e32 v54, 1, v52
	v_cndmask_b32_e64 v55, v55, v53, s[16:17]
	v_cndmask_b32_e64 v54, v52, v54, s[16:17]
	v_cmp_ge_i32_e64 s[20:21], v55, v2
	s_waitcnt lgkmcnt(0)
	v_cmp_lt_i16_sdwa s[22:23], sext(v51), sext(v50) src0_sel:BYTE_0 src1_sel:BYTE_0
	v_cmp_gt_i32_e64 s[18:19], s39, v54
	s_or_b64 s[20:21], s[20:21], s[22:23]
	s_and_b64 s[18:19], s[18:19], s[20:21]
	s_xor_b64 s[20:21], s[18:19], -1
                                        ; implicit-def: $vgpr52
	s_and_saveexec_b64 s[22:23], s[20:21]
	s_xor_b64 s[20:21], exec, s[22:23]
	s_cbranch_execz .LBB48_184
; %bb.183:                              ;   in Loop: Header=BB48_2 Depth=1
	ds_read_u8 v52, v55 offset:1
.LBB48_184:                             ;   in Loop: Header=BB48_2 Depth=1
	s_or_saveexec_b64 s[20:21], s[20:21]
	v_mov_b32_e32 v53, v51
	s_xor_b64 exec, exec, s[20:21]
	s_cbranch_execz .LBB48_186
; %bb.185:                              ;   in Loop: Header=BB48_2 Depth=1
	ds_read_u8 v53, v54 offset:1
	s_waitcnt lgkmcnt(1)
	v_mov_b32_e32 v52, v50
.LBB48_186:                             ;   in Loop: Header=BB48_2 Depth=1
	s_or_b64 exec, exec, s[20:21]
	v_add_u32_e32 v57, 1, v55
	v_add_u32_e32 v56, 1, v54
	v_cndmask_b32_e64 v57, v57, v55, s[18:19]
	v_cndmask_b32_e64 v56, v54, v56, s[18:19]
	v_cmp_ge_i32_e64 s[22:23], v57, v2
	s_waitcnt lgkmcnt(0)
	v_cmp_lt_i16_sdwa s[24:25], sext(v53), sext(v52) src0_sel:BYTE_0 src1_sel:BYTE_0
	v_cmp_gt_i32_e64 s[20:21], s39, v56
	s_or_b64 s[22:23], s[22:23], s[24:25]
	s_and_b64 s[20:21], s[20:21], s[22:23]
	s_xor_b64 s[22:23], s[20:21], -1
                                        ; implicit-def: $vgpr54
	s_and_saveexec_b64 s[24:25], s[22:23]
	s_xor_b64 s[22:23], exec, s[24:25]
	s_cbranch_execz .LBB48_188
; %bb.187:                              ;   in Loop: Header=BB48_2 Depth=1
	ds_read_u8 v54, v57 offset:1
.LBB48_188:                             ;   in Loop: Header=BB48_2 Depth=1
	s_or_saveexec_b64 s[22:23], s[22:23]
	v_mov_b32_e32 v55, v53
	s_xor_b64 exec, exec, s[22:23]
	s_cbranch_execz .LBB48_190
; %bb.189:                              ;   in Loop: Header=BB48_2 Depth=1
	ds_read_u8 v55, v56 offset:1
	s_waitcnt lgkmcnt(1)
	v_mov_b32_e32 v54, v52
.LBB48_190:                             ;   in Loop: Header=BB48_2 Depth=1
	s_or_b64 exec, exec, s[22:23]
	v_add_u32_e32 v59, 1, v57
	v_add_u32_e32 v58, 1, v56
	v_cndmask_b32_e64 v59, v59, v57, s[20:21]
	v_cndmask_b32_e64 v56, v56, v58, s[20:21]
	v_cmp_ge_i32_e64 s[24:25], v59, v2
	s_waitcnt lgkmcnt(0)
	v_cmp_lt_i16_sdwa s[40:41], sext(v55), sext(v54) src0_sel:BYTE_0 src1_sel:BYTE_0
	v_cmp_gt_i32_e64 s[22:23], s39, v56
	s_or_b64 s[24:25], s[24:25], s[40:41]
	s_and_b64 s[22:23], s[22:23], s[24:25]
	s_xor_b64 s[24:25], s[22:23], -1
                                        ; implicit-def: $vgpr57
                                        ; implicit-def: $vgpr58
	s_and_saveexec_b64 s[40:41], s[24:25]
	s_xor_b64 s[24:25], exec, s[40:41]
	s_cbranch_execz .LBB48_192
; %bb.191:                              ;   in Loop: Header=BB48_2 Depth=1
	ds_read_u8 v57, v59 offset:1
	v_add_u32_e32 v58, 1, v59
                                        ; implicit-def: $vgpr59
.LBB48_192:                             ;   in Loop: Header=BB48_2 Depth=1
	s_or_saveexec_b64 s[24:25], s[24:25]
	v_mov_b32_e32 v60, v55
	s_xor_b64 exec, exec, s[24:25]
	s_cbranch_execz .LBB48_1
; %bb.193:                              ;   in Loop: Header=BB48_2 Depth=1
	ds_read_u8 v60, v56 offset:1
	v_add_u32_e32 v56, 1, v56
	v_mov_b32_e32 v58, v59
	s_waitcnt lgkmcnt(1)
	v_mov_b32_e32 v57, v54
	s_branch .LBB48_1
.LBB48_194:
	s_add_u32 s0, s26, s28
	s_addc_u32 s1, s27, 0
	v_lshl_add_u64 v[0:1], s[0:1], 0, v[0:1]
	global_store_byte v[0:1], v59, off
	global_store_byte v[0:1], v44, off offset:64
	global_store_byte v[0:1], v45, off offset:128
	;; [unrolled: 1-line block ×7, first 2 shown]
	s_endpgm
	.section	.rodata,"a",@progbits
	.p2align	6, 0x0
	.amdhsa_kernel _Z16sort_keys_kernelIaLj64ELj8EN10test_utils4lessELj10EEvPKT_PS2_T2_
		.amdhsa_group_segment_fixed_size 513
		.amdhsa_private_segment_fixed_size 0
		.amdhsa_kernarg_size 20
		.amdhsa_user_sgpr_count 2
		.amdhsa_user_sgpr_dispatch_ptr 0
		.amdhsa_user_sgpr_queue_ptr 0
		.amdhsa_user_sgpr_kernarg_segment_ptr 1
		.amdhsa_user_sgpr_dispatch_id 0
		.amdhsa_user_sgpr_kernarg_preload_length 0
		.amdhsa_user_sgpr_kernarg_preload_offset 0
		.amdhsa_user_sgpr_private_segment_size 0
		.amdhsa_uses_dynamic_stack 0
		.amdhsa_enable_private_segment 0
		.amdhsa_system_sgpr_workgroup_id_x 1
		.amdhsa_system_sgpr_workgroup_id_y 0
		.amdhsa_system_sgpr_workgroup_id_z 0
		.amdhsa_system_sgpr_workgroup_info 0
		.amdhsa_system_vgpr_workitem_id 0
		.amdhsa_next_free_vgpr 61
		.amdhsa_next_free_sgpr 42
		.amdhsa_accum_offset 64
		.amdhsa_reserve_vcc 1
		.amdhsa_float_round_mode_32 0
		.amdhsa_float_round_mode_16_64 0
		.amdhsa_float_denorm_mode_32 3
		.amdhsa_float_denorm_mode_16_64 3
		.amdhsa_dx10_clamp 1
		.amdhsa_ieee_mode 1
		.amdhsa_fp16_overflow 0
		.amdhsa_tg_split 0
		.amdhsa_exception_fp_ieee_invalid_op 0
		.amdhsa_exception_fp_denorm_src 0
		.amdhsa_exception_fp_ieee_div_zero 0
		.amdhsa_exception_fp_ieee_overflow 0
		.amdhsa_exception_fp_ieee_underflow 0
		.amdhsa_exception_fp_ieee_inexact 0
		.amdhsa_exception_int_div_zero 0
	.end_amdhsa_kernel
	.section	.text._Z16sort_keys_kernelIaLj64ELj8EN10test_utils4lessELj10EEvPKT_PS2_T2_,"axG",@progbits,_Z16sort_keys_kernelIaLj64ELj8EN10test_utils4lessELj10EEvPKT_PS2_T2_,comdat
.Lfunc_end48:
	.size	_Z16sort_keys_kernelIaLj64ELj8EN10test_utils4lessELj10EEvPKT_PS2_T2_, .Lfunc_end48-_Z16sort_keys_kernelIaLj64ELj8EN10test_utils4lessELj10EEvPKT_PS2_T2_
                                        ; -- End function
	.section	.AMDGPU.csdata,"",@progbits
; Kernel info:
; codeLenInByte = 9488
; NumSgprs: 48
; NumVgprs: 61
; NumAgprs: 0
; TotalNumVgprs: 61
; ScratchSize: 0
; MemoryBound: 0
; FloatMode: 240
; IeeeMode: 1
; LDSByteSize: 513 bytes/workgroup (compile time only)
; SGPRBlocks: 5
; VGPRBlocks: 7
; NumSGPRsForWavesPerEU: 48
; NumVGPRsForWavesPerEU: 61
; AccumOffset: 64
; Occupancy: 8
; WaveLimiterHint : 0
; COMPUTE_PGM_RSRC2:SCRATCH_EN: 0
; COMPUTE_PGM_RSRC2:USER_SGPR: 2
; COMPUTE_PGM_RSRC2:TRAP_HANDLER: 0
; COMPUTE_PGM_RSRC2:TGID_X_EN: 1
; COMPUTE_PGM_RSRC2:TGID_Y_EN: 0
; COMPUTE_PGM_RSRC2:TGID_Z_EN: 0
; COMPUTE_PGM_RSRC2:TIDIG_COMP_CNT: 0
; COMPUTE_PGM_RSRC3_GFX90A:ACCUM_OFFSET: 15
; COMPUTE_PGM_RSRC3_GFX90A:TG_SPLIT: 0
	.section	.text._Z17sort_pairs_kernelIaLj64ELj8EN10test_utils4lessELj10EEvPKT_PS2_T2_,"axG",@progbits,_Z17sort_pairs_kernelIaLj64ELj8EN10test_utils4lessELj10EEvPKT_PS2_T2_,comdat
	.protected	_Z17sort_pairs_kernelIaLj64ELj8EN10test_utils4lessELj10EEvPKT_PS2_T2_ ; -- Begin function _Z17sort_pairs_kernelIaLj64ELj8EN10test_utils4lessELj10EEvPKT_PS2_T2_
	.globl	_Z17sort_pairs_kernelIaLj64ELj8EN10test_utils4lessELj10EEvPKT_PS2_T2_
	.p2align	8
	.type	_Z17sort_pairs_kernelIaLj64ELj8EN10test_utils4lessELj10EEvPKT_PS2_T2_,@function
_Z17sort_pairs_kernelIaLj64ELj8EN10test_utils4lessELj10EEvPKT_PS2_T2_: ; @_Z17sort_pairs_kernelIaLj64ELj8EN10test_utils4lessELj10EEvPKT_PS2_T2_
; %bb.0:
	s_load_dwordx4 s[84:87], s[0:1], 0x0
	s_lshl_b32 s33, s2, 9
	v_lshlrev_b32_e32 v3, 3, v0
	v_and_b32_e32 v4, 0x1f0, v3
	v_and_b32_e32 v6, 0x1e0, v3
	s_waitcnt lgkmcnt(0)
	s_add_u32 s0, s84, s33
	s_addc_u32 s1, s85, 0
	global_load_ubyte v42, v0, s[0:1]
	global_load_ubyte v43, v0, s[0:1] offset:128
	global_load_ubyte v44, v0, s[0:1] offset:256
	global_load_ubyte v46, v0, s[0:1] offset:384
	global_load_ubyte v45, v0, s[0:1] offset:64
	global_load_ubyte v47, v0, s[0:1] offset:192
	global_load_ubyte v48, v0, s[0:1] offset:320
	global_load_ubyte v49, v0, s[0:1] offset:448
	v_or_b32_e32 v17, 8, v4
	v_add_u32_e32 v18, 16, v4
	v_and_b32_e32 v5, 8, v3
	v_and_b32_e32 v8, 0x1c0, v3
	v_or_b32_e32 v19, 16, v6
	v_add_u32_e32 v20, 32, v6
	v_sub_u32_e32 v37, v18, v17
	v_and_b32_e32 v7, 24, v3
	v_and_b32_e32 v10, 0x180, v3
	v_or_b32_e32 v21, 32, v8
	v_add_u32_e32 v22, 64, v8
	v_sub_u32_e32 v38, v20, v19
	v_sub_u32_e32 v50, v5, v37
	v_cmp_ge_i32_e64 s[0:1], v5, v37
	v_and_b32_e32 v9, 56, v3
	v_and_b32_e32 v12, 0x100, v3
	v_or_b32_e32 v23, 64, v10
	v_add_u32_e32 v24, 0x80, v10
	v_sub_u32_e32 v39, v22, v21
	v_sub_u32_e32 v51, v7, v38
	v_cndmask_b32_e64 v37, 0, v50, s[0:1]
	v_cmp_ge_i32_e64 s[0:1], v7, v38
	v_and_b32_e32 v11, 0x78, v3
	v_or_b32_e32 v25, 0x80, v12
	v_add_u32_e32 v26, 0x100, v12
	v_sub_u32_e32 v40, v24, v23
	v_sub_u32_e32 v52, v9, v39
	v_cndmask_b32_e64 v38, 0, v51, s[0:1]
	v_cmp_ge_i32_e64 s[0:1], v9, v39
	v_and_b32_e32 v13, 0xf8, v3
	v_sub_u32_e32 v41, v26, v25
	v_sub_u32_e32 v53, v11, v40
	v_cndmask_b32_e64 v39, 0, v52, s[0:1]
	v_cmp_ge_i32_e64 s[0:1], v11, v40
	v_sub_u32_e32 v54, v13, v41
	s_movk_i32 s10, 0x100
	v_cndmask_b32_e64 v40, 0, v53, s[0:1]
	v_cmp_ge_i32_e64 s[0:1], v13, v41
	v_mov_b32_e32 v2, 0x100
	v_sub_u32_e32 v32, v17, v4
	v_cndmask_b32_e64 v41, 0, v54, s[0:1]
	v_sub_u32_e32 v33, v19, v6
	v_sub_u32_e32 v34, v21, v8
	;; [unrolled: 1-line block ×4, first 2 shown]
	v_sub_u32_e64 v14, v3, v2 clamp
	v_min_i32_e32 v15, 0x100, v3
	v_min_i32_e32 v32, v5, v32
	;; [unrolled: 1-line block ×6, first 2 shown]
	s_mov_b32 s84, 0
	v_mov_b32_e32 v1, 0
	s_mov_b32 s85, 0xffff
	v_add_u32_e32 v16, 0x100, v3
	v_cmp_lt_i32_e32 vcc, v14, v15
	v_add_u32_e32 v27, v17, v5
	v_add_u32_e32 v28, v19, v7
	;; [unrolled: 1-line block ×5, first 2 shown]
	v_cmp_lt_i32_e64 s[0:1], v37, v32
	v_cmp_lt_i32_e64 s[2:3], v38, v33
	;; [unrolled: 1-line block ×5, first 2 shown]
	s_movk_i32 s88, 0xff
	s_mov_b32 s89, 0x7060405
	s_mov_b32 s90, 0xc0c0001
	s_mov_b32 s91, 0x6070504
	s_mov_b32 s92, 0x7050604
	s_waitcnt vmcnt(7)
	v_add_u16_e32 v50, 1, v42
	s_waitcnt vmcnt(6)
	v_add_u16_e32 v51, 1, v43
	;; [unrolled: 2-line block ×4, first 2 shown]
	s_waitcnt vmcnt(3)
	v_lshlrev_b16_e32 v54, 8, v45
	s_waitcnt vmcnt(2)
	v_lshlrev_b16_e32 v47, 8, v47
	v_or_b32_e32 v42, v42, v54
	v_or_b32_sdwa v43, v43, v47 dst_sel:WORD_1 dst_unused:UNUSED_PAD src0_sel:DWORD src1_sel:DWORD
	s_mov_b32 s93, 0x3020107
	v_or_b32_sdwa v45, v42, v43 dst_sel:DWORD dst_unused:UNUSED_PAD src0_sel:WORD_0 src1_sel:DWORD
	s_waitcnt vmcnt(1)
	v_lshlrev_b16_e32 v43, 8, v48
	s_waitcnt vmcnt(0)
	v_lshlrev_b16_e32 v48, 8, v49
	v_or_b32_e32 v42, v44, v43
	v_or_b32_sdwa v44, v46, v48 dst_sel:WORD_1 dst_unused:UNUSED_PAD src0_sel:DWORD src1_sel:DWORD
	v_or_b32_sdwa v46, v47, v51 dst_sel:DWORD dst_unused:UNUSED_PAD src0_sel:DWORD src1_sel:BYTE_0
	v_or_b32_sdwa v44, v42, v44 dst_sel:DWORD dst_unused:UNUSED_PAD src0_sel:WORD_0 src1_sel:DWORD
	v_or_b32_sdwa v42, v54, v50 dst_sel:DWORD dst_unused:UNUSED_PAD src0_sel:DWORD src1_sel:BYTE_0
	v_add_u16_e32 v42, 0x100, v42
	v_add_u16_sdwa v46, v46, s10 dst_sel:WORD_1 dst_unused:UNUSED_PAD src0_sel:DWORD src1_sel:DWORD
	v_or_b32_sdwa v43, v43, v52 dst_sel:DWORD dst_unused:UNUSED_PAD src0_sel:DWORD src1_sel:BYTE_0
	v_or_b32_e32 v42, v42, v46
	v_or_b32_sdwa v46, v48, v53 dst_sel:DWORD dst_unused:UNUSED_PAD src0_sel:DWORD src1_sel:BYTE_0
	v_add_u16_e32 v43, 0x100, v43
	v_add_u16_sdwa v46, v46, s10 dst_sel:WORD_1 dst_unused:UNUSED_PAD src0_sel:DWORD src1_sel:DWORD
	s_mov_b32 s94, 0xffff0000
	v_or_b32_e32 v43, v43, v46
	s_movk_i32 s95, 0x200
	s_branch .LBB49_2
.LBB49_1:                               ;   in Loop: Header=BB49_2 Depth=1
	s_or_b64 exec, exec, s[24:25]
	v_cndmask_b32_e64 v52, v52, v53, s[10:11]
	v_cndmask_b32_e64 v53, v54, v55, s[12:13]
	;; [unrolled: 1-line block ×5, first 2 shown]
	v_cmp_ge_i32_e64 s[12:13], v78, v2
	s_waitcnt lgkmcnt(0)
	v_cmp_lt_i16_sdwa s[14:15], sext(v81), sext(v79) src0_sel:BYTE_0 src1_sel:BYTE_0
	v_lshlrev_b16_e32 v44, 8, v44
	v_cndmask_b32_e64 v51, v50, v51, s[10:11]
	v_cmp_gt_i32_e64 s[10:11], s95, v76
	s_or_b64 s[12:13], s[12:13], s[14:15]
	v_lshlrev_b16_e32 v49, 8, v49
	v_lshlrev_b16_e32 v46, 8, v46
	v_or_b32_sdwa v42, v42, v44 dst_sel:DWORD dst_unused:UNUSED_PAD src0_sel:BYTE_0 src1_sel:DWORD
	v_lshlrev_b16_e32 v44, 8, v45
	v_cndmask_b32_e64 v55, v62, v63, s[16:17]
	s_and_b64 s[10:11], s[10:11], s[12:13]
	v_or_b32_sdwa v47, v47, v49 dst_sel:DWORD dst_unused:UNUSED_PAD src0_sel:BYTE_0 src1_sel:DWORD
	v_or_b32_sdwa v46, v48, v46 dst_sel:WORD_1 dst_unused:UNUSED_PAD src0_sel:BYTE_0 src1_sel:DWORD
	v_or_b32_sdwa v43, v43, v44 dst_sel:WORD_1 dst_unused:UNUSED_PAD src0_sel:BYTE_0 src1_sel:DWORD
	v_cndmask_b32_e64 v57, v78, v76, s[10:11]
	v_or_b32_sdwa v47, v47, v46 dst_sel:DWORD dst_unused:UNUSED_PAD src0_sel:WORD_0 src1_sel:DWORD
	v_or_b32_sdwa v46, v42, v43 dst_sel:DWORD dst_unused:UNUSED_PAD src0_sel:WORD_0 src1_sel:DWORD
	v_lshlrev_b16_e32 v42, 8, v53
	v_lshlrev_b16_e32 v43, 8, v55
	v_cndmask_b32_e64 v58, v66, v67, s[18:19]
	v_cndmask_b32_e64 v59, v70, v71, s[20:21]
	;; [unrolled: 1-line block ×6, first 2 shown]
	s_waitcnt lgkmcnt(0)
	; wave barrier
	ds_write_b64 v3, v[46:47]
	s_waitcnt lgkmcnt(0)
	; wave barrier
	s_waitcnt lgkmcnt(0)
	ds_read_u8 v46, v77
	ds_read_u8 v47, v57
	;; [unrolled: 1-line block ×8, first 2 shown]
	v_or_b32_sdwa v42, v52, v42 dst_sel:DWORD dst_unused:UNUSED_PAD src0_sel:BYTE_0 src1_sel:DWORD
	v_or_b32_sdwa v43, v54, v43 dst_sel:WORD_1 dst_unused:UNUSED_PAD src0_sel:BYTE_0 src1_sel:DWORD
	v_cndmask_b32_e64 v62, v74, v75, s[22:23]
	v_or_b32_sdwa v45, v42, v43 dst_sel:DWORD dst_unused:UNUSED_PAD src0_sel:WORD_0 src1_sel:DWORD
	v_lshlrev_b16_e32 v42, 8, v59
	v_lshlrev_b16_e32 v43, 8, v50
	v_or_b32_sdwa v42, v58, v42 dst_sel:DWORD dst_unused:UNUSED_PAD src0_sel:BYTE_0 src1_sel:DWORD
	v_or_b32_sdwa v43, v62, v43 dst_sel:WORD_1 dst_unused:UNUSED_PAD src0_sel:BYTE_0 src1_sel:DWORD
	s_waitcnt lgkmcnt(6)
	v_lshlrev_b16_e32 v61, 8, v47
	v_or_b32_sdwa v44, v42, v43 dst_sel:DWORD dst_unused:UNUSED_PAD src0_sel:WORD_0 src1_sel:DWORD
	s_waitcnt lgkmcnt(4)
	v_lshlrev_b16_e32 v42, 8, v49
	s_waitcnt lgkmcnt(2)
	v_lshlrev_b16_e32 v43, 8, v56
	v_or_b32_e32 v42, v48, v42
	v_or_b32_sdwa v43, v51, v43 dst_sel:WORD_1 dst_unused:UNUSED_PAD src0_sel:DWORD src1_sel:DWORD
	s_add_i32 s84, s84, 1
	v_or_b32_sdwa v42, v42, v43 dst_sel:DWORD dst_unused:UNUSED_PAD src0_sel:WORD_0 src1_sel:DWORD
	s_waitcnt lgkmcnt(0)
	v_lshlrev_b16_e32 v43, 8, v60
	v_or_b32_e32 v43, v57, v43
	v_or_b32_sdwa v61, v46, v61 dst_sel:WORD_1 dst_unused:UNUSED_PAD src0_sel:DWORD src1_sel:DWORD
	s_cmp_eq_u32 s84, 10
	v_or_b32_sdwa v43, v43, v61 dst_sel:DWORD dst_unused:UNUSED_PAD src0_sel:WORD_0 src1_sel:DWORD
	s_cbranch_scc1 .LBB49_194
.LBB49_2:                               ; =>This Loop Header: Depth=1
                                        ;     Child Loop BB49_4 Depth 2
                                        ;     Child Loop BB49_36 Depth 2
	;; [unrolled: 1-line block ×6, first 2 shown]
	v_lshrrev_b32_e32 v47, 8, v45
	v_perm_b32 v46, v45, v45, s89
	v_cmp_lt_i16_sdwa s[10:11], sext(v47), sext(v45) src0_sel:BYTE_0 src1_sel:BYTE_0
	s_waitcnt lgkmcnt(0)
	; wave barrier
	s_nop 0
	v_cndmask_b32_e64 v45, v45, v46, s[10:11]
	v_lshrrev_b32_e32 v46, 16, v45
	v_perm_b32 v47, 0, v46, s90
	v_lshrrev_b32_e32 v48, 24, v45
	v_lshlrev_b32_e32 v47, 16, v47
	v_and_or_b32 v47, v45, s85, v47
	v_cmp_lt_i16_sdwa s[12:13], sext(v48), sext(v46) src0_sel:BYTE_0 src1_sel:BYTE_0
	v_perm_b32 v46, v44, v44, s89
	s_nop 0
	v_cndmask_b32_e64 v45, v45, v47, s[12:13]
	v_lshrrev_b32_e32 v47, 8, v44
	v_cmp_lt_i16_sdwa s[14:15], sext(v47), sext(v44) src0_sel:BYTE_0 src1_sel:BYTE_0
	s_nop 1
	v_cndmask_b32_e64 v44, v44, v46, s[14:15]
	v_lshrrev_b32_e32 v46, 24, v44
	v_lshrrev_b32_e32 v47, 16, v44
	v_perm_b32 v48, v44, v44, s91
	v_cmp_lt_i16_sdwa s[16:17], sext(v46), sext(v47) src0_sel:BYTE_0 src1_sel:BYTE_0
	v_lshrrev_b32_e32 v46, 16, v45
	v_lshrrev_b32_e32 v47, 8, v45
	v_cndmask_b32_e64 v44, v44, v48, s[16:17]
	v_perm_b32 v48, v45, v45, s92
	v_cmp_lt_i16_sdwa s[18:19], sext(v46), sext(v47) src0_sel:BYTE_0 src1_sel:BYTE_0
	s_nop 1
	v_cndmask_b32_e64 v45, v45, v48, s[18:19]
	v_and_b32_sdwa v47, v45, s88 dst_sel:DWORD dst_unused:UNUSED_PAD src0_sel:WORD_1 src1_sel:DWORD
	v_lshlrev_b16_e32 v48, 8, v44
	v_or_b32_sdwa v47, v47, v48 dst_sel:WORD_1 dst_unused:UNUSED_PAD src0_sel:DWORD src1_sel:DWORD
	v_lshrrev_b32_e32 v48, 24, v45
	v_perm_b32 v46, v45, v44, s93
	v_cmp_lt_i16_sdwa s[20:21], sext(v44), sext(v48) src0_sel:BYTE_0 src1_sel:BYTE_0
	v_and_or_b32 v47, v45, s85, v47
	s_nop 0
	v_cndmask_b32_e64 v44, v44, v46, s[20:21]
	v_cndmask_b32_e64 v45, v45, v47, s[20:21]
	v_lshrrev_b32_e32 v46, 16, v44
	v_lshrrev_b32_e32 v47, 8, v44
	v_cmp_lt_i16_sdwa s[22:23], sext(v46), sext(v47) src0_sel:BYTE_0 src1_sel:BYTE_0
	v_perm_b32 v46, 0, v45, s90
	v_lshrrev_b32_e32 v47, 8, v45
	v_and_or_b32 v46, v45, s94, v46
	v_cmp_lt_i16_sdwa s[24:25], sext(v47), sext(v45) src0_sel:BYTE_0 src1_sel:BYTE_0
	v_perm_b32 v48, v44, v44, s92
	v_cndmask_b32_e64 v44, v44, v48, s[22:23]
	v_cndmask_b32_e64 v45, v45, v46, s[24:25]
	v_lshrrev_b32_e32 v46, 16, v45
	v_perm_b32 v47, 0, v46, s90
	v_lshrrev_b32_e32 v48, 24, v45
	v_lshlrev_b32_e32 v47, 16, v47
	v_and_or_b32 v47, v45, s85, v47
	v_cmp_lt_i16_sdwa s[26:27], sext(v48), sext(v46) src0_sel:BYTE_0 src1_sel:BYTE_0
	v_perm_b32 v46, v44, v44, s89
	s_nop 0
	v_cndmask_b32_e64 v45, v45, v47, s[26:27]
	v_lshrrev_b32_e32 v47, 8, v44
	v_cmp_lt_i16_sdwa s[28:29], sext(v47), sext(v44) src0_sel:BYTE_0 src1_sel:BYTE_0
	s_nop 1
	v_cndmask_b32_e64 v44, v44, v46, s[28:29]
	v_lshrrev_b32_e32 v46, 24, v44
	v_lshrrev_b32_e32 v47, 16, v44
	v_perm_b32 v48, v44, v44, s91
	v_cmp_lt_i16_sdwa s[30:31], sext(v46), sext(v47) src0_sel:BYTE_0 src1_sel:BYTE_0
	v_lshrrev_b32_e32 v46, 16, v45
	v_lshrrev_b32_e32 v47, 8, v45
	v_cndmask_b32_e64 v44, v44, v48, s[30:31]
	v_perm_b32 v48, v45, v45, s92
	v_cmp_lt_i16_sdwa s[34:35], sext(v46), sext(v47) src0_sel:BYTE_0 src1_sel:BYTE_0
	s_nop 1
	v_cndmask_b32_e64 v45, v45, v48, s[34:35]
	v_and_b32_sdwa v47, v45, s88 dst_sel:DWORD dst_unused:UNUSED_PAD src0_sel:WORD_1 src1_sel:DWORD
	v_lshlrev_b16_e32 v48, 8, v44
	v_or_b32_sdwa v47, v47, v48 dst_sel:WORD_1 dst_unused:UNUSED_PAD src0_sel:DWORD src1_sel:DWORD
	v_lshrrev_b32_e32 v48, 24, v45
	v_perm_b32 v46, v45, v44, s93
	v_cmp_lt_i16_sdwa s[36:37], sext(v44), sext(v48) src0_sel:BYTE_0 src1_sel:BYTE_0
	v_and_or_b32 v47, v45, s85, v47
	s_nop 0
	v_cndmask_b32_e64 v44, v44, v46, s[36:37]
	v_cndmask_b32_e64 v45, v45, v47, s[36:37]
	v_lshrrev_b32_e32 v46, 16, v44
	v_lshrrev_b32_e32 v47, 8, v44
	v_cmp_lt_i16_sdwa s[38:39], sext(v46), sext(v47) src0_sel:BYTE_0 src1_sel:BYTE_0
	v_perm_b32 v46, 0, v45, s90
	v_lshrrev_b32_e32 v47, 8, v45
	v_and_or_b32 v46, v45, s94, v46
	v_cmp_lt_i16_sdwa s[40:41], sext(v47), sext(v45) src0_sel:BYTE_0 src1_sel:BYTE_0
	v_perm_b32 v48, v44, v44, s92
	v_cndmask_b32_e64 v44, v44, v48, s[38:39]
	;; [unrolled: 44-line block ×3, first 2 shown]
	v_cndmask_b32_e64 v45, v45, v46, s[54:55]
	v_lshrrev_b32_e32 v46, 16, v45
	v_perm_b32 v47, 0, v46, s90
	v_lshrrev_b32_e32 v48, 24, v45
	v_lshlrev_b32_e32 v47, 16, v47
	v_and_or_b32 v47, v45, s85, v47
	v_cmp_lt_i16_sdwa s[56:57], sext(v48), sext(v46) src0_sel:BYTE_0 src1_sel:BYTE_0
	v_perm_b32 v46, v44, v44, s89
	s_nop 0
	v_cndmask_b32_e64 v45, v45, v47, s[56:57]
	v_lshrrev_b32_e32 v47, 8, v44
	v_cmp_lt_i16_sdwa s[58:59], sext(v47), sext(v44) src0_sel:BYTE_0 src1_sel:BYTE_0
	s_nop 1
	v_cndmask_b32_e64 v44, v44, v46, s[58:59]
	v_lshrrev_b32_e32 v46, 24, v44
	v_lshrrev_b32_e32 v47, 16, v44
	v_perm_b32 v48, v44, v44, s91
	v_cmp_lt_i16_sdwa s[60:61], sext(v46), sext(v47) src0_sel:BYTE_0 src1_sel:BYTE_0
	v_lshrrev_b32_e32 v47, 8, v45
	s_nop 0
	v_cndmask_b32_e64 v46, v44, v48, s[60:61]
	v_lshrrev_b32_e32 v44, 16, v45
	v_perm_b32 v48, v45, v45, s92
	v_cmp_lt_i16_sdwa s[62:63], sext(v44), sext(v47) src0_sel:BYTE_0 src1_sel:BYTE_0
	s_nop 1
	v_cndmask_b32_e64 v44, v45, v48, s[62:63]
	v_and_b32_sdwa v47, v44, s88 dst_sel:DWORD dst_unused:UNUSED_PAD src0_sel:WORD_1 src1_sel:DWORD
	v_lshlrev_b16_e32 v48, 8, v46
	v_or_b32_sdwa v47, v47, v48 dst_sel:WORD_1 dst_unused:UNUSED_PAD src0_sel:DWORD src1_sel:DWORD
	v_lshrrev_b32_e32 v48, 24, v44
	v_perm_b32 v45, v44, v46, s93
	v_cmp_lt_i16_sdwa s[64:65], sext(v46), sext(v48) src0_sel:BYTE_0 src1_sel:BYTE_0
	v_and_or_b32 v47, v44, s85, v47
	s_nop 0
	v_cndmask_b32_e64 v45, v46, v45, s[64:65]
	v_cndmask_b32_e64 v44, v44, v47, s[64:65]
	v_lshrrev_b32_e32 v46, 16, v45
	v_lshrrev_b32_e32 v47, 8, v45
	v_perm_b32 v48, v45, v45, s92
	v_cmp_lt_i16_sdwa s[66:67], sext(v46), sext(v47) src0_sel:BYTE_0 src1_sel:BYTE_0
	s_nop 1
	v_cndmask_b32_e64 v45, v45, v48, s[66:67]
	ds_write_b64 v3, v[44:45]
	v_mov_b32_e32 v45, v37
	s_waitcnt lgkmcnt(0)
	; wave barrier
	s_waitcnt lgkmcnt(0)
	s_and_saveexec_b64 s[70:71], s[0:1]
	s_cbranch_execz .LBB49_6
; %bb.3:                                ;   in Loop: Header=BB49_2 Depth=1
	s_mov_b64 s[72:73], 0
	v_mov_b32_e32 v45, v37
	v_mov_b32_e32 v44, v32
.LBB49_4:                               ;   Parent Loop BB49_2 Depth=1
                                        ; =>  This Inner Loop Header: Depth=2
	v_sub_u32_e32 v46, v44, v45
	v_lshrrev_b32_e32 v47, 31, v46
	v_add_u32_e32 v46, v46, v47
	v_ashrrev_i32_e32 v46, 1, v46
	v_add_u32_e32 v46, v46, v45
	v_not_b32_e32 v48, v46
	v_add_u32_e32 v47, v4, v46
	v_add3_u32 v48, v5, v48, v17
	ds_read_i8 v47, v47
	ds_read_i8 v48, v48
	v_add_u32_e32 v49, 1, v46
	s_waitcnt lgkmcnt(0)
	v_cmp_lt_i16_e64 s[68:69], v48, v47
	s_nop 1
	v_cndmask_b32_e64 v44, v44, v46, s[68:69]
	v_cndmask_b32_e64 v45, v49, v45, s[68:69]
	v_cmp_ge_i32_e64 s[68:69], v45, v44
	s_or_b64 s[72:73], s[68:69], s[72:73]
	s_andn2_b64 exec, exec, s[72:73]
	s_cbranch_execnz .LBB49_4
; %bb.5:                                ;   in Loop: Header=BB49_2 Depth=1
	s_or_b64 exec, exec, s[72:73]
.LBB49_6:                               ;   in Loop: Header=BB49_2 Depth=1
	s_or_b64 exec, exec, s[70:71]
	v_add_u32_e32 v44, v45, v4
	v_sub_u32_e32 v45, v27, v45
	ds_read_u8 v46, v44
	ds_read_u8 v47, v45
	v_cmp_le_i32_e64 s[70:71], v17, v44
	v_cmp_gt_i32_e64 s[68:69], v18, v45
                                        ; implicit-def: $vgpr48
	s_waitcnt lgkmcnt(1)
	v_bfe_i32 v46, v46, 0, 8
	s_waitcnt lgkmcnt(0)
	v_bfe_i32 v47, v47, 0, 8
	v_cmp_lt_i16_e64 s[72:73], v47, v46
	s_or_b64 s[70:71], s[70:71], s[72:73]
	s_and_b64 s[68:69], s[68:69], s[70:71]
	s_xor_b64 s[70:71], s[68:69], -1
	s_and_saveexec_b64 s[72:73], s[70:71]
	s_xor_b64 s[70:71], exec, s[72:73]
	s_cbranch_execz .LBB49_8
; %bb.7:                                ;   in Loop: Header=BB49_2 Depth=1
	ds_read_u8 v48, v44 offset:1
.LBB49_8:                               ;   in Loop: Header=BB49_2 Depth=1
	s_or_saveexec_b64 s[70:71], s[70:71]
	v_mov_b32_e32 v49, v47
	s_xor_b64 exec, exec, s[70:71]
	s_cbranch_execz .LBB49_10
; %bb.9:                                ;   in Loop: Header=BB49_2 Depth=1
	ds_read_u8 v49, v45 offset:1
	s_waitcnt lgkmcnt(1)
	v_mov_b32_e32 v48, v46
.LBB49_10:                              ;   in Loop: Header=BB49_2 Depth=1
	s_or_b64 exec, exec, s[70:71]
	v_add_u32_e32 v51, 1, v44
	v_add_u32_e32 v50, 1, v45
	v_cndmask_b32_e64 v51, v51, v44, s[68:69]
	v_cndmask_b32_e64 v50, v45, v50, s[68:69]
	v_cmp_ge_i32_e64 s[72:73], v51, v17
	s_waitcnt lgkmcnt(0)
	v_cmp_lt_i16_sdwa s[74:75], sext(v49), sext(v48) src0_sel:BYTE_0 src1_sel:BYTE_0
	v_cmp_lt_i32_e64 s[70:71], v50, v18
	s_or_b64 s[72:73], s[72:73], s[74:75]
	s_and_b64 s[70:71], s[70:71], s[72:73]
	s_xor_b64 s[72:73], s[70:71], -1
                                        ; implicit-def: $vgpr52
	s_and_saveexec_b64 s[74:75], s[72:73]
	s_xor_b64 s[72:73], exec, s[74:75]
	s_cbranch_execz .LBB49_12
; %bb.11:                               ;   in Loop: Header=BB49_2 Depth=1
	ds_read_u8 v52, v51 offset:1
.LBB49_12:                              ;   in Loop: Header=BB49_2 Depth=1
	s_or_saveexec_b64 s[72:73], s[72:73]
	v_mov_b32_e32 v53, v49
	s_xor_b64 exec, exec, s[72:73]
	s_cbranch_execz .LBB49_14
; %bb.13:                               ;   in Loop: Header=BB49_2 Depth=1
	ds_read_u8 v53, v50 offset:1
	s_waitcnt lgkmcnt(1)
	v_mov_b32_e32 v52, v48
.LBB49_14:                              ;   in Loop: Header=BB49_2 Depth=1
	s_or_b64 exec, exec, s[72:73]
	v_add_u32_e32 v55, 1, v51
	v_add_u32_e32 v54, 1, v50
	v_cndmask_b32_e64 v55, v55, v51, s[70:71]
	v_cndmask_b32_e64 v54, v50, v54, s[70:71]
	v_cmp_ge_i32_e64 s[74:75], v55, v17
	s_waitcnt lgkmcnt(0)
	v_cmp_lt_i16_sdwa s[76:77], sext(v53), sext(v52) src0_sel:BYTE_0 src1_sel:BYTE_0
	v_cmp_lt_i32_e64 s[72:73], v54, v18
	s_or_b64 s[74:75], s[74:75], s[76:77]
	s_and_b64 s[72:73], s[72:73], s[74:75]
	s_xor_b64 s[74:75], s[72:73], -1
                                        ; implicit-def: $vgpr56
	s_and_saveexec_b64 s[76:77], s[74:75]
	s_xor_b64 s[74:75], exec, s[76:77]
	s_cbranch_execz .LBB49_16
; %bb.15:                               ;   in Loop: Header=BB49_2 Depth=1
	ds_read_u8 v56, v55 offset:1
.LBB49_16:                              ;   in Loop: Header=BB49_2 Depth=1
	s_or_saveexec_b64 s[74:75], s[74:75]
	v_mov_b32_e32 v57, v53
	s_xor_b64 exec, exec, s[74:75]
	s_cbranch_execz .LBB49_18
; %bb.17:                               ;   in Loop: Header=BB49_2 Depth=1
	ds_read_u8 v57, v54 offset:1
	s_waitcnt lgkmcnt(1)
	v_mov_b32_e32 v56, v52
.LBB49_18:                              ;   in Loop: Header=BB49_2 Depth=1
	s_or_b64 exec, exec, s[74:75]
	v_add_u32_e32 v59, 1, v55
	v_add_u32_e32 v58, 1, v54
	v_cndmask_b32_e64 v59, v59, v55, s[72:73]
	v_cndmask_b32_e64 v58, v54, v58, s[72:73]
	v_cmp_ge_i32_e64 s[76:77], v59, v17
	s_waitcnt lgkmcnt(0)
	v_cmp_lt_i16_sdwa s[78:79], sext(v57), sext(v56) src0_sel:BYTE_0 src1_sel:BYTE_0
	v_cmp_lt_i32_e64 s[74:75], v58, v18
	s_or_b64 s[76:77], s[76:77], s[78:79]
	s_and_b64 s[74:75], s[74:75], s[76:77]
	s_xor_b64 s[76:77], s[74:75], -1
                                        ; implicit-def: $vgpr60
	s_and_saveexec_b64 s[78:79], s[76:77]
	s_xor_b64 s[76:77], exec, s[78:79]
	s_cbranch_execz .LBB49_20
; %bb.19:                               ;   in Loop: Header=BB49_2 Depth=1
	ds_read_u8 v60, v59 offset:1
.LBB49_20:                              ;   in Loop: Header=BB49_2 Depth=1
	s_or_saveexec_b64 s[76:77], s[76:77]
	v_mov_b32_e32 v61, v57
	s_xor_b64 exec, exec, s[76:77]
	s_cbranch_execz .LBB49_22
; %bb.21:                               ;   in Loop: Header=BB49_2 Depth=1
	ds_read_u8 v61, v58 offset:1
	s_waitcnt lgkmcnt(1)
	v_mov_b32_e32 v60, v56
.LBB49_22:                              ;   in Loop: Header=BB49_2 Depth=1
	s_or_b64 exec, exec, s[76:77]
	v_add_u32_e32 v64, 1, v59
	v_add_u32_e32 v62, 1, v58
	v_cndmask_b32_e64 v64, v64, v59, s[74:75]
	v_cndmask_b32_e64 v63, v58, v62, s[74:75]
	v_cmp_ge_i32_e64 s[78:79], v64, v17
	s_waitcnt lgkmcnt(0)
	v_cmp_lt_i16_sdwa s[80:81], sext(v61), sext(v60) src0_sel:BYTE_0 src1_sel:BYTE_0
	v_cmp_lt_i32_e64 s[76:77], v63, v18
	s_or_b64 s[78:79], s[78:79], s[80:81]
	s_and_b64 s[76:77], s[76:77], s[78:79]
	s_xor_b64 s[78:79], s[76:77], -1
                                        ; implicit-def: $vgpr66
	s_and_saveexec_b64 s[80:81], s[78:79]
	s_xor_b64 s[78:79], exec, s[80:81]
	s_cbranch_execz .LBB49_24
; %bb.23:                               ;   in Loop: Header=BB49_2 Depth=1
	ds_read_u8 v66, v64 offset:1
.LBB49_24:                              ;   in Loop: Header=BB49_2 Depth=1
	s_or_saveexec_b64 s[78:79], s[78:79]
	v_mov_b32_e32 v67, v61
	s_xor_b64 exec, exec, s[78:79]
	s_cbranch_execz .LBB49_26
; %bb.25:                               ;   in Loop: Header=BB49_2 Depth=1
	ds_read_u8 v67, v63 offset:1
	s_waitcnt lgkmcnt(1)
	v_mov_b32_e32 v66, v60
.LBB49_26:                              ;   in Loop: Header=BB49_2 Depth=1
	s_or_b64 exec, exec, s[78:79]
	v_add_u32_e32 v65, 1, v64
	v_add_u32_e32 v62, 1, v63
	v_cndmask_b32_e64 v69, v65, v64, s[76:77]
	v_cndmask_b32_e64 v68, v63, v62, s[76:77]
	v_cmp_ge_i32_e64 s[80:81], v69, v17
	s_waitcnt lgkmcnt(0)
	v_cmp_lt_i16_sdwa s[82:83], sext(v67), sext(v66) src0_sel:BYTE_0 src1_sel:BYTE_0
	v_cmp_lt_i32_e64 s[78:79], v68, v18
	s_or_b64 s[80:81], s[80:81], s[82:83]
	s_and_b64 s[78:79], s[78:79], s[80:81]
	s_xor_b64 s[80:81], s[78:79], -1
                                        ; implicit-def: $vgpr70
	s_and_saveexec_b64 s[82:83], s[80:81]
	s_xor_b64 s[80:81], exec, s[82:83]
	s_cbranch_execz .LBB49_28
; %bb.27:                               ;   in Loop: Header=BB49_2 Depth=1
	ds_read_u8 v70, v69 offset:1
.LBB49_28:                              ;   in Loop: Header=BB49_2 Depth=1
	s_or_saveexec_b64 s[80:81], s[80:81]
	v_mov_b32_e32 v71, v67
	s_xor_b64 exec, exec, s[80:81]
	s_cbranch_execz .LBB49_30
; %bb.29:                               ;   in Loop: Header=BB49_2 Depth=1
	ds_read_u8 v71, v68 offset:1
	s_waitcnt lgkmcnt(1)
	v_mov_b32_e32 v70, v66
.LBB49_30:                              ;   in Loop: Header=BB49_2 Depth=1
	s_or_b64 exec, exec, s[80:81]
	v_add_u32_e32 v65, 1, v69
	v_add_u32_e32 v62, 1, v68
	v_cndmask_b32_e64 v73, v65, v69, s[78:79]
	v_cndmask_b32_e64 v72, v68, v62, s[78:79]
	v_cmp_ge_i32_e64 s[82:83], v73, v17
	s_waitcnt lgkmcnt(0)
	v_cmp_lt_i16_sdwa s[96:97], sext(v71), sext(v70) src0_sel:BYTE_0 src1_sel:BYTE_0
	v_cmp_lt_i32_e64 s[80:81], v72, v18
	s_or_b64 s[82:83], s[82:83], s[96:97]
	s_and_b64 s[80:81], s[80:81], s[82:83]
	s_xor_b64 s[82:83], s[80:81], -1
                                        ; implicit-def: $vgpr62
	s_and_saveexec_b64 s[96:97], s[82:83]
	s_xor_b64 s[82:83], exec, s[96:97]
	s_cbranch_execz .LBB49_32
; %bb.31:                               ;   in Loop: Header=BB49_2 Depth=1
	ds_read_u8 v62, v73 offset:1
.LBB49_32:                              ;   in Loop: Header=BB49_2 Depth=1
	s_or_saveexec_b64 s[82:83], s[82:83]
	v_mov_b32_e32 v65, v71
	s_xor_b64 exec, exec, s[82:83]
	s_cbranch_execz .LBB49_34
; %bb.33:                               ;   in Loop: Header=BB49_2 Depth=1
	ds_read_u8 v65, v72 offset:1
	s_waitcnt lgkmcnt(1)
	v_mov_b32_e32 v62, v70
.LBB49_34:                              ;   in Loop: Header=BB49_2 Depth=1
	s_or_b64 exec, exec, s[82:83]
	v_perm_b32 v74, 0, v42, s90
	v_and_or_b32 v74, v42, s94, v74
	v_cndmask_b32_e64 v42, v42, v74, s[10:11]
	v_cndmask_b32_e64 v44, v44, v45, s[68:69]
	v_lshrrev_b32_e32 v45, 16, v42
	v_perm_b32 v45, 0, v45, s90
	v_lshlrev_b32_e32 v45, 16, v45
	v_and_or_b32 v45, v42, s85, v45
	v_cndmask_b32_e64 v42, v42, v45, s[12:13]
	v_perm_b32 v45, v43, v43, s89
	v_cndmask_b32_e64 v43, v43, v45, s[14:15]
	v_perm_b32 v45, v43, v43, s91
	;; [unrolled: 2-line block ×3, first 2 shown]
	v_cndmask_b32_e64 v42, v42, v45, s[18:19]
	v_cndmask_b32_e64 v52, v52, v53, s[72:73]
	;; [unrolled: 1-line block ×6, first 2 shown]
	v_and_b32_sdwa v46, v42, s88 dst_sel:DWORD dst_unused:UNUSED_PAD src0_sel:WORD_1 src1_sel:DWORD
	v_lshlrev_b16_e32 v47, 8, v43
	v_or_b32_sdwa v46, v46, v47 dst_sel:WORD_1 dst_unused:UNUSED_PAD src0_sel:DWORD src1_sel:DWORD
	v_perm_b32 v45, v42, v43, s93
	v_and_or_b32 v46, v42, s85, v46
	v_cndmask_b32_e64 v42, v42, v46, s[20:21]
	v_perm_b32 v46, 0, v42, s90
	v_cndmask_b32_e64 v43, v43, v45, s[20:21]
	v_and_or_b32 v46, v42, s94, v46
	v_perm_b32 v45, v43, v43, s92
	v_cndmask_b32_e64 v42, v42, v46, s[24:25]
	v_cndmask_b32_e64 v43, v43, v45, s[22:23]
	v_lshrrev_b32_e32 v45, 16, v42
	v_perm_b32 v45, 0, v45, s90
	v_lshlrev_b32_e32 v45, 16, v45
	v_and_or_b32 v45, v42, s85, v45
	v_cndmask_b32_e64 v42, v42, v45, s[26:27]
	v_perm_b32 v45, v43, v43, s89
	v_cndmask_b32_e64 v43, v43, v45, s[28:29]
	v_perm_b32 v45, v43, v43, s91
	;; [unrolled: 2-line block ×3, first 2 shown]
	v_cndmask_b32_e64 v42, v42, v45, s[34:35]
	v_and_b32_sdwa v46, v42, s88 dst_sel:DWORD dst_unused:UNUSED_PAD src0_sel:WORD_1 src1_sel:DWORD
	v_lshlrev_b16_e32 v47, 8, v43
	v_or_b32_sdwa v46, v46, v47 dst_sel:WORD_1 dst_unused:UNUSED_PAD src0_sel:DWORD src1_sel:DWORD
	v_perm_b32 v45, v42, v43, s93
	v_and_or_b32 v46, v42, s85, v46
	v_cndmask_b32_e64 v42, v42, v46, s[36:37]
	v_perm_b32 v46, 0, v42, s90
	v_cndmask_b32_e64 v43, v43, v45, s[36:37]
	v_and_or_b32 v46, v42, s94, v46
	v_perm_b32 v45, v43, v43, s92
	v_cndmask_b32_e64 v42, v42, v46, s[40:41]
	v_cndmask_b32_e64 v43, v43, v45, s[38:39]
	v_lshrrev_b32_e32 v45, 16, v42
	v_perm_b32 v45, 0, v45, s90
	v_lshlrev_b32_e32 v45, 16, v45
	v_and_or_b32 v45, v42, s85, v45
	v_cndmask_b32_e64 v42, v42, v45, s[42:43]
	v_perm_b32 v45, v43, v43, s89
	v_cndmask_b32_e64 v43, v43, v45, s[44:45]
	v_perm_b32 v45, v43, v43, s91
	;; [unrolled: 2-line block ×3, first 2 shown]
	v_cndmask_b32_e64 v42, v42, v45, s[48:49]
	v_and_b32_sdwa v46, v42, s88 dst_sel:DWORD dst_unused:UNUSED_PAD src0_sel:WORD_1 src1_sel:DWORD
	v_lshlrev_b16_e32 v47, 8, v43
	v_or_b32_sdwa v46, v46, v47 dst_sel:WORD_1 dst_unused:UNUSED_PAD src0_sel:DWORD src1_sel:DWORD
	v_perm_b32 v45, v42, v43, s93
	v_and_or_b32 v46, v42, s85, v46
	v_cndmask_b32_e64 v42, v42, v46, s[50:51]
	v_perm_b32 v46, 0, v42, s90
	v_cndmask_b32_e64 v43, v43, v45, s[50:51]
	v_and_or_b32 v46, v42, s94, v46
	v_perm_b32 v45, v43, v43, s92
	v_cndmask_b32_e64 v42, v42, v46, s[54:55]
	v_cndmask_b32_e64 v43, v43, v45, s[52:53]
	v_lshrrev_b32_e32 v45, 16, v42
	v_perm_b32 v45, 0, v45, s90
	v_lshlrev_b32_e32 v45, 16, v45
	v_and_or_b32 v45, v42, s85, v45
	v_cndmask_b32_e64 v42, v42, v45, s[56:57]
	v_perm_b32 v45, v43, v43, s89
	v_cndmask_b32_e64 v43, v43, v45, s[58:59]
	v_perm_b32 v45, v43, v43, s91
	v_add_u32_e32 v75, 1, v73
	v_cndmask_b32_e64 v43, v43, v45, s[60:61]
	v_perm_b32 v45, v42, v42, s92
	v_cndmask_b32_e64 v70, v70, v71, s[80:81]
	v_add_u32_e32 v71, 1, v72
	v_cndmask_b32_e64 v75, v75, v73, s[80:81]
	v_cndmask_b32_e64 v42, v42, v45, s[62:63]
	;; [unrolled: 1-line block ×3, first 2 shown]
	v_perm_b32 v45, v42, v43, s93
	v_and_b32_sdwa v46, v42, s88 dst_sel:DWORD dst_unused:UNUSED_PAD src0_sel:WORD_1 src1_sel:DWORD
	v_lshlrev_b16_e32 v47, 8, v43
	v_cmp_ge_i32_e64 s[12:13], v75, v17
	s_waitcnt lgkmcnt(0)
	v_cmp_lt_i16_sdwa s[14:15], sext(v65), sext(v62) src0_sel:BYTE_0 src1_sel:BYTE_0
	v_or_b32_sdwa v46, v46, v47 dst_sel:WORD_1 dst_unused:UNUSED_PAD src0_sel:DWORD src1_sel:DWORD
	v_cndmask_b32_e64 v43, v43, v45, s[64:65]
	v_cmp_lt_i32_e64 s[10:11], v71, v18
	s_or_b64 s[12:13], s[12:13], s[14:15]
	v_and_or_b32 v46, v42, s85, v46
	v_perm_b32 v45, v43, v43, s92
	s_and_b64 s[10:11], s[10:11], s[12:13]
	v_cndmask_b32_e64 v42, v42, v46, s[64:65]
	v_cndmask_b32_e64 v43, v43, v45, s[66:67]
	v_cndmask_b32_e64 v45, v75, v71, s[10:11]
	v_cndmask_b32_e64 v72, v73, v72, s[80:81]
	v_cndmask_b32_e64 v66, v66, v67, s[78:79]
	v_cndmask_b32_e64 v67, v69, v68, s[78:79]
	v_cndmask_b32_e64 v60, v60, v61, s[76:77]
	v_cndmask_b32_e64 v61, v64, v63, s[76:77]
	v_cndmask_b32_e64 v56, v56, v57, s[74:75]
	v_cndmask_b32_e64 v57, v59, v58, s[74:75]
	s_waitcnt lgkmcnt(0)
	; wave barrier
	ds_write_b64 v3, v[42:43]
	s_waitcnt lgkmcnt(0)
	; wave barrier
	s_waitcnt lgkmcnt(0)
	ds_read_u8 v46, v45
	ds_read_u8 v42, v44
	;; [unrolled: 1-line block ×8, first 2 shown]
	v_lshlrev_b16_e32 v53, 8, v54
	v_or_b32_sdwa v50, v50, v53 dst_sel:DWORD dst_unused:UNUSED_PAD src0_sel:BYTE_0 src1_sel:DWORD
	v_lshlrev_b16_e32 v53, 8, v56
	v_cndmask_b32_e64 v51, v62, v65, s[10:11]
	v_or_b32_sdwa v52, v52, v53 dst_sel:WORD_1 dst_unused:UNUSED_PAD src0_sel:BYTE_0 src1_sel:DWORD
	v_lshlrev_b16_e32 v51, 8, v51
	v_or_b32_sdwa v50, v50, v52 dst_sel:DWORD dst_unused:UNUSED_PAD src0_sel:WORD_0 src1_sel:DWORD
	v_lshlrev_b16_e32 v52, 8, v66
	v_or_b32_sdwa v52, v60, v52 dst_sel:DWORD dst_unused:UNUSED_PAD src0_sel:BYTE_0 src1_sel:DWORD
	v_or_b32_sdwa v51, v70, v51 dst_sel:WORD_1 dst_unused:UNUSED_PAD src0_sel:BYTE_0 src1_sel:DWORD
	s_waitcnt lgkmcnt(0)
	v_or_b32_sdwa v51, v52, v51 dst_sel:DWORD dst_unused:UNUSED_PAD src0_sel:WORD_0 src1_sel:DWORD
	; wave barrier
	ds_write_b64 v3, v[50:51]
	v_mov_b32_e32 v51, v38
	s_waitcnt lgkmcnt(0)
	; wave barrier
	s_waitcnt lgkmcnt(0)
	s_and_saveexec_b64 s[12:13], s[2:3]
	s_cbranch_execz .LBB49_38
; %bb.35:                               ;   in Loop: Header=BB49_2 Depth=1
	s_mov_b64 s[14:15], 0
	v_mov_b32_e32 v51, v38
	v_mov_b32_e32 v50, v33
.LBB49_36:                              ;   Parent Loop BB49_2 Depth=1
                                        ; =>  This Inner Loop Header: Depth=2
	v_sub_u32_e32 v52, v50, v51
	v_lshrrev_b32_e32 v53, 31, v52
	v_add_u32_e32 v52, v52, v53
	v_ashrrev_i32_e32 v52, 1, v52
	v_add_u32_e32 v52, v52, v51
	v_not_b32_e32 v54, v52
	v_add_u32_e32 v53, v6, v52
	v_add3_u32 v54, v7, v54, v19
	ds_read_i8 v53, v53
	ds_read_i8 v54, v54
	v_add_u32_e32 v55, 1, v52
	s_waitcnt lgkmcnt(0)
	v_cmp_lt_i16_e64 s[10:11], v54, v53
	s_nop 1
	v_cndmask_b32_e64 v50, v50, v52, s[10:11]
	v_cndmask_b32_e64 v51, v55, v51, s[10:11]
	v_cmp_ge_i32_e64 s[10:11], v51, v50
	s_or_b64 s[14:15], s[10:11], s[14:15]
	s_andn2_b64 exec, exec, s[14:15]
	s_cbranch_execnz .LBB49_36
; %bb.37:                               ;   in Loop: Header=BB49_2 Depth=1
	s_or_b64 exec, exec, s[14:15]
.LBB49_38:                              ;   in Loop: Header=BB49_2 Depth=1
	s_or_b64 exec, exec, s[12:13]
	v_add_u32_e32 v50, v51, v6
	v_sub_u32_e32 v51, v28, v51
	ds_read_u8 v52, v50
	ds_read_u8 v53, v51
	v_cmp_le_i32_e64 s[12:13], v19, v50
	v_cmp_gt_i32_e64 s[10:11], v20, v51
                                        ; implicit-def: $vgpr54
	s_waitcnt lgkmcnt(1)
	v_bfe_i32 v52, v52, 0, 8
	s_waitcnt lgkmcnt(0)
	v_bfe_i32 v53, v53, 0, 8
	v_cmp_lt_i16_e64 s[14:15], v53, v52
	s_or_b64 s[12:13], s[12:13], s[14:15]
	s_and_b64 s[10:11], s[10:11], s[12:13]
	s_xor_b64 s[12:13], s[10:11], -1
	s_and_saveexec_b64 s[14:15], s[12:13]
	s_xor_b64 s[12:13], exec, s[14:15]
	s_cbranch_execz .LBB49_40
; %bb.39:                               ;   in Loop: Header=BB49_2 Depth=1
	ds_read_u8 v54, v50 offset:1
.LBB49_40:                              ;   in Loop: Header=BB49_2 Depth=1
	s_or_saveexec_b64 s[12:13], s[12:13]
	v_mov_b32_e32 v55, v53
	s_xor_b64 exec, exec, s[12:13]
	s_cbranch_execz .LBB49_42
; %bb.41:                               ;   in Loop: Header=BB49_2 Depth=1
	ds_read_u8 v55, v51 offset:1
	s_waitcnt lgkmcnt(1)
	v_mov_b32_e32 v54, v52
.LBB49_42:                              ;   in Loop: Header=BB49_2 Depth=1
	s_or_b64 exec, exec, s[12:13]
	v_add_u32_e32 v57, 1, v50
	v_add_u32_e32 v56, 1, v51
	v_cndmask_b32_e64 v57, v57, v50, s[10:11]
	v_cndmask_b32_e64 v56, v51, v56, s[10:11]
	v_cmp_ge_i32_e64 s[14:15], v57, v19
	s_waitcnt lgkmcnt(0)
	v_cmp_lt_i16_sdwa s[16:17], sext(v55), sext(v54) src0_sel:BYTE_0 src1_sel:BYTE_0
	v_cmp_lt_i32_e64 s[12:13], v56, v20
	s_or_b64 s[14:15], s[14:15], s[16:17]
	s_and_b64 s[12:13], s[12:13], s[14:15]
	s_xor_b64 s[14:15], s[12:13], -1
                                        ; implicit-def: $vgpr58
	s_and_saveexec_b64 s[16:17], s[14:15]
	s_xor_b64 s[14:15], exec, s[16:17]
	s_cbranch_execz .LBB49_44
; %bb.43:                               ;   in Loop: Header=BB49_2 Depth=1
	ds_read_u8 v58, v57 offset:1
.LBB49_44:                              ;   in Loop: Header=BB49_2 Depth=1
	s_or_saveexec_b64 s[14:15], s[14:15]
	v_mov_b32_e32 v59, v55
	s_xor_b64 exec, exec, s[14:15]
	s_cbranch_execz .LBB49_46
; %bb.45:                               ;   in Loop: Header=BB49_2 Depth=1
	ds_read_u8 v59, v56 offset:1
	s_waitcnt lgkmcnt(1)
	v_mov_b32_e32 v58, v54
.LBB49_46:                              ;   in Loop: Header=BB49_2 Depth=1
	s_or_b64 exec, exec, s[14:15]
	v_add_u32_e32 v61, 1, v57
	v_add_u32_e32 v60, 1, v56
	v_cndmask_b32_e64 v61, v61, v57, s[12:13]
	v_cndmask_b32_e64 v60, v56, v60, s[12:13]
	v_cmp_ge_i32_e64 s[16:17], v61, v19
	s_waitcnt lgkmcnt(0)
	v_cmp_lt_i16_sdwa s[18:19], sext(v59), sext(v58) src0_sel:BYTE_0 src1_sel:BYTE_0
	v_cmp_lt_i32_e64 s[14:15], v60, v20
	s_or_b64 s[16:17], s[16:17], s[18:19]
	s_and_b64 s[14:15], s[14:15], s[16:17]
	s_xor_b64 s[16:17], s[14:15], -1
                                        ; implicit-def: $vgpr62
	s_and_saveexec_b64 s[18:19], s[16:17]
	s_xor_b64 s[16:17], exec, s[18:19]
	s_cbranch_execz .LBB49_48
; %bb.47:                               ;   in Loop: Header=BB49_2 Depth=1
	ds_read_u8 v62, v61 offset:1
.LBB49_48:                              ;   in Loop: Header=BB49_2 Depth=1
	s_or_saveexec_b64 s[16:17], s[16:17]
	v_mov_b32_e32 v63, v59
	s_xor_b64 exec, exec, s[16:17]
	s_cbranch_execz .LBB49_50
; %bb.49:                               ;   in Loop: Header=BB49_2 Depth=1
	ds_read_u8 v63, v60 offset:1
	s_waitcnt lgkmcnt(1)
	v_mov_b32_e32 v62, v58
.LBB49_50:                              ;   in Loop: Header=BB49_2 Depth=1
	s_or_b64 exec, exec, s[16:17]
	v_add_u32_e32 v65, 1, v61
	v_add_u32_e32 v64, 1, v60
	v_cndmask_b32_e64 v65, v65, v61, s[14:15]
	v_cndmask_b32_e64 v64, v60, v64, s[14:15]
	v_cmp_ge_i32_e64 s[18:19], v65, v19
	s_waitcnt lgkmcnt(0)
	v_cmp_lt_i16_sdwa s[20:21], sext(v63), sext(v62) src0_sel:BYTE_0 src1_sel:BYTE_0
	v_cmp_lt_i32_e64 s[16:17], v64, v20
	s_or_b64 s[18:19], s[18:19], s[20:21]
	s_and_b64 s[16:17], s[16:17], s[18:19]
	s_xor_b64 s[18:19], s[16:17], -1
                                        ; implicit-def: $vgpr66
	s_and_saveexec_b64 s[20:21], s[18:19]
	s_xor_b64 s[18:19], exec, s[20:21]
	s_cbranch_execz .LBB49_52
; %bb.51:                               ;   in Loop: Header=BB49_2 Depth=1
	ds_read_u8 v66, v65 offset:1
.LBB49_52:                              ;   in Loop: Header=BB49_2 Depth=1
	s_or_saveexec_b64 s[18:19], s[18:19]
	v_mov_b32_e32 v67, v63
	s_xor_b64 exec, exec, s[18:19]
	s_cbranch_execz .LBB49_54
; %bb.53:                               ;   in Loop: Header=BB49_2 Depth=1
	ds_read_u8 v67, v64 offset:1
	s_waitcnt lgkmcnt(1)
	v_mov_b32_e32 v66, v62
.LBB49_54:                              ;   in Loop: Header=BB49_2 Depth=1
	s_or_b64 exec, exec, s[18:19]
	v_add_u32_e32 v69, 1, v65
	v_add_u32_e32 v68, 1, v64
	v_cndmask_b32_e64 v69, v69, v65, s[16:17]
	v_cndmask_b32_e64 v68, v64, v68, s[16:17]
	v_cmp_ge_i32_e64 s[20:21], v69, v19
	s_waitcnt lgkmcnt(0)
	v_cmp_lt_i16_sdwa s[22:23], sext(v67), sext(v66) src0_sel:BYTE_0 src1_sel:BYTE_0
	v_cmp_lt_i32_e64 s[18:19], v68, v20
	s_or_b64 s[20:21], s[20:21], s[22:23]
	s_and_b64 s[18:19], s[18:19], s[20:21]
	s_xor_b64 s[20:21], s[18:19], -1
                                        ; implicit-def: $vgpr70
	s_and_saveexec_b64 s[22:23], s[20:21]
	s_xor_b64 s[20:21], exec, s[22:23]
	s_cbranch_execz .LBB49_56
; %bb.55:                               ;   in Loop: Header=BB49_2 Depth=1
	ds_read_u8 v70, v69 offset:1
.LBB49_56:                              ;   in Loop: Header=BB49_2 Depth=1
	s_or_saveexec_b64 s[20:21], s[20:21]
	v_mov_b32_e32 v71, v67
	s_xor_b64 exec, exec, s[20:21]
	s_cbranch_execz .LBB49_58
; %bb.57:                               ;   in Loop: Header=BB49_2 Depth=1
	ds_read_u8 v71, v68 offset:1
	s_waitcnt lgkmcnt(1)
	v_mov_b32_e32 v70, v66
.LBB49_58:                              ;   in Loop: Header=BB49_2 Depth=1
	s_or_b64 exec, exec, s[20:21]
	v_add_u32_e32 v73, 1, v69
	v_add_u32_e32 v72, 1, v68
	v_cndmask_b32_e64 v73, v73, v69, s[18:19]
	v_cndmask_b32_e64 v72, v68, v72, s[18:19]
	v_cmp_ge_i32_e64 s[22:23], v73, v19
	s_waitcnt lgkmcnt(0)
	v_cmp_lt_i16_sdwa s[24:25], sext(v71), sext(v70) src0_sel:BYTE_0 src1_sel:BYTE_0
	v_cmp_lt_i32_e64 s[20:21], v72, v20
	s_or_b64 s[22:23], s[22:23], s[24:25]
	s_and_b64 s[20:21], s[20:21], s[22:23]
	s_xor_b64 s[22:23], s[20:21], -1
                                        ; implicit-def: $vgpr74
	s_and_saveexec_b64 s[24:25], s[22:23]
	s_xor_b64 s[22:23], exec, s[24:25]
	s_cbranch_execz .LBB49_60
; %bb.59:                               ;   in Loop: Header=BB49_2 Depth=1
	ds_read_u8 v74, v73 offset:1
.LBB49_60:                              ;   in Loop: Header=BB49_2 Depth=1
	s_or_saveexec_b64 s[22:23], s[22:23]
	v_mov_b32_e32 v75, v71
	s_xor_b64 exec, exec, s[22:23]
	s_cbranch_execz .LBB49_62
; %bb.61:                               ;   in Loop: Header=BB49_2 Depth=1
	ds_read_u8 v75, v72 offset:1
	s_waitcnt lgkmcnt(1)
	v_mov_b32_e32 v74, v70
.LBB49_62:                              ;   in Loop: Header=BB49_2 Depth=1
	s_or_b64 exec, exec, s[22:23]
	v_add_u32_e32 v78, 1, v73
	v_add_u32_e32 v76, 1, v72
	v_cndmask_b32_e64 v78, v78, v73, s[20:21]
	v_cndmask_b32_e64 v77, v72, v76, s[20:21]
	v_cmp_ge_i32_e64 s[24:25], v78, v19
	s_waitcnt lgkmcnt(0)
	v_cmp_lt_i16_sdwa s[26:27], sext(v75), sext(v74) src0_sel:BYTE_0 src1_sel:BYTE_0
	v_cmp_lt_i32_e64 s[22:23], v77, v20
	s_or_b64 s[24:25], s[24:25], s[26:27]
	s_and_b64 s[22:23], s[22:23], s[24:25]
	s_xor_b64 s[24:25], s[22:23], -1
                                        ; implicit-def: $vgpr76
	s_and_saveexec_b64 s[26:27], s[24:25]
	s_xor_b64 s[24:25], exec, s[26:27]
	s_cbranch_execz .LBB49_64
; %bb.63:                               ;   in Loop: Header=BB49_2 Depth=1
	ds_read_u8 v76, v78 offset:1
.LBB49_64:                              ;   in Loop: Header=BB49_2 Depth=1
	s_or_saveexec_b64 s[24:25], s[24:25]
	v_mov_b32_e32 v79, v75
	s_xor_b64 exec, exec, s[24:25]
	s_cbranch_execz .LBB49_66
; %bb.65:                               ;   in Loop: Header=BB49_2 Depth=1
	ds_read_u8 v79, v77 offset:1
	s_waitcnt lgkmcnt(1)
	v_mov_b32_e32 v76, v74
.LBB49_66:                              ;   in Loop: Header=BB49_2 Depth=1
	s_or_b64 exec, exec, s[24:25]
	v_add_u32_e32 v80, 1, v78
	v_cndmask_b32_e64 v74, v74, v75, s[22:23]
	v_add_u32_e32 v75, 1, v77
	v_cndmask_b32_e64 v80, v80, v78, s[22:23]
	v_cndmask_b32_e64 v75, v77, v75, s[22:23]
	;; [unrolled: 1-line block ×6, first 2 shown]
	v_cmp_ge_i32_e64 s[12:13], v80, v19
	s_waitcnt lgkmcnt(0)
	v_cmp_lt_i16_sdwa s[14:15], sext(v79), sext(v76) src0_sel:BYTE_0 src1_sel:BYTE_0
	v_lshlrev_b16_e32 v44, 8, v44
	v_cndmask_b32_e64 v52, v52, v53, s[10:11]
	v_cndmask_b32_e64 v50, v50, v51, s[10:11]
	v_cmp_lt_i32_e64 s[10:11], v75, v20
	s_or_b64 s[12:13], s[12:13], s[14:15]
	v_lshlrev_b16_e32 v49, 8, v49
	v_lshlrev_b16_e32 v46, 8, v46
	v_or_b32_sdwa v42, v42, v44 dst_sel:DWORD dst_unused:UNUSED_PAD src0_sel:BYTE_0 src1_sel:DWORD
	v_lshlrev_b16_e32 v44, 8, v45
	s_and_b64 s[10:11], s[10:11], s[12:13]
	v_or_b32_sdwa v47, v47, v49 dst_sel:DWORD dst_unused:UNUSED_PAD src0_sel:BYTE_0 src1_sel:DWORD
	v_or_b32_sdwa v46, v48, v46 dst_sel:WORD_1 dst_unused:UNUSED_PAD src0_sel:BYTE_0 src1_sel:DWORD
	v_or_b32_sdwa v43, v43, v44 dst_sel:WORD_1 dst_unused:UNUSED_PAD src0_sel:BYTE_0 src1_sel:DWORD
	v_cndmask_b32_e64 v53, v80, v75, s[10:11]
	v_or_b32_sdwa v47, v47, v46 dst_sel:DWORD dst_unused:UNUSED_PAD src0_sel:WORD_0 src1_sel:DWORD
	v_or_b32_sdwa v46, v42, v43 dst_sel:DWORD dst_unused:UNUSED_PAD src0_sel:WORD_0 src1_sel:DWORD
	v_cndmask_b32_e64 v77, v78, v77, s[22:23]
	v_cndmask_b32_e64 v70, v70, v71, s[20:21]
	;; [unrolled: 1-line block ×7, first 2 shown]
	s_waitcnt lgkmcnt(0)
	; wave barrier
	ds_write_b64 v3, v[46:47]
	s_waitcnt lgkmcnt(0)
	; wave barrier
	s_waitcnt lgkmcnt(0)
	ds_read_u8 v46, v53
	ds_read_u8 v42, v50
	;; [unrolled: 1-line block ×8, first 2 shown]
	v_lshlrev_b16_e32 v50, 8, v54
	v_or_b32_sdwa v50, v52, v50 dst_sel:DWORD dst_unused:UNUSED_PAD src0_sel:BYTE_0 src1_sel:DWORD
	v_lshlrev_b16_e32 v52, 8, v62
	v_cndmask_b32_e64 v51, v76, v79, s[10:11]
	v_or_b32_sdwa v52, v58, v52 dst_sel:WORD_1 dst_unused:UNUSED_PAD src0_sel:BYTE_0 src1_sel:DWORD
	v_lshlrev_b16_e32 v51, 8, v51
	v_or_b32_sdwa v50, v50, v52 dst_sel:DWORD dst_unused:UNUSED_PAD src0_sel:WORD_0 src1_sel:DWORD
	v_lshlrev_b16_e32 v52, 8, v70
	v_or_b32_sdwa v52, v66, v52 dst_sel:DWORD dst_unused:UNUSED_PAD src0_sel:BYTE_0 src1_sel:DWORD
	v_or_b32_sdwa v51, v74, v51 dst_sel:WORD_1 dst_unused:UNUSED_PAD src0_sel:BYTE_0 src1_sel:DWORD
	s_waitcnt lgkmcnt(0)
	v_or_b32_sdwa v51, v52, v51 dst_sel:DWORD dst_unused:UNUSED_PAD src0_sel:WORD_0 src1_sel:DWORD
	; wave barrier
	ds_write_b64 v3, v[50:51]
	v_mov_b32_e32 v51, v39
	s_waitcnt lgkmcnt(0)
	; wave barrier
	s_waitcnt lgkmcnt(0)
	s_and_saveexec_b64 s[12:13], s[4:5]
	s_cbranch_execz .LBB49_70
; %bb.67:                               ;   in Loop: Header=BB49_2 Depth=1
	s_mov_b64 s[14:15], 0
	v_mov_b32_e32 v51, v39
	v_mov_b32_e32 v50, v34
.LBB49_68:                              ;   Parent Loop BB49_2 Depth=1
                                        ; =>  This Inner Loop Header: Depth=2
	v_sub_u32_e32 v52, v50, v51
	v_lshrrev_b32_e32 v53, 31, v52
	v_add_u32_e32 v52, v52, v53
	v_ashrrev_i32_e32 v52, 1, v52
	v_add_u32_e32 v52, v52, v51
	v_not_b32_e32 v54, v52
	v_add_u32_e32 v53, v8, v52
	v_add3_u32 v54, v9, v54, v21
	ds_read_i8 v53, v53
	ds_read_i8 v54, v54
	v_add_u32_e32 v55, 1, v52
	s_waitcnt lgkmcnt(0)
	v_cmp_lt_i16_e64 s[10:11], v54, v53
	s_nop 1
	v_cndmask_b32_e64 v50, v50, v52, s[10:11]
	v_cndmask_b32_e64 v51, v55, v51, s[10:11]
	v_cmp_ge_i32_e64 s[10:11], v51, v50
	s_or_b64 s[14:15], s[10:11], s[14:15]
	s_andn2_b64 exec, exec, s[14:15]
	s_cbranch_execnz .LBB49_68
; %bb.69:                               ;   in Loop: Header=BB49_2 Depth=1
	s_or_b64 exec, exec, s[14:15]
.LBB49_70:                              ;   in Loop: Header=BB49_2 Depth=1
	s_or_b64 exec, exec, s[12:13]
	v_add_u32_e32 v50, v51, v8
	v_sub_u32_e32 v51, v29, v51
	ds_read_u8 v52, v50
	ds_read_u8 v53, v51
	v_cmp_le_i32_e64 s[12:13], v21, v50
	v_cmp_gt_i32_e64 s[10:11], v22, v51
                                        ; implicit-def: $vgpr54
	s_waitcnt lgkmcnt(1)
	v_bfe_i32 v52, v52, 0, 8
	s_waitcnt lgkmcnt(0)
	v_bfe_i32 v53, v53, 0, 8
	v_cmp_lt_i16_e64 s[14:15], v53, v52
	s_or_b64 s[12:13], s[12:13], s[14:15]
	s_and_b64 s[10:11], s[10:11], s[12:13]
	s_xor_b64 s[12:13], s[10:11], -1
	s_and_saveexec_b64 s[14:15], s[12:13]
	s_xor_b64 s[12:13], exec, s[14:15]
	s_cbranch_execz .LBB49_72
; %bb.71:                               ;   in Loop: Header=BB49_2 Depth=1
	ds_read_u8 v54, v50 offset:1
.LBB49_72:                              ;   in Loop: Header=BB49_2 Depth=1
	s_or_saveexec_b64 s[12:13], s[12:13]
	v_mov_b32_e32 v55, v53
	s_xor_b64 exec, exec, s[12:13]
	s_cbranch_execz .LBB49_74
; %bb.73:                               ;   in Loop: Header=BB49_2 Depth=1
	ds_read_u8 v55, v51 offset:1
	s_waitcnt lgkmcnt(1)
	v_mov_b32_e32 v54, v52
.LBB49_74:                              ;   in Loop: Header=BB49_2 Depth=1
	s_or_b64 exec, exec, s[12:13]
	v_add_u32_e32 v57, 1, v50
	v_add_u32_e32 v56, 1, v51
	v_cndmask_b32_e64 v57, v57, v50, s[10:11]
	v_cndmask_b32_e64 v56, v51, v56, s[10:11]
	v_cmp_ge_i32_e64 s[14:15], v57, v21
	s_waitcnt lgkmcnt(0)
	v_cmp_lt_i16_sdwa s[16:17], sext(v55), sext(v54) src0_sel:BYTE_0 src1_sel:BYTE_0
	v_cmp_lt_i32_e64 s[12:13], v56, v22
	s_or_b64 s[14:15], s[14:15], s[16:17]
	s_and_b64 s[12:13], s[12:13], s[14:15]
	s_xor_b64 s[14:15], s[12:13], -1
                                        ; implicit-def: $vgpr58
	s_and_saveexec_b64 s[16:17], s[14:15]
	s_xor_b64 s[14:15], exec, s[16:17]
	s_cbranch_execz .LBB49_76
; %bb.75:                               ;   in Loop: Header=BB49_2 Depth=1
	ds_read_u8 v58, v57 offset:1
.LBB49_76:                              ;   in Loop: Header=BB49_2 Depth=1
	s_or_saveexec_b64 s[14:15], s[14:15]
	v_mov_b32_e32 v59, v55
	s_xor_b64 exec, exec, s[14:15]
	s_cbranch_execz .LBB49_78
; %bb.77:                               ;   in Loop: Header=BB49_2 Depth=1
	ds_read_u8 v59, v56 offset:1
	s_waitcnt lgkmcnt(1)
	v_mov_b32_e32 v58, v54
.LBB49_78:                              ;   in Loop: Header=BB49_2 Depth=1
	s_or_b64 exec, exec, s[14:15]
	v_add_u32_e32 v61, 1, v57
	v_add_u32_e32 v60, 1, v56
	v_cndmask_b32_e64 v61, v61, v57, s[12:13]
	v_cndmask_b32_e64 v60, v56, v60, s[12:13]
	v_cmp_ge_i32_e64 s[16:17], v61, v21
	s_waitcnt lgkmcnt(0)
	v_cmp_lt_i16_sdwa s[18:19], sext(v59), sext(v58) src0_sel:BYTE_0 src1_sel:BYTE_0
	v_cmp_lt_i32_e64 s[14:15], v60, v22
	s_or_b64 s[16:17], s[16:17], s[18:19]
	s_and_b64 s[14:15], s[14:15], s[16:17]
	s_xor_b64 s[16:17], s[14:15], -1
                                        ; implicit-def: $vgpr62
	s_and_saveexec_b64 s[18:19], s[16:17]
	s_xor_b64 s[16:17], exec, s[18:19]
	s_cbranch_execz .LBB49_80
; %bb.79:                               ;   in Loop: Header=BB49_2 Depth=1
	ds_read_u8 v62, v61 offset:1
.LBB49_80:                              ;   in Loop: Header=BB49_2 Depth=1
	s_or_saveexec_b64 s[16:17], s[16:17]
	v_mov_b32_e32 v63, v59
	s_xor_b64 exec, exec, s[16:17]
	s_cbranch_execz .LBB49_82
; %bb.81:                               ;   in Loop: Header=BB49_2 Depth=1
	ds_read_u8 v63, v60 offset:1
	s_waitcnt lgkmcnt(1)
	v_mov_b32_e32 v62, v58
.LBB49_82:                              ;   in Loop: Header=BB49_2 Depth=1
	s_or_b64 exec, exec, s[16:17]
	v_add_u32_e32 v65, 1, v61
	v_add_u32_e32 v64, 1, v60
	v_cndmask_b32_e64 v65, v65, v61, s[14:15]
	v_cndmask_b32_e64 v64, v60, v64, s[14:15]
	v_cmp_ge_i32_e64 s[18:19], v65, v21
	s_waitcnt lgkmcnt(0)
	v_cmp_lt_i16_sdwa s[20:21], sext(v63), sext(v62) src0_sel:BYTE_0 src1_sel:BYTE_0
	v_cmp_lt_i32_e64 s[16:17], v64, v22
	s_or_b64 s[18:19], s[18:19], s[20:21]
	s_and_b64 s[16:17], s[16:17], s[18:19]
	s_xor_b64 s[18:19], s[16:17], -1
                                        ; implicit-def: $vgpr66
	s_and_saveexec_b64 s[20:21], s[18:19]
	s_xor_b64 s[18:19], exec, s[20:21]
	s_cbranch_execz .LBB49_84
; %bb.83:                               ;   in Loop: Header=BB49_2 Depth=1
	ds_read_u8 v66, v65 offset:1
.LBB49_84:                              ;   in Loop: Header=BB49_2 Depth=1
	s_or_saveexec_b64 s[18:19], s[18:19]
	v_mov_b32_e32 v67, v63
	s_xor_b64 exec, exec, s[18:19]
	s_cbranch_execz .LBB49_86
; %bb.85:                               ;   in Loop: Header=BB49_2 Depth=1
	ds_read_u8 v67, v64 offset:1
	s_waitcnt lgkmcnt(1)
	v_mov_b32_e32 v66, v62
.LBB49_86:                              ;   in Loop: Header=BB49_2 Depth=1
	s_or_b64 exec, exec, s[18:19]
	v_add_u32_e32 v69, 1, v65
	v_add_u32_e32 v68, 1, v64
	v_cndmask_b32_e64 v69, v69, v65, s[16:17]
	v_cndmask_b32_e64 v68, v64, v68, s[16:17]
	v_cmp_ge_i32_e64 s[20:21], v69, v21
	s_waitcnt lgkmcnt(0)
	v_cmp_lt_i16_sdwa s[22:23], sext(v67), sext(v66) src0_sel:BYTE_0 src1_sel:BYTE_0
	v_cmp_lt_i32_e64 s[18:19], v68, v22
	s_or_b64 s[20:21], s[20:21], s[22:23]
	s_and_b64 s[18:19], s[18:19], s[20:21]
	s_xor_b64 s[20:21], s[18:19], -1
                                        ; implicit-def: $vgpr70
	s_and_saveexec_b64 s[22:23], s[20:21]
	s_xor_b64 s[20:21], exec, s[22:23]
	s_cbranch_execz .LBB49_88
; %bb.87:                               ;   in Loop: Header=BB49_2 Depth=1
	ds_read_u8 v70, v69 offset:1
.LBB49_88:                              ;   in Loop: Header=BB49_2 Depth=1
	s_or_saveexec_b64 s[20:21], s[20:21]
	v_mov_b32_e32 v71, v67
	s_xor_b64 exec, exec, s[20:21]
	s_cbranch_execz .LBB49_90
; %bb.89:                               ;   in Loop: Header=BB49_2 Depth=1
	ds_read_u8 v71, v68 offset:1
	s_waitcnt lgkmcnt(1)
	v_mov_b32_e32 v70, v66
.LBB49_90:                              ;   in Loop: Header=BB49_2 Depth=1
	s_or_b64 exec, exec, s[20:21]
	v_add_u32_e32 v73, 1, v69
	v_add_u32_e32 v72, 1, v68
	v_cndmask_b32_e64 v73, v73, v69, s[18:19]
	v_cndmask_b32_e64 v72, v68, v72, s[18:19]
	v_cmp_ge_i32_e64 s[22:23], v73, v21
	s_waitcnt lgkmcnt(0)
	v_cmp_lt_i16_sdwa s[24:25], sext(v71), sext(v70) src0_sel:BYTE_0 src1_sel:BYTE_0
	v_cmp_lt_i32_e64 s[20:21], v72, v22
	s_or_b64 s[22:23], s[22:23], s[24:25]
	s_and_b64 s[20:21], s[20:21], s[22:23]
	s_xor_b64 s[22:23], s[20:21], -1
                                        ; implicit-def: $vgpr74
	s_and_saveexec_b64 s[24:25], s[22:23]
	s_xor_b64 s[22:23], exec, s[24:25]
	s_cbranch_execz .LBB49_92
; %bb.91:                               ;   in Loop: Header=BB49_2 Depth=1
	ds_read_u8 v74, v73 offset:1
.LBB49_92:                              ;   in Loop: Header=BB49_2 Depth=1
	s_or_saveexec_b64 s[22:23], s[22:23]
	v_mov_b32_e32 v75, v71
	s_xor_b64 exec, exec, s[22:23]
	s_cbranch_execz .LBB49_94
; %bb.93:                               ;   in Loop: Header=BB49_2 Depth=1
	ds_read_u8 v75, v72 offset:1
	s_waitcnt lgkmcnt(1)
	v_mov_b32_e32 v74, v70
.LBB49_94:                              ;   in Loop: Header=BB49_2 Depth=1
	s_or_b64 exec, exec, s[22:23]
	v_add_u32_e32 v78, 1, v73
	v_add_u32_e32 v76, 1, v72
	v_cndmask_b32_e64 v78, v78, v73, s[20:21]
	v_cndmask_b32_e64 v77, v72, v76, s[20:21]
	v_cmp_ge_i32_e64 s[24:25], v78, v21
	s_waitcnt lgkmcnt(0)
	v_cmp_lt_i16_sdwa s[26:27], sext(v75), sext(v74) src0_sel:BYTE_0 src1_sel:BYTE_0
	v_cmp_lt_i32_e64 s[22:23], v77, v22
	s_or_b64 s[24:25], s[24:25], s[26:27]
	s_and_b64 s[22:23], s[22:23], s[24:25]
	s_xor_b64 s[24:25], s[22:23], -1
                                        ; implicit-def: $vgpr76
	s_and_saveexec_b64 s[26:27], s[24:25]
	s_xor_b64 s[24:25], exec, s[26:27]
	s_cbranch_execz .LBB49_96
; %bb.95:                               ;   in Loop: Header=BB49_2 Depth=1
	ds_read_u8 v76, v78 offset:1
.LBB49_96:                              ;   in Loop: Header=BB49_2 Depth=1
	s_or_saveexec_b64 s[24:25], s[24:25]
	v_mov_b32_e32 v79, v75
	s_xor_b64 exec, exec, s[24:25]
	s_cbranch_execz .LBB49_98
; %bb.97:                               ;   in Loop: Header=BB49_2 Depth=1
	ds_read_u8 v79, v77 offset:1
	s_waitcnt lgkmcnt(1)
	v_mov_b32_e32 v76, v74
.LBB49_98:                              ;   in Loop: Header=BB49_2 Depth=1
	s_or_b64 exec, exec, s[24:25]
	v_add_u32_e32 v80, 1, v78
	v_cndmask_b32_e64 v74, v74, v75, s[22:23]
	v_add_u32_e32 v75, 1, v77
	v_cndmask_b32_e64 v80, v80, v78, s[22:23]
	v_cndmask_b32_e64 v75, v77, v75, s[22:23]
	v_cndmask_b32_e64 v58, v58, v59, s[14:15]
	v_cndmask_b32_e64 v59, v61, v60, s[14:15]
	v_cndmask_b32_e64 v54, v54, v55, s[12:13]
	v_cndmask_b32_e64 v55, v57, v56, s[12:13]
	v_cmp_ge_i32_e64 s[12:13], v80, v21
	s_waitcnt lgkmcnt(0)
	v_cmp_lt_i16_sdwa s[14:15], sext(v79), sext(v76) src0_sel:BYTE_0 src1_sel:BYTE_0
	v_lshlrev_b16_e32 v44, 8, v44
	v_cndmask_b32_e64 v52, v52, v53, s[10:11]
	v_cndmask_b32_e64 v50, v50, v51, s[10:11]
	v_cmp_lt_i32_e64 s[10:11], v75, v22
	s_or_b64 s[12:13], s[12:13], s[14:15]
	v_lshlrev_b16_e32 v49, 8, v49
	v_lshlrev_b16_e32 v46, 8, v46
	v_or_b32_sdwa v42, v42, v44 dst_sel:DWORD dst_unused:UNUSED_PAD src0_sel:BYTE_0 src1_sel:DWORD
	v_lshlrev_b16_e32 v44, 8, v45
	s_and_b64 s[10:11], s[10:11], s[12:13]
	v_or_b32_sdwa v47, v47, v49 dst_sel:DWORD dst_unused:UNUSED_PAD src0_sel:BYTE_0 src1_sel:DWORD
	v_or_b32_sdwa v46, v48, v46 dst_sel:WORD_1 dst_unused:UNUSED_PAD src0_sel:BYTE_0 src1_sel:DWORD
	v_or_b32_sdwa v43, v43, v44 dst_sel:WORD_1 dst_unused:UNUSED_PAD src0_sel:BYTE_0 src1_sel:DWORD
	v_cndmask_b32_e64 v53, v80, v75, s[10:11]
	v_or_b32_sdwa v47, v47, v46 dst_sel:DWORD dst_unused:UNUSED_PAD src0_sel:WORD_0 src1_sel:DWORD
	v_or_b32_sdwa v46, v42, v43 dst_sel:DWORD dst_unused:UNUSED_PAD src0_sel:WORD_0 src1_sel:DWORD
	v_cndmask_b32_e64 v77, v78, v77, s[22:23]
	v_cndmask_b32_e64 v70, v70, v71, s[20:21]
	;; [unrolled: 1-line block ×7, first 2 shown]
	s_waitcnt lgkmcnt(0)
	; wave barrier
	ds_write_b64 v3, v[46:47]
	s_waitcnt lgkmcnt(0)
	; wave barrier
	s_waitcnt lgkmcnt(0)
	ds_read_u8 v46, v53
	ds_read_u8 v42, v50
	;; [unrolled: 1-line block ×8, first 2 shown]
	v_lshlrev_b16_e32 v50, 8, v54
	v_or_b32_sdwa v50, v52, v50 dst_sel:DWORD dst_unused:UNUSED_PAD src0_sel:BYTE_0 src1_sel:DWORD
	v_lshlrev_b16_e32 v52, 8, v62
	v_cndmask_b32_e64 v51, v76, v79, s[10:11]
	v_or_b32_sdwa v52, v58, v52 dst_sel:WORD_1 dst_unused:UNUSED_PAD src0_sel:BYTE_0 src1_sel:DWORD
	v_lshlrev_b16_e32 v51, 8, v51
	v_or_b32_sdwa v50, v50, v52 dst_sel:DWORD dst_unused:UNUSED_PAD src0_sel:WORD_0 src1_sel:DWORD
	v_lshlrev_b16_e32 v52, 8, v70
	v_or_b32_sdwa v52, v66, v52 dst_sel:DWORD dst_unused:UNUSED_PAD src0_sel:BYTE_0 src1_sel:DWORD
	v_or_b32_sdwa v51, v74, v51 dst_sel:WORD_1 dst_unused:UNUSED_PAD src0_sel:BYTE_0 src1_sel:DWORD
	s_waitcnt lgkmcnt(0)
	v_or_b32_sdwa v51, v52, v51 dst_sel:DWORD dst_unused:UNUSED_PAD src0_sel:WORD_0 src1_sel:DWORD
	; wave barrier
	ds_write_b64 v3, v[50:51]
	v_mov_b32_e32 v51, v40
	s_waitcnt lgkmcnt(0)
	; wave barrier
	s_waitcnt lgkmcnt(0)
	s_and_saveexec_b64 s[12:13], s[6:7]
	s_cbranch_execz .LBB49_102
; %bb.99:                               ;   in Loop: Header=BB49_2 Depth=1
	s_mov_b64 s[14:15], 0
	v_mov_b32_e32 v51, v40
	v_mov_b32_e32 v50, v35
.LBB49_100:                             ;   Parent Loop BB49_2 Depth=1
                                        ; =>  This Inner Loop Header: Depth=2
	v_sub_u32_e32 v52, v50, v51
	v_lshrrev_b32_e32 v53, 31, v52
	v_add_u32_e32 v52, v52, v53
	v_ashrrev_i32_e32 v52, 1, v52
	v_add_u32_e32 v52, v52, v51
	v_not_b32_e32 v54, v52
	v_add_u32_e32 v53, v10, v52
	v_add3_u32 v54, v11, v54, v23
	ds_read_i8 v53, v53
	ds_read_i8 v54, v54
	v_add_u32_e32 v55, 1, v52
	s_waitcnt lgkmcnt(0)
	v_cmp_lt_i16_e64 s[10:11], v54, v53
	s_nop 1
	v_cndmask_b32_e64 v50, v50, v52, s[10:11]
	v_cndmask_b32_e64 v51, v55, v51, s[10:11]
	v_cmp_ge_i32_e64 s[10:11], v51, v50
	s_or_b64 s[14:15], s[10:11], s[14:15]
	s_andn2_b64 exec, exec, s[14:15]
	s_cbranch_execnz .LBB49_100
; %bb.101:                              ;   in Loop: Header=BB49_2 Depth=1
	s_or_b64 exec, exec, s[14:15]
.LBB49_102:                             ;   in Loop: Header=BB49_2 Depth=1
	s_or_b64 exec, exec, s[12:13]
	v_add_u32_e32 v50, v51, v10
	v_sub_u32_e32 v51, v30, v51
	ds_read_u8 v52, v50
	ds_read_u8 v53, v51
	v_cmp_le_i32_e64 s[12:13], v23, v50
	v_cmp_gt_i32_e64 s[10:11], v24, v51
                                        ; implicit-def: $vgpr54
	s_waitcnt lgkmcnt(1)
	v_bfe_i32 v52, v52, 0, 8
	s_waitcnt lgkmcnt(0)
	v_bfe_i32 v53, v53, 0, 8
	v_cmp_lt_i16_e64 s[14:15], v53, v52
	s_or_b64 s[12:13], s[12:13], s[14:15]
	s_and_b64 s[10:11], s[10:11], s[12:13]
	s_xor_b64 s[12:13], s[10:11], -1
	s_and_saveexec_b64 s[14:15], s[12:13]
	s_xor_b64 s[12:13], exec, s[14:15]
	s_cbranch_execz .LBB49_104
; %bb.103:                              ;   in Loop: Header=BB49_2 Depth=1
	ds_read_u8 v54, v50 offset:1
.LBB49_104:                             ;   in Loop: Header=BB49_2 Depth=1
	s_or_saveexec_b64 s[12:13], s[12:13]
	v_mov_b32_e32 v55, v53
	s_xor_b64 exec, exec, s[12:13]
	s_cbranch_execz .LBB49_106
; %bb.105:                              ;   in Loop: Header=BB49_2 Depth=1
	ds_read_u8 v55, v51 offset:1
	s_waitcnt lgkmcnt(1)
	v_mov_b32_e32 v54, v52
.LBB49_106:                             ;   in Loop: Header=BB49_2 Depth=1
	s_or_b64 exec, exec, s[12:13]
	v_add_u32_e32 v57, 1, v50
	v_add_u32_e32 v56, 1, v51
	v_cndmask_b32_e64 v57, v57, v50, s[10:11]
	v_cndmask_b32_e64 v56, v51, v56, s[10:11]
	v_cmp_ge_i32_e64 s[14:15], v57, v23
	s_waitcnt lgkmcnt(0)
	v_cmp_lt_i16_sdwa s[16:17], sext(v55), sext(v54) src0_sel:BYTE_0 src1_sel:BYTE_0
	v_cmp_lt_i32_e64 s[12:13], v56, v24
	s_or_b64 s[14:15], s[14:15], s[16:17]
	s_and_b64 s[12:13], s[12:13], s[14:15]
	s_xor_b64 s[14:15], s[12:13], -1
                                        ; implicit-def: $vgpr58
	s_and_saveexec_b64 s[16:17], s[14:15]
	s_xor_b64 s[14:15], exec, s[16:17]
	s_cbranch_execz .LBB49_108
; %bb.107:                              ;   in Loop: Header=BB49_2 Depth=1
	ds_read_u8 v58, v57 offset:1
.LBB49_108:                             ;   in Loop: Header=BB49_2 Depth=1
	s_or_saveexec_b64 s[14:15], s[14:15]
	v_mov_b32_e32 v59, v55
	s_xor_b64 exec, exec, s[14:15]
	s_cbranch_execz .LBB49_110
; %bb.109:                              ;   in Loop: Header=BB49_2 Depth=1
	ds_read_u8 v59, v56 offset:1
	s_waitcnt lgkmcnt(1)
	v_mov_b32_e32 v58, v54
.LBB49_110:                             ;   in Loop: Header=BB49_2 Depth=1
	s_or_b64 exec, exec, s[14:15]
	v_add_u32_e32 v61, 1, v57
	v_add_u32_e32 v60, 1, v56
	v_cndmask_b32_e64 v61, v61, v57, s[12:13]
	v_cndmask_b32_e64 v60, v56, v60, s[12:13]
	v_cmp_ge_i32_e64 s[16:17], v61, v23
	s_waitcnt lgkmcnt(0)
	v_cmp_lt_i16_sdwa s[18:19], sext(v59), sext(v58) src0_sel:BYTE_0 src1_sel:BYTE_0
	v_cmp_lt_i32_e64 s[14:15], v60, v24
	s_or_b64 s[16:17], s[16:17], s[18:19]
	s_and_b64 s[14:15], s[14:15], s[16:17]
	s_xor_b64 s[16:17], s[14:15], -1
                                        ; implicit-def: $vgpr62
	s_and_saveexec_b64 s[18:19], s[16:17]
	s_xor_b64 s[16:17], exec, s[18:19]
	s_cbranch_execz .LBB49_112
; %bb.111:                              ;   in Loop: Header=BB49_2 Depth=1
	ds_read_u8 v62, v61 offset:1
.LBB49_112:                             ;   in Loop: Header=BB49_2 Depth=1
	s_or_saveexec_b64 s[16:17], s[16:17]
	v_mov_b32_e32 v63, v59
	s_xor_b64 exec, exec, s[16:17]
	s_cbranch_execz .LBB49_114
; %bb.113:                              ;   in Loop: Header=BB49_2 Depth=1
	ds_read_u8 v63, v60 offset:1
	s_waitcnt lgkmcnt(1)
	v_mov_b32_e32 v62, v58
.LBB49_114:                             ;   in Loop: Header=BB49_2 Depth=1
	s_or_b64 exec, exec, s[16:17]
	v_add_u32_e32 v65, 1, v61
	v_add_u32_e32 v64, 1, v60
	v_cndmask_b32_e64 v65, v65, v61, s[14:15]
	v_cndmask_b32_e64 v64, v60, v64, s[14:15]
	v_cmp_ge_i32_e64 s[18:19], v65, v23
	s_waitcnt lgkmcnt(0)
	v_cmp_lt_i16_sdwa s[20:21], sext(v63), sext(v62) src0_sel:BYTE_0 src1_sel:BYTE_0
	v_cmp_lt_i32_e64 s[16:17], v64, v24
	s_or_b64 s[18:19], s[18:19], s[20:21]
	s_and_b64 s[16:17], s[16:17], s[18:19]
	s_xor_b64 s[18:19], s[16:17], -1
                                        ; implicit-def: $vgpr66
	s_and_saveexec_b64 s[20:21], s[18:19]
	s_xor_b64 s[18:19], exec, s[20:21]
	s_cbranch_execz .LBB49_116
; %bb.115:                              ;   in Loop: Header=BB49_2 Depth=1
	ds_read_u8 v66, v65 offset:1
.LBB49_116:                             ;   in Loop: Header=BB49_2 Depth=1
	s_or_saveexec_b64 s[18:19], s[18:19]
	v_mov_b32_e32 v67, v63
	s_xor_b64 exec, exec, s[18:19]
	s_cbranch_execz .LBB49_118
; %bb.117:                              ;   in Loop: Header=BB49_2 Depth=1
	ds_read_u8 v67, v64 offset:1
	s_waitcnt lgkmcnt(1)
	v_mov_b32_e32 v66, v62
.LBB49_118:                             ;   in Loop: Header=BB49_2 Depth=1
	s_or_b64 exec, exec, s[18:19]
	v_add_u32_e32 v69, 1, v65
	v_add_u32_e32 v68, 1, v64
	v_cndmask_b32_e64 v69, v69, v65, s[16:17]
	v_cndmask_b32_e64 v68, v64, v68, s[16:17]
	v_cmp_ge_i32_e64 s[20:21], v69, v23
	s_waitcnt lgkmcnt(0)
	v_cmp_lt_i16_sdwa s[22:23], sext(v67), sext(v66) src0_sel:BYTE_0 src1_sel:BYTE_0
	v_cmp_lt_i32_e64 s[18:19], v68, v24
	s_or_b64 s[20:21], s[20:21], s[22:23]
	s_and_b64 s[18:19], s[18:19], s[20:21]
	s_xor_b64 s[20:21], s[18:19], -1
                                        ; implicit-def: $vgpr70
	s_and_saveexec_b64 s[22:23], s[20:21]
	s_xor_b64 s[20:21], exec, s[22:23]
	s_cbranch_execz .LBB49_120
; %bb.119:                              ;   in Loop: Header=BB49_2 Depth=1
	ds_read_u8 v70, v69 offset:1
.LBB49_120:                             ;   in Loop: Header=BB49_2 Depth=1
	s_or_saveexec_b64 s[20:21], s[20:21]
	v_mov_b32_e32 v71, v67
	s_xor_b64 exec, exec, s[20:21]
	s_cbranch_execz .LBB49_122
; %bb.121:                              ;   in Loop: Header=BB49_2 Depth=1
	ds_read_u8 v71, v68 offset:1
	s_waitcnt lgkmcnt(1)
	v_mov_b32_e32 v70, v66
.LBB49_122:                             ;   in Loop: Header=BB49_2 Depth=1
	s_or_b64 exec, exec, s[20:21]
	v_add_u32_e32 v73, 1, v69
	v_add_u32_e32 v72, 1, v68
	v_cndmask_b32_e64 v73, v73, v69, s[18:19]
	v_cndmask_b32_e64 v72, v68, v72, s[18:19]
	v_cmp_ge_i32_e64 s[22:23], v73, v23
	s_waitcnt lgkmcnt(0)
	v_cmp_lt_i16_sdwa s[24:25], sext(v71), sext(v70) src0_sel:BYTE_0 src1_sel:BYTE_0
	v_cmp_lt_i32_e64 s[20:21], v72, v24
	s_or_b64 s[22:23], s[22:23], s[24:25]
	s_and_b64 s[20:21], s[20:21], s[22:23]
	s_xor_b64 s[22:23], s[20:21], -1
                                        ; implicit-def: $vgpr74
	s_and_saveexec_b64 s[24:25], s[22:23]
	s_xor_b64 s[22:23], exec, s[24:25]
	s_cbranch_execz .LBB49_124
; %bb.123:                              ;   in Loop: Header=BB49_2 Depth=1
	ds_read_u8 v74, v73 offset:1
.LBB49_124:                             ;   in Loop: Header=BB49_2 Depth=1
	s_or_saveexec_b64 s[22:23], s[22:23]
	v_mov_b32_e32 v75, v71
	s_xor_b64 exec, exec, s[22:23]
	s_cbranch_execz .LBB49_126
; %bb.125:                              ;   in Loop: Header=BB49_2 Depth=1
	ds_read_u8 v75, v72 offset:1
	s_waitcnt lgkmcnt(1)
	v_mov_b32_e32 v74, v70
.LBB49_126:                             ;   in Loop: Header=BB49_2 Depth=1
	s_or_b64 exec, exec, s[22:23]
	v_add_u32_e32 v78, 1, v73
	v_add_u32_e32 v76, 1, v72
	v_cndmask_b32_e64 v78, v78, v73, s[20:21]
	v_cndmask_b32_e64 v77, v72, v76, s[20:21]
	v_cmp_ge_i32_e64 s[24:25], v78, v23
	s_waitcnt lgkmcnt(0)
	v_cmp_lt_i16_sdwa s[26:27], sext(v75), sext(v74) src0_sel:BYTE_0 src1_sel:BYTE_0
	v_cmp_lt_i32_e64 s[22:23], v77, v24
	s_or_b64 s[24:25], s[24:25], s[26:27]
	s_and_b64 s[22:23], s[22:23], s[24:25]
	s_xor_b64 s[24:25], s[22:23], -1
                                        ; implicit-def: $vgpr76
	s_and_saveexec_b64 s[26:27], s[24:25]
	s_xor_b64 s[24:25], exec, s[26:27]
	s_cbranch_execz .LBB49_128
; %bb.127:                              ;   in Loop: Header=BB49_2 Depth=1
	ds_read_u8 v76, v78 offset:1
.LBB49_128:                             ;   in Loop: Header=BB49_2 Depth=1
	s_or_saveexec_b64 s[24:25], s[24:25]
	v_mov_b32_e32 v79, v75
	s_xor_b64 exec, exec, s[24:25]
	s_cbranch_execz .LBB49_130
; %bb.129:                              ;   in Loop: Header=BB49_2 Depth=1
	ds_read_u8 v79, v77 offset:1
	s_waitcnt lgkmcnt(1)
	v_mov_b32_e32 v76, v74
.LBB49_130:                             ;   in Loop: Header=BB49_2 Depth=1
	s_or_b64 exec, exec, s[24:25]
	v_add_u32_e32 v80, 1, v78
	v_cndmask_b32_e64 v74, v74, v75, s[22:23]
	v_add_u32_e32 v75, 1, v77
	v_cndmask_b32_e64 v80, v80, v78, s[22:23]
	v_cndmask_b32_e64 v75, v77, v75, s[22:23]
	;; [unrolled: 1-line block ×6, first 2 shown]
	v_cmp_ge_i32_e64 s[12:13], v80, v23
	s_waitcnt lgkmcnt(0)
	v_cmp_lt_i16_sdwa s[14:15], sext(v79), sext(v76) src0_sel:BYTE_0 src1_sel:BYTE_0
	v_lshlrev_b16_e32 v44, 8, v44
	v_cndmask_b32_e64 v52, v52, v53, s[10:11]
	v_cndmask_b32_e64 v50, v50, v51, s[10:11]
	v_cmp_lt_i32_e64 s[10:11], v75, v24
	s_or_b64 s[12:13], s[12:13], s[14:15]
	v_lshlrev_b16_e32 v49, 8, v49
	v_lshlrev_b16_e32 v46, 8, v46
	v_or_b32_sdwa v42, v42, v44 dst_sel:DWORD dst_unused:UNUSED_PAD src0_sel:BYTE_0 src1_sel:DWORD
	v_lshlrev_b16_e32 v44, 8, v45
	s_and_b64 s[10:11], s[10:11], s[12:13]
	v_or_b32_sdwa v47, v47, v49 dst_sel:DWORD dst_unused:UNUSED_PAD src0_sel:BYTE_0 src1_sel:DWORD
	v_or_b32_sdwa v46, v48, v46 dst_sel:WORD_1 dst_unused:UNUSED_PAD src0_sel:BYTE_0 src1_sel:DWORD
	v_or_b32_sdwa v43, v43, v44 dst_sel:WORD_1 dst_unused:UNUSED_PAD src0_sel:BYTE_0 src1_sel:DWORD
	v_cndmask_b32_e64 v53, v80, v75, s[10:11]
	v_or_b32_sdwa v47, v47, v46 dst_sel:DWORD dst_unused:UNUSED_PAD src0_sel:WORD_0 src1_sel:DWORD
	v_or_b32_sdwa v46, v42, v43 dst_sel:DWORD dst_unused:UNUSED_PAD src0_sel:WORD_0 src1_sel:DWORD
	v_cndmask_b32_e64 v77, v78, v77, s[22:23]
	v_cndmask_b32_e64 v70, v70, v71, s[20:21]
	;; [unrolled: 1-line block ×7, first 2 shown]
	s_waitcnt lgkmcnt(0)
	; wave barrier
	ds_write_b64 v3, v[46:47]
	s_waitcnt lgkmcnt(0)
	; wave barrier
	s_waitcnt lgkmcnt(0)
	ds_read_u8 v46, v53
	ds_read_u8 v42, v50
	;; [unrolled: 1-line block ×8, first 2 shown]
	v_lshlrev_b16_e32 v50, 8, v54
	v_or_b32_sdwa v50, v52, v50 dst_sel:DWORD dst_unused:UNUSED_PAD src0_sel:BYTE_0 src1_sel:DWORD
	v_lshlrev_b16_e32 v52, 8, v62
	v_cndmask_b32_e64 v51, v76, v79, s[10:11]
	v_or_b32_sdwa v52, v58, v52 dst_sel:WORD_1 dst_unused:UNUSED_PAD src0_sel:BYTE_0 src1_sel:DWORD
	v_lshlrev_b16_e32 v51, 8, v51
	v_or_b32_sdwa v50, v50, v52 dst_sel:DWORD dst_unused:UNUSED_PAD src0_sel:WORD_0 src1_sel:DWORD
	v_lshlrev_b16_e32 v52, 8, v70
	v_or_b32_sdwa v52, v66, v52 dst_sel:DWORD dst_unused:UNUSED_PAD src0_sel:BYTE_0 src1_sel:DWORD
	v_or_b32_sdwa v51, v74, v51 dst_sel:WORD_1 dst_unused:UNUSED_PAD src0_sel:BYTE_0 src1_sel:DWORD
	s_waitcnt lgkmcnt(0)
	v_or_b32_sdwa v51, v52, v51 dst_sel:DWORD dst_unused:UNUSED_PAD src0_sel:WORD_0 src1_sel:DWORD
	; wave barrier
	ds_write_b64 v3, v[50:51]
	v_mov_b32_e32 v51, v41
	s_waitcnt lgkmcnt(0)
	; wave barrier
	s_waitcnt lgkmcnt(0)
	s_and_saveexec_b64 s[12:13], s[8:9]
	s_cbranch_execz .LBB49_134
; %bb.131:                              ;   in Loop: Header=BB49_2 Depth=1
	s_mov_b64 s[14:15], 0
	v_mov_b32_e32 v51, v41
	v_mov_b32_e32 v50, v36
.LBB49_132:                             ;   Parent Loop BB49_2 Depth=1
                                        ; =>  This Inner Loop Header: Depth=2
	v_sub_u32_e32 v52, v50, v51
	v_lshrrev_b32_e32 v53, 31, v52
	v_add_u32_e32 v52, v52, v53
	v_ashrrev_i32_e32 v52, 1, v52
	v_add_u32_e32 v52, v52, v51
	v_not_b32_e32 v54, v52
	v_add_u32_e32 v53, v12, v52
	v_add3_u32 v54, v13, v54, v25
	ds_read_i8 v53, v53
	ds_read_i8 v54, v54
	v_add_u32_e32 v55, 1, v52
	s_waitcnt lgkmcnt(0)
	v_cmp_lt_i16_e64 s[10:11], v54, v53
	s_nop 1
	v_cndmask_b32_e64 v50, v50, v52, s[10:11]
	v_cndmask_b32_e64 v51, v55, v51, s[10:11]
	v_cmp_ge_i32_e64 s[10:11], v51, v50
	s_or_b64 s[14:15], s[10:11], s[14:15]
	s_andn2_b64 exec, exec, s[14:15]
	s_cbranch_execnz .LBB49_132
; %bb.133:                              ;   in Loop: Header=BB49_2 Depth=1
	s_or_b64 exec, exec, s[14:15]
.LBB49_134:                             ;   in Loop: Header=BB49_2 Depth=1
	s_or_b64 exec, exec, s[12:13]
	v_add_u32_e32 v50, v51, v12
	v_sub_u32_e32 v51, v31, v51
	ds_read_u8 v52, v50
	ds_read_u8 v53, v51
	v_cmp_le_i32_e64 s[12:13], v25, v50
	v_cmp_gt_i32_e64 s[10:11], v26, v51
                                        ; implicit-def: $vgpr54
	s_waitcnt lgkmcnt(1)
	v_bfe_i32 v52, v52, 0, 8
	s_waitcnt lgkmcnt(0)
	v_bfe_i32 v53, v53, 0, 8
	v_cmp_lt_i16_e64 s[14:15], v53, v52
	s_or_b64 s[12:13], s[12:13], s[14:15]
	s_and_b64 s[10:11], s[10:11], s[12:13]
	s_xor_b64 s[12:13], s[10:11], -1
	s_and_saveexec_b64 s[14:15], s[12:13]
	s_xor_b64 s[12:13], exec, s[14:15]
	s_cbranch_execz .LBB49_136
; %bb.135:                              ;   in Loop: Header=BB49_2 Depth=1
	ds_read_u8 v54, v50 offset:1
.LBB49_136:                             ;   in Loop: Header=BB49_2 Depth=1
	s_or_saveexec_b64 s[12:13], s[12:13]
	v_mov_b32_e32 v55, v53
	s_xor_b64 exec, exec, s[12:13]
	s_cbranch_execz .LBB49_138
; %bb.137:                              ;   in Loop: Header=BB49_2 Depth=1
	ds_read_u8 v55, v51 offset:1
	s_waitcnt lgkmcnt(1)
	v_mov_b32_e32 v54, v52
.LBB49_138:                             ;   in Loop: Header=BB49_2 Depth=1
	s_or_b64 exec, exec, s[12:13]
	v_add_u32_e32 v57, 1, v50
	v_add_u32_e32 v56, 1, v51
	v_cndmask_b32_e64 v57, v57, v50, s[10:11]
	v_cndmask_b32_e64 v56, v51, v56, s[10:11]
	v_cmp_ge_i32_e64 s[14:15], v57, v25
	s_waitcnt lgkmcnt(0)
	v_cmp_lt_i16_sdwa s[16:17], sext(v55), sext(v54) src0_sel:BYTE_0 src1_sel:BYTE_0
	v_cmp_lt_i32_e64 s[12:13], v56, v26
	s_or_b64 s[14:15], s[14:15], s[16:17]
	s_and_b64 s[12:13], s[12:13], s[14:15]
	s_xor_b64 s[14:15], s[12:13], -1
                                        ; implicit-def: $vgpr58
	s_and_saveexec_b64 s[16:17], s[14:15]
	s_xor_b64 s[14:15], exec, s[16:17]
	s_cbranch_execz .LBB49_140
; %bb.139:                              ;   in Loop: Header=BB49_2 Depth=1
	ds_read_u8 v58, v57 offset:1
.LBB49_140:                             ;   in Loop: Header=BB49_2 Depth=1
	s_or_saveexec_b64 s[14:15], s[14:15]
	v_mov_b32_e32 v59, v55
	s_xor_b64 exec, exec, s[14:15]
	s_cbranch_execz .LBB49_142
; %bb.141:                              ;   in Loop: Header=BB49_2 Depth=1
	ds_read_u8 v59, v56 offset:1
	s_waitcnt lgkmcnt(1)
	v_mov_b32_e32 v58, v54
.LBB49_142:                             ;   in Loop: Header=BB49_2 Depth=1
	s_or_b64 exec, exec, s[14:15]
	v_add_u32_e32 v61, 1, v57
	v_add_u32_e32 v60, 1, v56
	v_cndmask_b32_e64 v61, v61, v57, s[12:13]
	v_cndmask_b32_e64 v60, v56, v60, s[12:13]
	v_cmp_ge_i32_e64 s[16:17], v61, v25
	s_waitcnt lgkmcnt(0)
	v_cmp_lt_i16_sdwa s[18:19], sext(v59), sext(v58) src0_sel:BYTE_0 src1_sel:BYTE_0
	v_cmp_lt_i32_e64 s[14:15], v60, v26
	s_or_b64 s[16:17], s[16:17], s[18:19]
	s_and_b64 s[14:15], s[14:15], s[16:17]
	s_xor_b64 s[16:17], s[14:15], -1
                                        ; implicit-def: $vgpr62
	s_and_saveexec_b64 s[18:19], s[16:17]
	s_xor_b64 s[16:17], exec, s[18:19]
	s_cbranch_execz .LBB49_144
; %bb.143:                              ;   in Loop: Header=BB49_2 Depth=1
	ds_read_u8 v62, v61 offset:1
.LBB49_144:                             ;   in Loop: Header=BB49_2 Depth=1
	s_or_saveexec_b64 s[16:17], s[16:17]
	v_mov_b32_e32 v63, v59
	s_xor_b64 exec, exec, s[16:17]
	s_cbranch_execz .LBB49_146
; %bb.145:                              ;   in Loop: Header=BB49_2 Depth=1
	ds_read_u8 v63, v60 offset:1
	s_waitcnt lgkmcnt(1)
	v_mov_b32_e32 v62, v58
.LBB49_146:                             ;   in Loop: Header=BB49_2 Depth=1
	s_or_b64 exec, exec, s[16:17]
	v_add_u32_e32 v65, 1, v61
	v_add_u32_e32 v64, 1, v60
	v_cndmask_b32_e64 v65, v65, v61, s[14:15]
	v_cndmask_b32_e64 v64, v60, v64, s[14:15]
	v_cmp_ge_i32_e64 s[18:19], v65, v25
	s_waitcnt lgkmcnt(0)
	v_cmp_lt_i16_sdwa s[20:21], sext(v63), sext(v62) src0_sel:BYTE_0 src1_sel:BYTE_0
	v_cmp_lt_i32_e64 s[16:17], v64, v26
	s_or_b64 s[18:19], s[18:19], s[20:21]
	s_and_b64 s[16:17], s[16:17], s[18:19]
	s_xor_b64 s[18:19], s[16:17], -1
                                        ; implicit-def: $vgpr66
	s_and_saveexec_b64 s[20:21], s[18:19]
	s_xor_b64 s[18:19], exec, s[20:21]
	s_cbranch_execz .LBB49_148
; %bb.147:                              ;   in Loop: Header=BB49_2 Depth=1
	ds_read_u8 v66, v65 offset:1
.LBB49_148:                             ;   in Loop: Header=BB49_2 Depth=1
	s_or_saveexec_b64 s[18:19], s[18:19]
	v_mov_b32_e32 v67, v63
	s_xor_b64 exec, exec, s[18:19]
	s_cbranch_execz .LBB49_150
; %bb.149:                              ;   in Loop: Header=BB49_2 Depth=1
	ds_read_u8 v67, v64 offset:1
	s_waitcnt lgkmcnt(1)
	v_mov_b32_e32 v66, v62
.LBB49_150:                             ;   in Loop: Header=BB49_2 Depth=1
	s_or_b64 exec, exec, s[18:19]
	v_add_u32_e32 v69, 1, v65
	v_add_u32_e32 v68, 1, v64
	v_cndmask_b32_e64 v69, v69, v65, s[16:17]
	v_cndmask_b32_e64 v68, v64, v68, s[16:17]
	v_cmp_ge_i32_e64 s[20:21], v69, v25
	s_waitcnt lgkmcnt(0)
	v_cmp_lt_i16_sdwa s[22:23], sext(v67), sext(v66) src0_sel:BYTE_0 src1_sel:BYTE_0
	v_cmp_lt_i32_e64 s[18:19], v68, v26
	s_or_b64 s[20:21], s[20:21], s[22:23]
	s_and_b64 s[18:19], s[18:19], s[20:21]
	s_xor_b64 s[20:21], s[18:19], -1
                                        ; implicit-def: $vgpr70
	s_and_saveexec_b64 s[22:23], s[20:21]
	s_xor_b64 s[20:21], exec, s[22:23]
	s_cbranch_execz .LBB49_152
; %bb.151:                              ;   in Loop: Header=BB49_2 Depth=1
	ds_read_u8 v70, v69 offset:1
.LBB49_152:                             ;   in Loop: Header=BB49_2 Depth=1
	s_or_saveexec_b64 s[20:21], s[20:21]
	v_mov_b32_e32 v71, v67
	s_xor_b64 exec, exec, s[20:21]
	s_cbranch_execz .LBB49_154
; %bb.153:                              ;   in Loop: Header=BB49_2 Depth=1
	ds_read_u8 v71, v68 offset:1
	s_waitcnt lgkmcnt(1)
	v_mov_b32_e32 v70, v66
.LBB49_154:                             ;   in Loop: Header=BB49_2 Depth=1
	s_or_b64 exec, exec, s[20:21]
	v_add_u32_e32 v73, 1, v69
	v_add_u32_e32 v72, 1, v68
	v_cndmask_b32_e64 v73, v73, v69, s[18:19]
	v_cndmask_b32_e64 v72, v68, v72, s[18:19]
	v_cmp_ge_i32_e64 s[22:23], v73, v25
	s_waitcnt lgkmcnt(0)
	v_cmp_lt_i16_sdwa s[24:25], sext(v71), sext(v70) src0_sel:BYTE_0 src1_sel:BYTE_0
	v_cmp_lt_i32_e64 s[20:21], v72, v26
	s_or_b64 s[22:23], s[22:23], s[24:25]
	s_and_b64 s[20:21], s[20:21], s[22:23]
	s_xor_b64 s[22:23], s[20:21], -1
                                        ; implicit-def: $vgpr74
	s_and_saveexec_b64 s[24:25], s[22:23]
	s_xor_b64 s[22:23], exec, s[24:25]
	s_cbranch_execz .LBB49_156
; %bb.155:                              ;   in Loop: Header=BB49_2 Depth=1
	ds_read_u8 v74, v73 offset:1
.LBB49_156:                             ;   in Loop: Header=BB49_2 Depth=1
	s_or_saveexec_b64 s[22:23], s[22:23]
	v_mov_b32_e32 v75, v71
	s_xor_b64 exec, exec, s[22:23]
	s_cbranch_execz .LBB49_158
; %bb.157:                              ;   in Loop: Header=BB49_2 Depth=1
	ds_read_u8 v75, v72 offset:1
	s_waitcnt lgkmcnt(1)
	v_mov_b32_e32 v74, v70
.LBB49_158:                             ;   in Loop: Header=BB49_2 Depth=1
	s_or_b64 exec, exec, s[22:23]
	v_add_u32_e32 v78, 1, v73
	v_add_u32_e32 v76, 1, v72
	v_cndmask_b32_e64 v78, v78, v73, s[20:21]
	v_cndmask_b32_e64 v77, v72, v76, s[20:21]
	v_cmp_ge_i32_e64 s[24:25], v78, v25
	s_waitcnt lgkmcnt(0)
	v_cmp_lt_i16_sdwa s[26:27], sext(v75), sext(v74) src0_sel:BYTE_0 src1_sel:BYTE_0
	v_cmp_lt_i32_e64 s[22:23], v77, v26
	s_or_b64 s[24:25], s[24:25], s[26:27]
	s_and_b64 s[22:23], s[22:23], s[24:25]
	s_xor_b64 s[24:25], s[22:23], -1
                                        ; implicit-def: $vgpr76
	s_and_saveexec_b64 s[26:27], s[24:25]
	s_xor_b64 s[24:25], exec, s[26:27]
	s_cbranch_execz .LBB49_160
; %bb.159:                              ;   in Loop: Header=BB49_2 Depth=1
	ds_read_u8 v76, v78 offset:1
.LBB49_160:                             ;   in Loop: Header=BB49_2 Depth=1
	s_or_saveexec_b64 s[24:25], s[24:25]
	v_mov_b32_e32 v79, v75
	s_xor_b64 exec, exec, s[24:25]
	s_cbranch_execz .LBB49_162
; %bb.161:                              ;   in Loop: Header=BB49_2 Depth=1
	ds_read_u8 v79, v77 offset:1
	s_waitcnt lgkmcnt(1)
	v_mov_b32_e32 v76, v74
.LBB49_162:                             ;   in Loop: Header=BB49_2 Depth=1
	s_or_b64 exec, exec, s[24:25]
	v_add_u32_e32 v80, 1, v78
	v_cndmask_b32_e64 v74, v74, v75, s[22:23]
	v_add_u32_e32 v75, 1, v77
	v_cndmask_b32_e64 v80, v80, v78, s[22:23]
	v_cndmask_b32_e64 v75, v77, v75, s[22:23]
	;; [unrolled: 1-line block ×6, first 2 shown]
	v_cmp_ge_i32_e64 s[12:13], v80, v25
	s_waitcnt lgkmcnt(0)
	v_cmp_lt_i16_sdwa s[14:15], sext(v79), sext(v76) src0_sel:BYTE_0 src1_sel:BYTE_0
	v_lshlrev_b16_e32 v44, 8, v44
	v_cndmask_b32_e64 v52, v52, v53, s[10:11]
	v_cndmask_b32_e64 v50, v50, v51, s[10:11]
	v_cmp_lt_i32_e64 s[10:11], v75, v26
	s_or_b64 s[12:13], s[12:13], s[14:15]
	v_lshlrev_b16_e32 v49, 8, v49
	v_lshlrev_b16_e32 v46, 8, v46
	v_or_b32_sdwa v42, v42, v44 dst_sel:DWORD dst_unused:UNUSED_PAD src0_sel:BYTE_0 src1_sel:DWORD
	v_lshlrev_b16_e32 v44, 8, v45
	s_and_b64 s[10:11], s[10:11], s[12:13]
	v_or_b32_sdwa v47, v47, v49 dst_sel:DWORD dst_unused:UNUSED_PAD src0_sel:BYTE_0 src1_sel:DWORD
	v_or_b32_sdwa v46, v48, v46 dst_sel:WORD_1 dst_unused:UNUSED_PAD src0_sel:BYTE_0 src1_sel:DWORD
	v_or_b32_sdwa v43, v43, v44 dst_sel:WORD_1 dst_unused:UNUSED_PAD src0_sel:BYTE_0 src1_sel:DWORD
	v_cndmask_b32_e64 v53, v80, v75, s[10:11]
	v_or_b32_sdwa v47, v47, v46 dst_sel:DWORD dst_unused:UNUSED_PAD src0_sel:WORD_0 src1_sel:DWORD
	v_or_b32_sdwa v46, v42, v43 dst_sel:DWORD dst_unused:UNUSED_PAD src0_sel:WORD_0 src1_sel:DWORD
	v_cndmask_b32_e64 v77, v78, v77, s[22:23]
	v_cndmask_b32_e64 v70, v70, v71, s[20:21]
	;; [unrolled: 1-line block ×7, first 2 shown]
	s_waitcnt lgkmcnt(0)
	; wave barrier
	ds_write_b64 v3, v[46:47]
	s_waitcnt lgkmcnt(0)
	; wave barrier
	s_waitcnt lgkmcnt(0)
	ds_read_u8 v46, v53
	ds_read_u8 v42, v50
	;; [unrolled: 1-line block ×8, first 2 shown]
	v_lshlrev_b16_e32 v50, 8, v54
	v_or_b32_sdwa v50, v52, v50 dst_sel:DWORD dst_unused:UNUSED_PAD src0_sel:BYTE_0 src1_sel:DWORD
	v_lshlrev_b16_e32 v52, 8, v62
	v_cndmask_b32_e64 v51, v76, v79, s[10:11]
	v_or_b32_sdwa v52, v58, v52 dst_sel:WORD_1 dst_unused:UNUSED_PAD src0_sel:BYTE_0 src1_sel:DWORD
	v_lshlrev_b16_e32 v51, 8, v51
	v_or_b32_sdwa v50, v50, v52 dst_sel:DWORD dst_unused:UNUSED_PAD src0_sel:WORD_0 src1_sel:DWORD
	v_lshlrev_b16_e32 v52, 8, v70
	v_or_b32_sdwa v52, v66, v52 dst_sel:DWORD dst_unused:UNUSED_PAD src0_sel:BYTE_0 src1_sel:DWORD
	v_or_b32_sdwa v51, v74, v51 dst_sel:WORD_1 dst_unused:UNUSED_PAD src0_sel:BYTE_0 src1_sel:DWORD
	s_waitcnt lgkmcnt(0)
	v_or_b32_sdwa v51, v52, v51 dst_sel:DWORD dst_unused:UNUSED_PAD src0_sel:WORD_0 src1_sel:DWORD
	; wave barrier
	ds_write_b64 v3, v[50:51]
	v_mov_b32_e32 v50, v14
	s_waitcnt lgkmcnt(0)
	; wave barrier
	s_waitcnt lgkmcnt(0)
	s_and_saveexec_b64 s[12:13], vcc
	s_cbranch_execz .LBB49_166
; %bb.163:                              ;   in Loop: Header=BB49_2 Depth=1
	s_mov_b64 s[14:15], 0
	v_mov_b32_e32 v50, v14
	v_mov_b32_e32 v51, v15
.LBB49_164:                             ;   Parent Loop BB49_2 Depth=1
                                        ; =>  This Inner Loop Header: Depth=2
	v_sub_u32_e32 v52, v51, v50
	v_lshrrev_b32_e32 v53, 31, v52
	v_add_u32_e32 v52, v52, v53
	v_ashrrev_i32_e32 v52, 1, v52
	v_add_u32_e32 v52, v52, v50
	v_not_b32_e32 v53, v52
	v_add3_u32 v53, v3, v53, v2
	ds_read_i8 v54, v52
	ds_read_i8 v53, v53
	v_add_u32_e32 v55, 1, v52
	s_waitcnt lgkmcnt(0)
	v_cmp_lt_i16_e64 s[10:11], v53, v54
	s_nop 1
	v_cndmask_b32_e64 v51, v51, v52, s[10:11]
	v_cndmask_b32_e64 v50, v55, v50, s[10:11]
	v_cmp_ge_i32_e64 s[10:11], v50, v51
	s_or_b64 s[14:15], s[10:11], s[14:15]
	s_andn2_b64 exec, exec, s[14:15]
	s_cbranch_execnz .LBB49_164
; %bb.165:                              ;   in Loop: Header=BB49_2 Depth=1
	s_or_b64 exec, exec, s[14:15]
.LBB49_166:                             ;   in Loop: Header=BB49_2 Depth=1
	s_or_b64 exec, exec, s[12:13]
	v_sub_u32_e32 v51, v16, v50
	ds_read_u8 v52, v50
	ds_read_u8 v53, v51
	v_cmp_le_i32_e64 s[12:13], v2, v50
	v_cmp_gt_i32_e64 s[10:11], s95, v51
                                        ; implicit-def: $vgpr54
	s_waitcnt lgkmcnt(1)
	v_bfe_i32 v52, v52, 0, 8
	s_waitcnt lgkmcnt(0)
	v_bfe_i32 v53, v53, 0, 8
	v_cmp_lt_i16_e64 s[14:15], v53, v52
	s_or_b64 s[12:13], s[12:13], s[14:15]
	s_and_b64 s[10:11], s[10:11], s[12:13]
	s_xor_b64 s[12:13], s[10:11], -1
	s_and_saveexec_b64 s[14:15], s[12:13]
	s_xor_b64 s[12:13], exec, s[14:15]
	s_cbranch_execz .LBB49_168
; %bb.167:                              ;   in Loop: Header=BB49_2 Depth=1
	ds_read_u8 v54, v50 offset:1
.LBB49_168:                             ;   in Loop: Header=BB49_2 Depth=1
	s_or_saveexec_b64 s[12:13], s[12:13]
	v_mov_b32_e32 v55, v53
	s_xor_b64 exec, exec, s[12:13]
	s_cbranch_execz .LBB49_170
; %bb.169:                              ;   in Loop: Header=BB49_2 Depth=1
	ds_read_u8 v55, v51 offset:1
	s_waitcnt lgkmcnt(1)
	v_mov_b32_e32 v54, v52
.LBB49_170:                             ;   in Loop: Header=BB49_2 Depth=1
	s_or_b64 exec, exec, s[12:13]
	v_add_u32_e32 v57, 1, v50
	v_add_u32_e32 v56, 1, v51
	v_cndmask_b32_e64 v57, v57, v50, s[10:11]
	v_cndmask_b32_e64 v56, v51, v56, s[10:11]
	v_cmp_ge_i32_e64 s[14:15], v57, v2
	s_waitcnt lgkmcnt(0)
	v_cmp_lt_i16_sdwa s[16:17], sext(v55), sext(v54) src0_sel:BYTE_0 src1_sel:BYTE_0
	v_cmp_gt_i32_e64 s[12:13], s95, v56
	s_or_b64 s[14:15], s[14:15], s[16:17]
	s_and_b64 s[12:13], s[12:13], s[14:15]
	s_xor_b64 s[14:15], s[12:13], -1
                                        ; implicit-def: $vgpr58
	s_and_saveexec_b64 s[16:17], s[14:15]
	s_xor_b64 s[14:15], exec, s[16:17]
	s_cbranch_execz .LBB49_172
; %bb.171:                              ;   in Loop: Header=BB49_2 Depth=1
	ds_read_u8 v58, v57 offset:1
.LBB49_172:                             ;   in Loop: Header=BB49_2 Depth=1
	s_or_saveexec_b64 s[14:15], s[14:15]
	v_mov_b32_e32 v59, v55
	s_xor_b64 exec, exec, s[14:15]
	s_cbranch_execz .LBB49_174
; %bb.173:                              ;   in Loop: Header=BB49_2 Depth=1
	ds_read_u8 v59, v56 offset:1
	s_waitcnt lgkmcnt(1)
	v_mov_b32_e32 v58, v54
.LBB49_174:                             ;   in Loop: Header=BB49_2 Depth=1
	s_or_b64 exec, exec, s[14:15]
	v_add_u32_e32 v61, 1, v57
	v_add_u32_e32 v60, 1, v56
	v_cndmask_b32_e64 v61, v61, v57, s[12:13]
	v_cndmask_b32_e64 v60, v56, v60, s[12:13]
	v_cmp_ge_i32_e64 s[16:17], v61, v2
	s_waitcnt lgkmcnt(0)
	v_cmp_lt_i16_sdwa s[18:19], sext(v59), sext(v58) src0_sel:BYTE_0 src1_sel:BYTE_0
	v_cmp_gt_i32_e64 s[14:15], s95, v60
	s_or_b64 s[16:17], s[16:17], s[18:19]
	s_and_b64 s[14:15], s[14:15], s[16:17]
	s_xor_b64 s[16:17], s[14:15], -1
                                        ; implicit-def: $vgpr62
	s_and_saveexec_b64 s[18:19], s[16:17]
	s_xor_b64 s[16:17], exec, s[18:19]
	s_cbranch_execz .LBB49_176
; %bb.175:                              ;   in Loop: Header=BB49_2 Depth=1
	ds_read_u8 v62, v61 offset:1
.LBB49_176:                             ;   in Loop: Header=BB49_2 Depth=1
	s_or_saveexec_b64 s[16:17], s[16:17]
	v_mov_b32_e32 v63, v59
	s_xor_b64 exec, exec, s[16:17]
	s_cbranch_execz .LBB49_178
; %bb.177:                              ;   in Loop: Header=BB49_2 Depth=1
	ds_read_u8 v63, v60 offset:1
	s_waitcnt lgkmcnt(1)
	v_mov_b32_e32 v62, v58
.LBB49_178:                             ;   in Loop: Header=BB49_2 Depth=1
	s_or_b64 exec, exec, s[16:17]
	v_add_u32_e32 v65, 1, v61
	v_add_u32_e32 v64, 1, v60
	v_cndmask_b32_e64 v65, v65, v61, s[14:15]
	v_cndmask_b32_e64 v64, v60, v64, s[14:15]
	v_cmp_ge_i32_e64 s[18:19], v65, v2
	s_waitcnt lgkmcnt(0)
	v_cmp_lt_i16_sdwa s[20:21], sext(v63), sext(v62) src0_sel:BYTE_0 src1_sel:BYTE_0
	v_cmp_gt_i32_e64 s[16:17], s95, v64
	s_or_b64 s[18:19], s[18:19], s[20:21]
	s_and_b64 s[16:17], s[16:17], s[18:19]
	s_xor_b64 s[18:19], s[16:17], -1
                                        ; implicit-def: $vgpr66
	s_and_saveexec_b64 s[20:21], s[18:19]
	s_xor_b64 s[18:19], exec, s[20:21]
	s_cbranch_execz .LBB49_180
; %bb.179:                              ;   in Loop: Header=BB49_2 Depth=1
	ds_read_u8 v66, v65 offset:1
.LBB49_180:                             ;   in Loop: Header=BB49_2 Depth=1
	s_or_saveexec_b64 s[18:19], s[18:19]
	v_mov_b32_e32 v67, v63
	s_xor_b64 exec, exec, s[18:19]
	s_cbranch_execz .LBB49_182
; %bb.181:                              ;   in Loop: Header=BB49_2 Depth=1
	ds_read_u8 v67, v64 offset:1
	s_waitcnt lgkmcnt(1)
	v_mov_b32_e32 v66, v62
.LBB49_182:                             ;   in Loop: Header=BB49_2 Depth=1
	s_or_b64 exec, exec, s[18:19]
	v_add_u32_e32 v69, 1, v65
	v_add_u32_e32 v68, 1, v64
	v_cndmask_b32_e64 v69, v69, v65, s[16:17]
	v_cndmask_b32_e64 v68, v64, v68, s[16:17]
	v_cmp_ge_i32_e64 s[20:21], v69, v2
	s_waitcnt lgkmcnt(0)
	v_cmp_lt_i16_sdwa s[22:23], sext(v67), sext(v66) src0_sel:BYTE_0 src1_sel:BYTE_0
	v_cmp_gt_i32_e64 s[18:19], s95, v68
	s_or_b64 s[20:21], s[20:21], s[22:23]
	s_and_b64 s[18:19], s[18:19], s[20:21]
	s_xor_b64 s[20:21], s[18:19], -1
                                        ; implicit-def: $vgpr70
	s_and_saveexec_b64 s[22:23], s[20:21]
	s_xor_b64 s[20:21], exec, s[22:23]
	s_cbranch_execz .LBB49_184
; %bb.183:                              ;   in Loop: Header=BB49_2 Depth=1
	ds_read_u8 v70, v69 offset:1
.LBB49_184:                             ;   in Loop: Header=BB49_2 Depth=1
	s_or_saveexec_b64 s[20:21], s[20:21]
	v_mov_b32_e32 v71, v67
	s_xor_b64 exec, exec, s[20:21]
	s_cbranch_execz .LBB49_186
; %bb.185:                              ;   in Loop: Header=BB49_2 Depth=1
	ds_read_u8 v71, v68 offset:1
	s_waitcnt lgkmcnt(1)
	v_mov_b32_e32 v70, v66
.LBB49_186:                             ;   in Loop: Header=BB49_2 Depth=1
	s_or_b64 exec, exec, s[20:21]
	v_add_u32_e32 v73, 1, v69
	v_add_u32_e32 v72, 1, v68
	v_cndmask_b32_e64 v73, v73, v69, s[18:19]
	v_cndmask_b32_e64 v72, v68, v72, s[18:19]
	v_cmp_ge_i32_e64 s[22:23], v73, v2
	s_waitcnt lgkmcnt(0)
	v_cmp_lt_i16_sdwa s[24:25], sext(v71), sext(v70) src0_sel:BYTE_0 src1_sel:BYTE_0
	v_cmp_gt_i32_e64 s[20:21], s95, v72
	s_or_b64 s[22:23], s[22:23], s[24:25]
	s_and_b64 s[20:21], s[20:21], s[22:23]
	s_xor_b64 s[22:23], s[20:21], -1
                                        ; implicit-def: $vgpr74
	s_and_saveexec_b64 s[24:25], s[22:23]
	s_xor_b64 s[22:23], exec, s[24:25]
	s_cbranch_execz .LBB49_188
; %bb.187:                              ;   in Loop: Header=BB49_2 Depth=1
	ds_read_u8 v74, v73 offset:1
.LBB49_188:                             ;   in Loop: Header=BB49_2 Depth=1
	s_or_saveexec_b64 s[22:23], s[22:23]
	v_mov_b32_e32 v75, v71
	s_xor_b64 exec, exec, s[22:23]
	s_cbranch_execz .LBB49_190
; %bb.189:                              ;   in Loop: Header=BB49_2 Depth=1
	ds_read_u8 v75, v72 offset:1
	s_waitcnt lgkmcnt(1)
	v_mov_b32_e32 v74, v70
.LBB49_190:                             ;   in Loop: Header=BB49_2 Depth=1
	s_or_b64 exec, exec, s[22:23]
	v_add_u32_e32 v77, 1, v73
	v_add_u32_e32 v76, 1, v72
	v_cndmask_b32_e64 v80, v77, v73, s[20:21]
	v_cndmask_b32_e64 v76, v72, v76, s[20:21]
	v_cmp_ge_i32_e64 s[24:25], v80, v2
	s_waitcnt lgkmcnt(0)
	v_cmp_lt_i16_sdwa s[26:27], sext(v75), sext(v74) src0_sel:BYTE_0 src1_sel:BYTE_0
	v_cmp_gt_i32_e64 s[22:23], s95, v76
	s_or_b64 s[24:25], s[24:25], s[26:27]
	s_and_b64 s[22:23], s[22:23], s[24:25]
	s_xor_b64 s[24:25], s[22:23], -1
                                        ; implicit-def: $vgpr79
                                        ; implicit-def: $vgpr78
	s_and_saveexec_b64 s[26:27], s[24:25]
	s_xor_b64 s[24:25], exec, s[26:27]
	s_cbranch_execz .LBB49_192
; %bb.191:                              ;   in Loop: Header=BB49_2 Depth=1
	ds_read_u8 v79, v80 offset:1
	v_add_u32_e32 v78, 1, v80
.LBB49_192:                             ;   in Loop: Header=BB49_2 Depth=1
	s_or_saveexec_b64 s[24:25], s[24:25]
	v_mov_b32_e32 v77, v80
	v_mov_b32_e32 v81, v75
	s_xor_b64 exec, exec, s[24:25]
	s_cbranch_execz .LBB49_1
; %bb.193:                              ;   in Loop: Header=BB49_2 Depth=1
	ds_read_u8 v81, v76 offset:1
	s_waitcnt lgkmcnt(1)
	v_add_u32_e32 v79, 1, v76
	v_mov_b32_e32 v77, v76
	v_mov_b32_e32 v78, v80
	;; [unrolled: 1-line block ×4, first 2 shown]
	s_branch .LBB49_1
.LBB49_194:
	s_add_u32 s0, s86, s33
	s_addc_u32 s1, s87, 0
	v_add_u16_e32 v2, v52, v48
	v_lshl_add_u64 v[0:1], s[0:1], 0, v[0:1]
	v_add_u16_e32 v3, v53, v49
	v_add_u16_e32 v4, v54, v51
	;; [unrolled: 1-line block ×7, first 2 shown]
	global_store_byte v[0:1], v2, off
	global_store_byte v[0:1], v3, off offset:64
	global_store_byte v[0:1], v4, off offset:128
	;; [unrolled: 1-line block ×7, first 2 shown]
	s_endpgm
	.section	.rodata,"a",@progbits
	.p2align	6, 0x0
	.amdhsa_kernel _Z17sort_pairs_kernelIaLj64ELj8EN10test_utils4lessELj10EEvPKT_PS2_T2_
		.amdhsa_group_segment_fixed_size 513
		.amdhsa_private_segment_fixed_size 0
		.amdhsa_kernarg_size 20
		.amdhsa_user_sgpr_count 2
		.amdhsa_user_sgpr_dispatch_ptr 0
		.amdhsa_user_sgpr_queue_ptr 0
		.amdhsa_user_sgpr_kernarg_segment_ptr 1
		.amdhsa_user_sgpr_dispatch_id 0
		.amdhsa_user_sgpr_kernarg_preload_length 0
		.amdhsa_user_sgpr_kernarg_preload_offset 0
		.amdhsa_user_sgpr_private_segment_size 0
		.amdhsa_uses_dynamic_stack 0
		.amdhsa_enable_private_segment 0
		.amdhsa_system_sgpr_workgroup_id_x 1
		.amdhsa_system_sgpr_workgroup_id_y 0
		.amdhsa_system_sgpr_workgroup_id_z 0
		.amdhsa_system_sgpr_workgroup_info 0
		.amdhsa_system_vgpr_workitem_id 0
		.amdhsa_next_free_vgpr 82
		.amdhsa_next_free_sgpr 98
		.amdhsa_accum_offset 84
		.amdhsa_reserve_vcc 1
		.amdhsa_float_round_mode_32 0
		.amdhsa_float_round_mode_16_64 0
		.amdhsa_float_denorm_mode_32 3
		.amdhsa_float_denorm_mode_16_64 3
		.amdhsa_dx10_clamp 1
		.amdhsa_ieee_mode 1
		.amdhsa_fp16_overflow 0
		.amdhsa_tg_split 0
		.amdhsa_exception_fp_ieee_invalid_op 0
		.amdhsa_exception_fp_denorm_src 0
		.amdhsa_exception_fp_ieee_div_zero 0
		.amdhsa_exception_fp_ieee_overflow 0
		.amdhsa_exception_fp_ieee_underflow 0
		.amdhsa_exception_fp_ieee_inexact 0
		.amdhsa_exception_int_div_zero 0
	.end_amdhsa_kernel
	.section	.text._Z17sort_pairs_kernelIaLj64ELj8EN10test_utils4lessELj10EEvPKT_PS2_T2_,"axG",@progbits,_Z17sort_pairs_kernelIaLj64ELj8EN10test_utils4lessELj10EEvPKT_PS2_T2_,comdat
.Lfunc_end49:
	.size	_Z17sort_pairs_kernelIaLj64ELj8EN10test_utils4lessELj10EEvPKT_PS2_T2_, .Lfunc_end49-_Z17sort_pairs_kernelIaLj64ELj8EN10test_utils4lessELj10EEvPKT_PS2_T2_
                                        ; -- End function
	.section	.AMDGPU.csdata,"",@progbits
; Kernel info:
; codeLenInByte = 11196
; NumSgprs: 104
; NumVgprs: 82
; NumAgprs: 0
; TotalNumVgprs: 82
; ScratchSize: 0
; MemoryBound: 0
; FloatMode: 240
; IeeeMode: 1
; LDSByteSize: 513 bytes/workgroup (compile time only)
; SGPRBlocks: 12
; VGPRBlocks: 10
; NumSGPRsForWavesPerEU: 104
; NumVGPRsForWavesPerEU: 82
; AccumOffset: 84
; Occupancy: 5
; WaveLimiterHint : 0
; COMPUTE_PGM_RSRC2:SCRATCH_EN: 0
; COMPUTE_PGM_RSRC2:USER_SGPR: 2
; COMPUTE_PGM_RSRC2:TRAP_HANDLER: 0
; COMPUTE_PGM_RSRC2:TGID_X_EN: 1
; COMPUTE_PGM_RSRC2:TGID_Y_EN: 0
; COMPUTE_PGM_RSRC2:TGID_Z_EN: 0
; COMPUTE_PGM_RSRC2:TIDIG_COMP_CNT: 0
; COMPUTE_PGM_RSRC3_GFX90A:ACCUM_OFFSET: 20
; COMPUTE_PGM_RSRC3_GFX90A:TG_SPLIT: 0
	.section	.text._Z16sort_keys_kernelIaLj128ELj1EN10test_utils4lessELj10EEvPKT_PS2_T2_,"axG",@progbits,_Z16sort_keys_kernelIaLj128ELj1EN10test_utils4lessELj10EEvPKT_PS2_T2_,comdat
	.protected	_Z16sort_keys_kernelIaLj128ELj1EN10test_utils4lessELj10EEvPKT_PS2_T2_ ; -- Begin function _Z16sort_keys_kernelIaLj128ELj1EN10test_utils4lessELj10EEvPKT_PS2_T2_
	.globl	_Z16sort_keys_kernelIaLj128ELj1EN10test_utils4lessELj10EEvPKT_PS2_T2_
	.p2align	8
	.type	_Z16sort_keys_kernelIaLj128ELj1EN10test_utils4lessELj10EEvPKT_PS2_T2_,@function
_Z16sort_keys_kernelIaLj128ELj1EN10test_utils4lessELj10EEvPKT_PS2_T2_: ; @_Z16sort_keys_kernelIaLj128ELj1EN10test_utils4lessELj10EEvPKT_PS2_T2_
; %bb.0:
	s_load_dwordx4 s[16:19], s[0:1], 0x0
	s_lshl_b32 s20, s2, 7
	v_and_b32_e32 v9, 0x7c, v0
	v_and_b32_e32 v17, 0x78, v0
	v_and_b32_e32 v25, 0x70, v0
	s_waitcnt lgkmcnt(0)
	s_add_u32 s0, s16, s20
	s_addc_u32 s1, s17, 0
	global_load_ubyte v52, v0, s[0:1]
	v_and_b32_e32 v33, 0x60, v0
	v_and_b32_e32 v41, 64, v0
	;; [unrolled: 1-line block ×3, first 2 shown]
	v_or_b32_e32 v11, 2, v9
	v_add_u32_e32 v12, 4, v9
	v_or_b32_e32 v19, 4, v17
	v_add_u32_e32 v20, 8, v17
	;; [unrolled: 2-line block ×5, first 2 shown]
	v_and_b32_e32 v3, 1, v0
	v_or_b32_e32 v4, 1, v2
	v_and_b32_e32 v10, 3, v0
	v_sub_u32_e32 v14, v12, v11
	v_and_b32_e32 v18, 7, v0
	v_sub_u32_e32 v22, v20, v19
	;; [unrolled: 2-line block ×5, first 2 shown]
	v_sub_u32_e32 v5, v4, v2
	v_add_u32_e32 v6, -1, v3
	v_cmp_lt_i32_e32 vcc, 0, v3
	v_sub_u32_e32 v13, v11, v9
	v_sub_u32_e32 v15, v10, v14
	v_cmp_ge_i32_e64 s[0:1], v10, v14
	v_sub_u32_e32 v21, v19, v17
	v_sub_u32_e32 v23, v18, v22
	v_cmp_ge_i32_e64 s[2:3], v18, v22
	;; [unrolled: 3-line block ×5, first 2 shown]
	v_cndmask_b32_e32 v6, 0, v6, vcc
	v_min_i32_e32 v7, v3, v5
	v_cndmask_b32_e64 v14, 0, v15, s[0:1]
	v_min_i32_e32 v15, v10, v13
	v_cndmask_b32_e64 v22, 0, v23, s[2:3]
	;; [unrolled: 2-line block ×5, first 2 shown]
	v_min_i32_e32 v47, v42, v45
	v_sub_u32_e64 v49, v0, 64 clamp
	v_min_i32_e32 v50, 64, v0
	s_mov_b32 s21, 0
	v_mov_b32_e32 v1, 0
	v_cmp_lt_i32_e32 vcc, v6, v7
	v_add_u32_e32 v8, v4, v3
	v_cmp_lt_i32_e64 s[0:1], v14, v15
	v_add_u32_e32 v16, v11, v10
	v_cmp_lt_i32_e64 s[2:3], v22, v23
	;; [unrolled: 2-line block ×6, first 2 shown]
	v_add_u32_e32 v51, 64, v0
	s_movk_i32 s22, 0x80
	s_branch .LBB50_2
.LBB50_1:                               ;   in Loop: Header=BB50_2 Depth=1
	s_or_b64 exec, exec, s[14:15]
	v_sub_u32_e32 v53, v51, v52
	ds_read_u8 v54, v52
	ds_read_u8 v55, v53
	v_cmp_le_i32_e64 s[12:13], 64, v52
	v_cmp_gt_i32_e64 s[14:15], s22, v53
	s_add_i32 s21, s21, 1
	s_waitcnt lgkmcnt(0)
	v_cmp_lt_i16_sdwa s[16:17], sext(v55), sext(v54) src0_sel:BYTE_0 src1_sel:BYTE_0
	s_or_b64 s[12:13], s[12:13], s[16:17]
	s_and_b64 s[12:13], s[14:15], s[12:13]
	s_cmp_eq_u32 s21, 10
	v_cndmask_b32_e64 v52, v54, v55, s[12:13]
	s_cbranch_scc1 .LBB50_30
.LBB50_2:                               ; =>This Loop Header: Depth=1
                                        ;     Child Loop BB50_4 Depth 2
                                        ;     Child Loop BB50_8 Depth 2
	;; [unrolled: 1-line block ×7, first 2 shown]
	s_barrier
	s_waitcnt vmcnt(0)
	ds_write_b8 v0, v52
	v_mov_b32_e32 v52, v6
	s_waitcnt lgkmcnt(0)
	s_barrier
	s_and_saveexec_b64 s[14:15], vcc
	s_cbranch_execz .LBB50_6
; %bb.3:                                ;   in Loop: Header=BB50_2 Depth=1
	s_mov_b64 s[16:17], 0
	v_mov_b32_e32 v52, v6
	v_mov_b32_e32 v53, v7
.LBB50_4:                               ;   Parent Loop BB50_2 Depth=1
                                        ; =>  This Inner Loop Header: Depth=2
	v_sub_u32_e32 v54, v53, v52
	v_lshrrev_b32_e32 v55, 31, v54
	v_add_u32_e32 v54, v54, v55
	v_ashrrev_i32_e32 v54, 1, v54
	v_add_u32_e32 v54, v54, v52
	v_not_b32_e32 v56, v54
	v_add_u32_e32 v55, v2, v54
	v_add3_u32 v56, v3, v56, v4
	ds_read_i8 v55, v55
	ds_read_i8 v56, v56
	v_add_u32_e32 v57, 1, v54
	s_waitcnt lgkmcnt(0)
	v_cmp_lt_i16_e64 s[12:13], v56, v55
	s_nop 1
	v_cndmask_b32_e64 v53, v53, v54, s[12:13]
	v_cndmask_b32_e64 v52, v57, v52, s[12:13]
	v_cmp_ge_i32_e64 s[12:13], v52, v53
	s_or_b64 s[16:17], s[12:13], s[16:17]
	s_andn2_b64 exec, exec, s[16:17]
	s_cbranch_execnz .LBB50_4
; %bb.5:                                ;   in Loop: Header=BB50_2 Depth=1
	s_or_b64 exec, exec, s[16:17]
.LBB50_6:                               ;   in Loop: Header=BB50_2 Depth=1
	s_or_b64 exec, exec, s[14:15]
	v_add_u32_e32 v54, v2, v52
	v_sub_u32_e32 v53, v8, v52
	ds_read_u8 v54, v54
	ds_read_u8 v55, v53
	v_cmp_ge_i32_e64 s[12:13], v52, v5
	v_cmp_ge_i32_e64 s[14:15], v4, v53
	s_waitcnt lgkmcnt(0)
	s_barrier
	v_cmp_lt_i16_sdwa s[16:17], sext(v55), sext(v54) src0_sel:BYTE_0 src1_sel:BYTE_0
	s_or_b64 s[12:13], s[12:13], s[16:17]
	s_and_b64 s[12:13], s[14:15], s[12:13]
	v_cndmask_b32_e64 v52, v54, v55, s[12:13]
	ds_write_b8 v0, v52
	v_mov_b32_e32 v52, v14
	s_waitcnt lgkmcnt(0)
	s_barrier
	s_and_saveexec_b64 s[14:15], s[0:1]
	s_cbranch_execz .LBB50_10
; %bb.7:                                ;   in Loop: Header=BB50_2 Depth=1
	s_mov_b64 s[16:17], 0
	v_mov_b32_e32 v52, v14
	v_mov_b32_e32 v53, v15
.LBB50_8:                               ;   Parent Loop BB50_2 Depth=1
                                        ; =>  This Inner Loop Header: Depth=2
	v_sub_u32_e32 v54, v53, v52
	v_lshrrev_b32_e32 v55, 31, v54
	v_add_u32_e32 v54, v54, v55
	v_ashrrev_i32_e32 v54, 1, v54
	v_add_u32_e32 v54, v54, v52
	v_not_b32_e32 v56, v54
	v_add_u32_e32 v55, v9, v54
	v_add3_u32 v56, v10, v56, v11
	ds_read_i8 v55, v55
	ds_read_i8 v56, v56
	v_add_u32_e32 v57, 1, v54
	s_waitcnt lgkmcnt(0)
	v_cmp_lt_i16_e64 s[12:13], v56, v55
	s_nop 1
	v_cndmask_b32_e64 v53, v53, v54, s[12:13]
	v_cndmask_b32_e64 v52, v57, v52, s[12:13]
	v_cmp_ge_i32_e64 s[12:13], v52, v53
	s_or_b64 s[16:17], s[12:13], s[16:17]
	s_andn2_b64 exec, exec, s[16:17]
	s_cbranch_execnz .LBB50_8
; %bb.9:                                ;   in Loop: Header=BB50_2 Depth=1
	s_or_b64 exec, exec, s[16:17]
.LBB50_10:                              ;   in Loop: Header=BB50_2 Depth=1
	s_or_b64 exec, exec, s[14:15]
	v_add_u32_e32 v54, v9, v52
	v_sub_u32_e32 v53, v16, v52
	ds_read_u8 v54, v54
	ds_read_u8 v55, v53
	v_cmp_ge_i32_e64 s[12:13], v52, v13
	v_cmp_gt_i32_e64 s[14:15], v12, v53
	s_waitcnt lgkmcnt(0)
	s_barrier
	v_cmp_lt_i16_sdwa s[16:17], sext(v55), sext(v54) src0_sel:BYTE_0 src1_sel:BYTE_0
	s_or_b64 s[12:13], s[12:13], s[16:17]
	s_and_b64 s[12:13], s[14:15], s[12:13]
	v_cndmask_b32_e64 v52, v54, v55, s[12:13]
	ds_write_b8 v0, v52
	v_mov_b32_e32 v52, v22
	s_waitcnt lgkmcnt(0)
	s_barrier
	s_and_saveexec_b64 s[14:15], s[2:3]
	s_cbranch_execz .LBB50_14
; %bb.11:                               ;   in Loop: Header=BB50_2 Depth=1
	s_mov_b64 s[16:17], 0
	v_mov_b32_e32 v52, v22
	v_mov_b32_e32 v53, v23
.LBB50_12:                              ;   Parent Loop BB50_2 Depth=1
                                        ; =>  This Inner Loop Header: Depth=2
	v_sub_u32_e32 v54, v53, v52
	v_lshrrev_b32_e32 v55, 31, v54
	v_add_u32_e32 v54, v54, v55
	v_ashrrev_i32_e32 v54, 1, v54
	v_add_u32_e32 v54, v54, v52
	v_not_b32_e32 v56, v54
	v_add_u32_e32 v55, v17, v54
	v_add3_u32 v56, v18, v56, v19
	ds_read_i8 v55, v55
	ds_read_i8 v56, v56
	v_add_u32_e32 v57, 1, v54
	s_waitcnt lgkmcnt(0)
	v_cmp_lt_i16_e64 s[12:13], v56, v55
	s_nop 1
	v_cndmask_b32_e64 v53, v53, v54, s[12:13]
	v_cndmask_b32_e64 v52, v57, v52, s[12:13]
	v_cmp_ge_i32_e64 s[12:13], v52, v53
	s_or_b64 s[16:17], s[12:13], s[16:17]
	s_andn2_b64 exec, exec, s[16:17]
	s_cbranch_execnz .LBB50_12
; %bb.13:                               ;   in Loop: Header=BB50_2 Depth=1
	s_or_b64 exec, exec, s[16:17]
.LBB50_14:                              ;   in Loop: Header=BB50_2 Depth=1
	s_or_b64 exec, exec, s[14:15]
	v_add_u32_e32 v54, v17, v52
	v_sub_u32_e32 v53, v24, v52
	ds_read_u8 v54, v54
	ds_read_u8 v55, v53
	v_cmp_ge_i32_e64 s[12:13], v52, v21
	v_cmp_gt_i32_e64 s[14:15], v20, v53
	s_waitcnt lgkmcnt(0)
	s_barrier
	v_cmp_lt_i16_sdwa s[16:17], sext(v55), sext(v54) src0_sel:BYTE_0 src1_sel:BYTE_0
	s_or_b64 s[12:13], s[12:13], s[16:17]
	s_and_b64 s[12:13], s[14:15], s[12:13]
	v_cndmask_b32_e64 v52, v54, v55, s[12:13]
	ds_write_b8 v0, v52
	v_mov_b32_e32 v52, v30
	s_waitcnt lgkmcnt(0)
	s_barrier
	s_and_saveexec_b64 s[14:15], s[4:5]
	s_cbranch_execz .LBB50_18
; %bb.15:                               ;   in Loop: Header=BB50_2 Depth=1
	s_mov_b64 s[16:17], 0
	v_mov_b32_e32 v52, v30
	v_mov_b32_e32 v53, v31
.LBB50_16:                              ;   Parent Loop BB50_2 Depth=1
                                        ; =>  This Inner Loop Header: Depth=2
	v_sub_u32_e32 v54, v53, v52
	v_lshrrev_b32_e32 v55, 31, v54
	v_add_u32_e32 v54, v54, v55
	v_ashrrev_i32_e32 v54, 1, v54
	v_add_u32_e32 v54, v54, v52
	v_not_b32_e32 v56, v54
	v_add_u32_e32 v55, v25, v54
	v_add3_u32 v56, v26, v56, v27
	ds_read_i8 v55, v55
	ds_read_i8 v56, v56
	v_add_u32_e32 v57, 1, v54
	s_waitcnt lgkmcnt(0)
	v_cmp_lt_i16_e64 s[12:13], v56, v55
	s_nop 1
	v_cndmask_b32_e64 v53, v53, v54, s[12:13]
	v_cndmask_b32_e64 v52, v57, v52, s[12:13]
	v_cmp_ge_i32_e64 s[12:13], v52, v53
	s_or_b64 s[16:17], s[12:13], s[16:17]
	s_andn2_b64 exec, exec, s[16:17]
	s_cbranch_execnz .LBB50_16
; %bb.17:                               ;   in Loop: Header=BB50_2 Depth=1
	s_or_b64 exec, exec, s[16:17]
.LBB50_18:                              ;   in Loop: Header=BB50_2 Depth=1
	;; [unrolled: 48-line block ×4, first 2 shown]
	s_or_b64 exec, exec, s[14:15]
	v_add_u32_e32 v54, v41, v52
	v_sub_u32_e32 v53, v48, v52
	ds_read_u8 v54, v54
	ds_read_u8 v55, v53
	v_cmp_ge_i32_e64 s[12:13], v52, v45
	v_cmp_gt_i32_e64 s[14:15], v44, v53
	s_waitcnt lgkmcnt(0)
	s_barrier
	v_cmp_lt_i16_sdwa s[16:17], sext(v55), sext(v54) src0_sel:BYTE_0 src1_sel:BYTE_0
	s_or_b64 s[12:13], s[12:13], s[16:17]
	s_and_b64 s[12:13], s[14:15], s[12:13]
	v_cndmask_b32_e64 v52, v54, v55, s[12:13]
	ds_write_b8 v0, v52
	v_mov_b32_e32 v52, v49
	s_waitcnt lgkmcnt(0)
	s_barrier
	s_and_saveexec_b64 s[14:15], s[10:11]
	s_cbranch_execz .LBB50_1
; %bb.27:                               ;   in Loop: Header=BB50_2 Depth=1
	s_mov_b64 s[16:17], 0
	v_mov_b32_e32 v52, v49
	v_mov_b32_e32 v53, v50
.LBB50_28:                              ;   Parent Loop BB50_2 Depth=1
                                        ; =>  This Inner Loop Header: Depth=2
	v_sub_u32_e32 v54, v53, v52
	v_lshrrev_b32_e32 v55, 31, v54
	v_add_u32_e32 v54, v54, v55
	v_ashrrev_i32_e32 v54, 1, v54
	v_add_u32_e32 v54, v54, v52
	v_not_b32_e32 v55, v54
	v_add3_u32 v55, v0, v55, 64
	ds_read_i8 v56, v54
	ds_read_i8 v55, v55
	v_add_u32_e32 v57, 1, v54
	s_waitcnt lgkmcnt(0)
	v_cmp_lt_i16_e64 s[12:13], v55, v56
	s_nop 1
	v_cndmask_b32_e64 v53, v53, v54, s[12:13]
	v_cndmask_b32_e64 v52, v57, v52, s[12:13]
	v_cmp_ge_i32_e64 s[12:13], v52, v53
	s_or_b64 s[16:17], s[12:13], s[16:17]
	s_andn2_b64 exec, exec, s[16:17]
	s_cbranch_execnz .LBB50_28
; %bb.29:                               ;   in Loop: Header=BB50_2 Depth=1
	s_or_b64 exec, exec, s[16:17]
	s_branch .LBB50_1
.LBB50_30:
	s_add_u32 s0, s18, s20
	s_addc_u32 s1, s19, 0
	v_lshl_add_u64 v[0:1], s[0:1], 0, v[0:1]
	global_store_byte v[0:1], v52, off
	s_endpgm
	.section	.rodata,"a",@progbits
	.p2align	6, 0x0
	.amdhsa_kernel _Z16sort_keys_kernelIaLj128ELj1EN10test_utils4lessELj10EEvPKT_PS2_T2_
		.amdhsa_group_segment_fixed_size 129
		.amdhsa_private_segment_fixed_size 0
		.amdhsa_kernarg_size 20
		.amdhsa_user_sgpr_count 2
		.amdhsa_user_sgpr_dispatch_ptr 0
		.amdhsa_user_sgpr_queue_ptr 0
		.amdhsa_user_sgpr_kernarg_segment_ptr 1
		.amdhsa_user_sgpr_dispatch_id 0
		.amdhsa_user_sgpr_kernarg_preload_length 0
		.amdhsa_user_sgpr_kernarg_preload_offset 0
		.amdhsa_user_sgpr_private_segment_size 0
		.amdhsa_uses_dynamic_stack 0
		.amdhsa_enable_private_segment 0
		.amdhsa_system_sgpr_workgroup_id_x 1
		.amdhsa_system_sgpr_workgroup_id_y 0
		.amdhsa_system_sgpr_workgroup_id_z 0
		.amdhsa_system_sgpr_workgroup_info 0
		.amdhsa_system_vgpr_workitem_id 0
		.amdhsa_next_free_vgpr 58
		.amdhsa_next_free_sgpr 23
		.amdhsa_accum_offset 60
		.amdhsa_reserve_vcc 1
		.amdhsa_float_round_mode_32 0
		.amdhsa_float_round_mode_16_64 0
		.amdhsa_float_denorm_mode_32 3
		.amdhsa_float_denorm_mode_16_64 3
		.amdhsa_dx10_clamp 1
		.amdhsa_ieee_mode 1
		.amdhsa_fp16_overflow 0
		.amdhsa_tg_split 0
		.amdhsa_exception_fp_ieee_invalid_op 0
		.amdhsa_exception_fp_denorm_src 0
		.amdhsa_exception_fp_ieee_div_zero 0
		.amdhsa_exception_fp_ieee_overflow 0
		.amdhsa_exception_fp_ieee_underflow 0
		.amdhsa_exception_fp_ieee_inexact 0
		.amdhsa_exception_int_div_zero 0
	.end_amdhsa_kernel
	.section	.text._Z16sort_keys_kernelIaLj128ELj1EN10test_utils4lessELj10EEvPKT_PS2_T2_,"axG",@progbits,_Z16sort_keys_kernelIaLj128ELj1EN10test_utils4lessELj10EEvPKT_PS2_T2_,comdat
.Lfunc_end50:
	.size	_Z16sort_keys_kernelIaLj128ELj1EN10test_utils4lessELj10EEvPKT_PS2_T2_, .Lfunc_end50-_Z16sort_keys_kernelIaLj128ELj1EN10test_utils4lessELj10EEvPKT_PS2_T2_
                                        ; -- End function
	.section	.AMDGPU.csdata,"",@progbits
; Kernel info:
; codeLenInByte = 2068
; NumSgprs: 29
; NumVgprs: 58
; NumAgprs: 0
; TotalNumVgprs: 58
; ScratchSize: 0
; MemoryBound: 0
; FloatMode: 240
; IeeeMode: 1
; LDSByteSize: 129 bytes/workgroup (compile time only)
; SGPRBlocks: 3
; VGPRBlocks: 7
; NumSGPRsForWavesPerEU: 29
; NumVGPRsForWavesPerEU: 58
; AccumOffset: 60
; Occupancy: 8
; WaveLimiterHint : 0
; COMPUTE_PGM_RSRC2:SCRATCH_EN: 0
; COMPUTE_PGM_RSRC2:USER_SGPR: 2
; COMPUTE_PGM_RSRC2:TRAP_HANDLER: 0
; COMPUTE_PGM_RSRC2:TGID_X_EN: 1
; COMPUTE_PGM_RSRC2:TGID_Y_EN: 0
; COMPUTE_PGM_RSRC2:TGID_Z_EN: 0
; COMPUTE_PGM_RSRC2:TIDIG_COMP_CNT: 0
; COMPUTE_PGM_RSRC3_GFX90A:ACCUM_OFFSET: 14
; COMPUTE_PGM_RSRC3_GFX90A:TG_SPLIT: 0
	.section	.text._Z17sort_pairs_kernelIaLj128ELj1EN10test_utils4lessELj10EEvPKT_PS2_T2_,"axG",@progbits,_Z17sort_pairs_kernelIaLj128ELj1EN10test_utils4lessELj10EEvPKT_PS2_T2_,comdat
	.protected	_Z17sort_pairs_kernelIaLj128ELj1EN10test_utils4lessELj10EEvPKT_PS2_T2_ ; -- Begin function _Z17sort_pairs_kernelIaLj128ELj1EN10test_utils4lessELj10EEvPKT_PS2_T2_
	.globl	_Z17sort_pairs_kernelIaLj128ELj1EN10test_utils4lessELj10EEvPKT_PS2_T2_
	.p2align	8
	.type	_Z17sort_pairs_kernelIaLj128ELj1EN10test_utils4lessELj10EEvPKT_PS2_T2_,@function
_Z17sort_pairs_kernelIaLj128ELj1EN10test_utils4lessELj10EEvPKT_PS2_T2_: ; @_Z17sort_pairs_kernelIaLj128ELj1EN10test_utils4lessELj10EEvPKT_PS2_T2_
; %bb.0:
	s_load_dwordx4 s[16:19], s[0:1], 0x0
	s_lshl_b32 s20, s2, 7
	v_and_b32_e32 v4, 0x7c, v0
	v_and_b32_e32 v6, 0x78, v0
	v_or_b32_e32 v18, 2, v4
	s_waitcnt lgkmcnt(0)
	s_add_u32 s0, s16, s20
	s_addc_u32 s1, s17, 0
	global_load_ubyte v46, v0, s[0:1]
	v_add_u32_e32 v19, 4, v4
	v_and_b32_e32 v5, 3, v0
	v_and_b32_e32 v8, 0x70, v0
	v_or_b32_e32 v20, 4, v6
	v_add_u32_e32 v21, 8, v6
	v_sub_u32_e32 v41, v19, v18
	v_and_b32_e32 v7, 7, v0
	v_and_b32_e32 v10, 0x60, v0
	v_or_b32_e32 v22, 8, v8
	v_add_u32_e32 v23, 16, v8
	v_sub_u32_e32 v42, v21, v20
	v_sub_u32_e32 v47, v5, v41
	v_cmp_ge_i32_e64 s[2:3], v5, v41
	v_and_b32_e32 v9, 15, v0
	v_and_b32_e32 v12, 64, v0
	v_or_b32_e32 v24, 16, v10
	v_add_u32_e32 v25, 32, v10
	v_sub_u32_e32 v43, v23, v22
	v_sub_u32_e32 v48, v7, v42
	v_cndmask_b32_e64 v41, 0, v47, s[2:3]
	v_cmp_ge_i32_e64 s[2:3], v7, v42
	v_and_b32_e32 v2, 0x7e, v0
	v_and_b32_e32 v11, 31, v0
	v_or_b32_e32 v26, 32, v12
	v_add_u32_e32 v27, 64, v12
	v_sub_u32_e32 v44, v25, v24
	v_sub_u32_e32 v49, v9, v43
	v_cndmask_b32_e64 v42, 0, v48, s[2:3]
	v_cmp_ge_i32_e64 s[2:3], v9, v43
	v_and_b32_e32 v3, 1, v0
	v_and_b32_e32 v13, 63, v0
	v_or_b32_e32 v17, 1, v2
	v_sub_u32_e32 v45, v27, v26
	v_sub_u32_e32 v50, v11, v44
	v_cndmask_b32_e64 v43, 0, v49, s[2:3]
	v_cmp_ge_i32_e64 s[2:3], v11, v44
	v_add_u32_e32 v28, -1, v3
	v_sub_u32_e32 v35, v17, v2
	v_cmp_lt_i32_e64 s[0:1], 0, v3
	v_sub_u32_e32 v36, v18, v4
	v_sub_u32_e32 v37, v20, v6
	;; [unrolled: 1-line block ×6, first 2 shown]
	v_cndmask_b32_e64 v44, 0, v50, s[2:3]
	v_cmp_ge_i32_e64 s[2:3], v13, v45
	v_sub_u32_e64 v14, v0, 64 clamp
	v_min_i32_e32 v15, 64, v0
	v_cndmask_b32_e64 v28, 0, v28, s[0:1]
	v_min_i32_e32 v35, v3, v35
	v_min_i32_e32 v36, v5, v36
	;; [unrolled: 1-line block ×6, first 2 shown]
	v_cndmask_b32_e64 v45, 0, v51, s[2:3]
	s_mov_b32 s21, 0
	v_mov_b32_e32 v1, 0
	v_add_u32_e32 v16, 64, v0
	v_cmp_lt_i32_e32 vcc, v14, v15
	v_add_u32_e32 v29, v17, v3
	v_add_u32_e32 v30, v18, v5
	;; [unrolled: 1-line block ×6, first 2 shown]
	v_cmp_lt_i32_e64 s[0:1], v28, v35
	v_cmp_lt_i32_e64 s[2:3], v41, v36
	;; [unrolled: 1-line block ×6, first 2 shown]
	s_movk_i32 s22, 0x80
	s_waitcnt vmcnt(0)
	v_add_u16_e32 v47, 1, v46
	s_branch .LBB51_2
.LBB51_1:                               ;   in Loop: Header=BB51_2 Depth=1
	s_or_b64 exec, exec, s[14:15]
	v_sub_u32_e32 v49, v16, v48
	ds_read_u8 v46, v48
	ds_read_u8 v50, v49
	v_cmp_le_i32_e64 s[12:13], 64, v48
	v_cmp_gt_i32_e64 s[14:15], s22, v49
	s_waitcnt lgkmcnt(0)
	s_barrier
	v_cmp_lt_i16_sdwa s[16:17], sext(v50), sext(v46) src0_sel:BYTE_0 src1_sel:BYTE_0
	s_or_b64 s[12:13], s[12:13], s[16:17]
	s_and_b64 s[12:13], s[14:15], s[12:13]
	v_cndmask_b32_e64 v48, v48, v49, s[12:13]
	ds_write_b8 v0, v47
	s_waitcnt lgkmcnt(0)
	s_barrier
	ds_read_u8 v47, v48
	s_add_i32 s21, s21, 1
	v_cndmask_b32_e64 v46, v46, v50, s[12:13]
	s_cmp_lg_u32 s21, 10
	s_cbranch_scc0 .LBB51_30
.LBB51_2:                               ; =>This Loop Header: Depth=1
                                        ;     Child Loop BB51_4 Depth 2
                                        ;     Child Loop BB51_8 Depth 2
	;; [unrolled: 1-line block ×7, first 2 shown]
	s_barrier
	ds_write_b8 v0, v46
	v_mov_b32_e32 v46, v28
	s_waitcnt lgkmcnt(0)
	s_barrier
	s_and_saveexec_b64 s[14:15], s[0:1]
	s_cbranch_execz .LBB51_6
; %bb.3:                                ;   in Loop: Header=BB51_2 Depth=1
	s_mov_b64 s[16:17], 0
	v_mov_b32_e32 v46, v28
	v_mov_b32_e32 v48, v35
.LBB51_4:                               ;   Parent Loop BB51_2 Depth=1
                                        ; =>  This Inner Loop Header: Depth=2
	v_sub_u32_e32 v49, v48, v46
	v_lshrrev_b32_e32 v50, 31, v49
	v_add_u32_e32 v49, v49, v50
	v_ashrrev_i32_e32 v49, 1, v49
	v_add_u32_e32 v49, v49, v46
	v_not_b32_e32 v51, v49
	v_add_u32_e32 v50, v2, v49
	v_add3_u32 v51, v3, v51, v17
	ds_read_i8 v50, v50
	ds_read_i8 v51, v51
	v_add_u32_e32 v52, 1, v49
	s_waitcnt lgkmcnt(0)
	v_cmp_lt_i16_e64 s[12:13], v51, v50
	s_nop 1
	v_cndmask_b32_e64 v48, v48, v49, s[12:13]
	v_cndmask_b32_e64 v46, v52, v46, s[12:13]
	v_cmp_ge_i32_e64 s[12:13], v46, v48
	s_or_b64 s[16:17], s[12:13], s[16:17]
	s_andn2_b64 exec, exec, s[16:17]
	s_cbranch_execnz .LBB51_4
; %bb.5:                                ;   in Loop: Header=BB51_2 Depth=1
	s_or_b64 exec, exec, s[16:17]
.LBB51_6:                               ;   in Loop: Header=BB51_2 Depth=1
	s_or_b64 exec, exec, s[14:15]
	v_add_u32_e32 v48, v46, v2
	v_sub_u32_e32 v46, v29, v46
	ds_read_u8 v49, v48
	ds_read_u8 v50, v46
	v_cmp_le_i32_e64 s[14:15], v17, v48
	v_cmp_ge_i32_e64 s[12:13], v17, v46
	s_waitcnt lgkmcnt(0)
	s_barrier
	v_cmp_lt_i16_sdwa s[16:17], sext(v50), sext(v49) src0_sel:BYTE_0 src1_sel:BYTE_0
	s_or_b64 s[14:15], s[14:15], s[16:17]
	s_and_b64 s[12:13], s[12:13], s[14:15]
	v_cndmask_b32_e64 v46, v48, v46, s[12:13]
	ds_write_b8 v0, v47
	s_waitcnt lgkmcnt(0)
	s_barrier
	ds_read_u8 v46, v46
	v_cndmask_b32_e64 v49, v49, v50, s[12:13]
	v_mov_b32_e32 v47, v41
	s_waitcnt lgkmcnt(0)
	s_barrier
	ds_write_b8 v0, v49
	s_waitcnt lgkmcnt(0)
	s_barrier
	s_and_saveexec_b64 s[14:15], s[2:3]
	s_cbranch_execz .LBB51_10
; %bb.7:                                ;   in Loop: Header=BB51_2 Depth=1
	s_mov_b64 s[16:17], 0
	v_mov_b32_e32 v47, v41
	v_mov_b32_e32 v48, v36
.LBB51_8:                               ;   Parent Loop BB51_2 Depth=1
                                        ; =>  This Inner Loop Header: Depth=2
	v_sub_u32_e32 v49, v48, v47
	v_lshrrev_b32_e32 v50, 31, v49
	v_add_u32_e32 v49, v49, v50
	v_ashrrev_i32_e32 v49, 1, v49
	v_add_u32_e32 v49, v49, v47
	v_not_b32_e32 v51, v49
	v_add_u32_e32 v50, v4, v49
	v_add3_u32 v51, v5, v51, v18
	ds_read_i8 v50, v50
	ds_read_i8 v51, v51
	v_add_u32_e32 v52, 1, v49
	s_waitcnt lgkmcnt(0)
	v_cmp_lt_i16_e64 s[12:13], v51, v50
	s_nop 1
	v_cndmask_b32_e64 v48, v48, v49, s[12:13]
	v_cndmask_b32_e64 v47, v52, v47, s[12:13]
	v_cmp_ge_i32_e64 s[12:13], v47, v48
	s_or_b64 s[16:17], s[12:13], s[16:17]
	s_andn2_b64 exec, exec, s[16:17]
	s_cbranch_execnz .LBB51_8
; %bb.9:                                ;   in Loop: Header=BB51_2 Depth=1
	s_or_b64 exec, exec, s[16:17]
.LBB51_10:                              ;   in Loop: Header=BB51_2 Depth=1
	s_or_b64 exec, exec, s[14:15]
	v_add_u32_e32 v48, v47, v4
	v_sub_u32_e32 v47, v30, v47
	ds_read_u8 v49, v48
	ds_read_u8 v50, v47
	v_cmp_le_i32_e64 s[14:15], v18, v48
	v_cmp_gt_i32_e64 s[12:13], v19, v47
	s_waitcnt lgkmcnt(0)
	s_barrier
	v_cmp_lt_i16_sdwa s[16:17], sext(v50), sext(v49) src0_sel:BYTE_0 src1_sel:BYTE_0
	s_or_b64 s[14:15], s[14:15], s[16:17]
	s_and_b64 s[12:13], s[12:13], s[14:15]
	v_cndmask_b32_e64 v47, v48, v47, s[12:13]
	ds_write_b8 v0, v46
	s_waitcnt lgkmcnt(0)
	s_barrier
	ds_read_u8 v46, v47
	v_cndmask_b32_e64 v49, v49, v50, s[12:13]
	v_mov_b32_e32 v47, v42
	s_waitcnt lgkmcnt(0)
	s_barrier
	ds_write_b8 v0, v49
	s_waitcnt lgkmcnt(0)
	s_barrier
	s_and_saveexec_b64 s[14:15], s[4:5]
	s_cbranch_execz .LBB51_14
; %bb.11:                               ;   in Loop: Header=BB51_2 Depth=1
	s_mov_b64 s[16:17], 0
	v_mov_b32_e32 v47, v42
	v_mov_b32_e32 v48, v37
.LBB51_12:                              ;   Parent Loop BB51_2 Depth=1
                                        ; =>  This Inner Loop Header: Depth=2
	v_sub_u32_e32 v49, v48, v47
	v_lshrrev_b32_e32 v50, 31, v49
	v_add_u32_e32 v49, v49, v50
	v_ashrrev_i32_e32 v49, 1, v49
	v_add_u32_e32 v49, v49, v47
	v_not_b32_e32 v51, v49
	v_add_u32_e32 v50, v6, v49
	v_add3_u32 v51, v7, v51, v20
	ds_read_i8 v50, v50
	ds_read_i8 v51, v51
	v_add_u32_e32 v52, 1, v49
	s_waitcnt lgkmcnt(0)
	v_cmp_lt_i16_e64 s[12:13], v51, v50
	s_nop 1
	v_cndmask_b32_e64 v48, v48, v49, s[12:13]
	v_cndmask_b32_e64 v47, v52, v47, s[12:13]
	v_cmp_ge_i32_e64 s[12:13], v47, v48
	s_or_b64 s[16:17], s[12:13], s[16:17]
	s_andn2_b64 exec, exec, s[16:17]
	s_cbranch_execnz .LBB51_12
; %bb.13:                               ;   in Loop: Header=BB51_2 Depth=1
	s_or_b64 exec, exec, s[16:17]
.LBB51_14:                              ;   in Loop: Header=BB51_2 Depth=1
	s_or_b64 exec, exec, s[14:15]
	v_add_u32_e32 v48, v47, v6
	v_sub_u32_e32 v47, v31, v47
	ds_read_u8 v49, v48
	ds_read_u8 v50, v47
	v_cmp_le_i32_e64 s[14:15], v20, v48
	v_cmp_gt_i32_e64 s[12:13], v21, v47
	s_waitcnt lgkmcnt(0)
	s_barrier
	v_cmp_lt_i16_sdwa s[16:17], sext(v50), sext(v49) src0_sel:BYTE_0 src1_sel:BYTE_0
	s_or_b64 s[14:15], s[14:15], s[16:17]
	s_and_b64 s[12:13], s[12:13], s[14:15]
	v_cndmask_b32_e64 v47, v48, v47, s[12:13]
	ds_write_b8 v0, v46
	s_waitcnt lgkmcnt(0)
	s_barrier
	ds_read_u8 v46, v47
	v_cndmask_b32_e64 v49, v49, v50, s[12:13]
	v_mov_b32_e32 v47, v43
	s_waitcnt lgkmcnt(0)
	s_barrier
	ds_write_b8 v0, v49
	s_waitcnt lgkmcnt(0)
	s_barrier
	s_and_saveexec_b64 s[14:15], s[6:7]
	s_cbranch_execz .LBB51_18
; %bb.15:                               ;   in Loop: Header=BB51_2 Depth=1
	s_mov_b64 s[16:17], 0
	v_mov_b32_e32 v47, v43
	v_mov_b32_e32 v48, v38
.LBB51_16:                              ;   Parent Loop BB51_2 Depth=1
                                        ; =>  This Inner Loop Header: Depth=2
	v_sub_u32_e32 v49, v48, v47
	v_lshrrev_b32_e32 v50, 31, v49
	v_add_u32_e32 v49, v49, v50
	v_ashrrev_i32_e32 v49, 1, v49
	v_add_u32_e32 v49, v49, v47
	v_not_b32_e32 v51, v49
	v_add_u32_e32 v50, v8, v49
	v_add3_u32 v51, v9, v51, v22
	ds_read_i8 v50, v50
	ds_read_i8 v51, v51
	v_add_u32_e32 v52, 1, v49
	s_waitcnt lgkmcnt(0)
	v_cmp_lt_i16_e64 s[12:13], v51, v50
	s_nop 1
	v_cndmask_b32_e64 v48, v48, v49, s[12:13]
	v_cndmask_b32_e64 v47, v52, v47, s[12:13]
	v_cmp_ge_i32_e64 s[12:13], v47, v48
	s_or_b64 s[16:17], s[12:13], s[16:17]
	s_andn2_b64 exec, exec, s[16:17]
	s_cbranch_execnz .LBB51_16
; %bb.17:                               ;   in Loop: Header=BB51_2 Depth=1
	s_or_b64 exec, exec, s[16:17]
.LBB51_18:                              ;   in Loop: Header=BB51_2 Depth=1
	;; [unrolled: 55-line block ×4, first 2 shown]
	s_or_b64 exec, exec, s[14:15]
	v_add_u32_e32 v48, v47, v12
	v_sub_u32_e32 v47, v34, v47
	ds_read_u8 v49, v48
	ds_read_u8 v50, v47
	v_cmp_le_i32_e64 s[14:15], v26, v48
	v_cmp_gt_i32_e64 s[12:13], v27, v47
	s_waitcnt lgkmcnt(0)
	s_barrier
	v_cmp_lt_i16_sdwa s[16:17], sext(v50), sext(v49) src0_sel:BYTE_0 src1_sel:BYTE_0
	s_or_b64 s[14:15], s[14:15], s[16:17]
	s_and_b64 s[12:13], s[12:13], s[14:15]
	v_cndmask_b32_e64 v47, v48, v47, s[12:13]
	ds_write_b8 v0, v46
	s_waitcnt lgkmcnt(0)
	s_barrier
	ds_read_u8 v47, v47
	v_cndmask_b32_e64 v49, v49, v50, s[12:13]
	v_mov_b32_e32 v48, v14
	s_waitcnt lgkmcnt(0)
	s_barrier
	ds_write_b8 v0, v49
	s_waitcnt lgkmcnt(0)
	s_barrier
	s_and_saveexec_b64 s[14:15], vcc
	s_cbranch_execz .LBB51_1
; %bb.27:                               ;   in Loop: Header=BB51_2 Depth=1
	s_mov_b64 s[16:17], 0
	v_mov_b32_e32 v48, v14
	v_mov_b32_e32 v46, v15
.LBB51_28:                              ;   Parent Loop BB51_2 Depth=1
                                        ; =>  This Inner Loop Header: Depth=2
	v_sub_u32_e32 v49, v46, v48
	v_lshrrev_b32_e32 v50, 31, v49
	v_add_u32_e32 v49, v49, v50
	v_ashrrev_i32_e32 v49, 1, v49
	v_add_u32_e32 v49, v49, v48
	v_not_b32_e32 v50, v49
	v_add3_u32 v50, v0, v50, 64
	ds_read_i8 v51, v49
	ds_read_i8 v50, v50
	v_add_u32_e32 v52, 1, v49
	s_waitcnt lgkmcnt(0)
	v_cmp_lt_i16_e64 s[12:13], v50, v51
	s_nop 1
	v_cndmask_b32_e64 v46, v46, v49, s[12:13]
	v_cndmask_b32_e64 v48, v52, v48, s[12:13]
	v_cmp_ge_i32_e64 s[12:13], v48, v46
	s_or_b64 s[16:17], s[12:13], s[16:17]
	s_andn2_b64 exec, exec, s[16:17]
	s_cbranch_execnz .LBB51_28
; %bb.29:                               ;   in Loop: Header=BB51_2 Depth=1
	s_or_b64 exec, exec, s[16:17]
	s_branch .LBB51_1
.LBB51_30:
	s_add_u32 s0, s18, s20
	s_addc_u32 s1, s19, 0
	s_waitcnt lgkmcnt(0)
	v_add_u16_e32 v2, v46, v47
	v_lshl_add_u64 v[0:1], s[0:1], 0, v[0:1]
	global_store_byte v[0:1], v2, off
	s_endpgm
	.section	.rodata,"a",@progbits
	.p2align	6, 0x0
	.amdhsa_kernel _Z17sort_pairs_kernelIaLj128ELj1EN10test_utils4lessELj10EEvPKT_PS2_T2_
		.amdhsa_group_segment_fixed_size 129
		.amdhsa_private_segment_fixed_size 0
		.amdhsa_kernarg_size 20
		.amdhsa_user_sgpr_count 2
		.amdhsa_user_sgpr_dispatch_ptr 0
		.amdhsa_user_sgpr_queue_ptr 0
		.amdhsa_user_sgpr_kernarg_segment_ptr 1
		.amdhsa_user_sgpr_dispatch_id 0
		.amdhsa_user_sgpr_kernarg_preload_length 0
		.amdhsa_user_sgpr_kernarg_preload_offset 0
		.amdhsa_user_sgpr_private_segment_size 0
		.amdhsa_uses_dynamic_stack 0
		.amdhsa_enable_private_segment 0
		.amdhsa_system_sgpr_workgroup_id_x 1
		.amdhsa_system_sgpr_workgroup_id_y 0
		.amdhsa_system_sgpr_workgroup_id_z 0
		.amdhsa_system_sgpr_workgroup_info 0
		.amdhsa_system_vgpr_workitem_id 0
		.amdhsa_next_free_vgpr 53
		.amdhsa_next_free_sgpr 23
		.amdhsa_accum_offset 56
		.amdhsa_reserve_vcc 1
		.amdhsa_float_round_mode_32 0
		.amdhsa_float_round_mode_16_64 0
		.amdhsa_float_denorm_mode_32 3
		.amdhsa_float_denorm_mode_16_64 3
		.amdhsa_dx10_clamp 1
		.amdhsa_ieee_mode 1
		.amdhsa_fp16_overflow 0
		.amdhsa_tg_split 0
		.amdhsa_exception_fp_ieee_invalid_op 0
		.amdhsa_exception_fp_denorm_src 0
		.amdhsa_exception_fp_ieee_div_zero 0
		.amdhsa_exception_fp_ieee_overflow 0
		.amdhsa_exception_fp_ieee_underflow 0
		.amdhsa_exception_fp_ieee_inexact 0
		.amdhsa_exception_int_div_zero 0
	.end_amdhsa_kernel
	.section	.text._Z17sort_pairs_kernelIaLj128ELj1EN10test_utils4lessELj10EEvPKT_PS2_T2_,"axG",@progbits,_Z17sort_pairs_kernelIaLj128ELj1EN10test_utils4lessELj10EEvPKT_PS2_T2_,comdat
.Lfunc_end51:
	.size	_Z17sort_pairs_kernelIaLj128ELj1EN10test_utils4lessELj10EEvPKT_PS2_T2_, .Lfunc_end51-_Z17sort_pairs_kernelIaLj128ELj1EN10test_utils4lessELj10EEvPKT_PS2_T2_
                                        ; -- End function
	.section	.AMDGPU.csdata,"",@progbits
; Kernel info:
; codeLenInByte = 2364
; NumSgprs: 29
; NumVgprs: 53
; NumAgprs: 0
; TotalNumVgprs: 53
; ScratchSize: 0
; MemoryBound: 0
; FloatMode: 240
; IeeeMode: 1
; LDSByteSize: 129 bytes/workgroup (compile time only)
; SGPRBlocks: 3
; VGPRBlocks: 6
; NumSGPRsForWavesPerEU: 29
; NumVGPRsForWavesPerEU: 53
; AccumOffset: 56
; Occupancy: 8
; WaveLimiterHint : 0
; COMPUTE_PGM_RSRC2:SCRATCH_EN: 0
; COMPUTE_PGM_RSRC2:USER_SGPR: 2
; COMPUTE_PGM_RSRC2:TRAP_HANDLER: 0
; COMPUTE_PGM_RSRC2:TGID_X_EN: 1
; COMPUTE_PGM_RSRC2:TGID_Y_EN: 0
; COMPUTE_PGM_RSRC2:TGID_Z_EN: 0
; COMPUTE_PGM_RSRC2:TIDIG_COMP_CNT: 0
; COMPUTE_PGM_RSRC3_GFX90A:ACCUM_OFFSET: 13
; COMPUTE_PGM_RSRC3_GFX90A:TG_SPLIT: 0
	.section	.text._Z16sort_keys_kernelIaLj128ELj2EN10test_utils4lessELj10EEvPKT_PS2_T2_,"axG",@progbits,_Z16sort_keys_kernelIaLj128ELj2EN10test_utils4lessELj10EEvPKT_PS2_T2_,comdat
	.protected	_Z16sort_keys_kernelIaLj128ELj2EN10test_utils4lessELj10EEvPKT_PS2_T2_ ; -- Begin function _Z16sort_keys_kernelIaLj128ELj2EN10test_utils4lessELj10EEvPKT_PS2_T2_
	.globl	_Z16sort_keys_kernelIaLj128ELj2EN10test_utils4lessELj10EEvPKT_PS2_T2_
	.p2align	8
	.type	_Z16sort_keys_kernelIaLj128ELj2EN10test_utils4lessELj10EEvPKT_PS2_T2_,@function
_Z16sort_keys_kernelIaLj128ELj2EN10test_utils4lessELj10EEvPKT_PS2_T2_: ; @_Z16sort_keys_kernelIaLj128ELj2EN10test_utils4lessELj10EEvPKT_PS2_T2_
; %bb.0:
	s_load_dwordx4 s[16:19], s[0:1], 0x0
	s_lshl_b32 s20, s2, 8
	v_lshlrev_b32_e32 v3, 1, v0
	v_and_b32_e32 v4, 0xfc, v3
	v_and_b32_e32 v6, 0xf8, v3
	s_waitcnt lgkmcnt(0)
	s_add_u32 s0, s16, s20
	s_addc_u32 s1, s17, 0
	global_load_ubyte v48, v0, s[0:1]
	global_load_ubyte v49, v0, s[0:1] offset:128
	v_or_b32_e32 v18, 2, v4
	v_add_u32_e32 v19, 4, v4
	v_and_b32_e32 v5, 2, v3
	v_and_b32_e32 v8, 0xf0, v3
	v_or_b32_e32 v20, 4, v6
	v_add_u32_e32 v21, 8, v6
	v_sub_u32_e32 v42, v19, v18
	v_and_b32_e32 v7, 6, v3
	v_and_b32_e32 v10, 0xe0, v3
	v_or_b32_e32 v22, 8, v8
	v_add_u32_e32 v23, 16, v8
	v_sub_u32_e32 v43, v21, v20
	v_sub_u32_e32 v50, v5, v42
	v_cmp_ge_i32_e64 s[0:1], v5, v42
	v_and_b32_e32 v9, 14, v3
	v_and_b32_e32 v12, 0xc0, v3
	v_or_b32_e32 v24, 16, v10
	v_add_u32_e32 v25, 32, v10
	v_sub_u32_e32 v44, v23, v22
	v_sub_u32_e32 v51, v7, v43
	v_cndmask_b32_e64 v42, 0, v50, s[0:1]
	v_cmp_ge_i32_e64 s[0:1], v7, v43
	v_and_b32_e32 v11, 30, v3
	v_and_b32_e32 v14, 0x80, v3
	v_or_b32_e32 v26, 32, v12
	v_add_u32_e32 v27, 64, v12
	v_sub_u32_e32 v45, v25, v24
	v_sub_u32_e32 v52, v9, v44
	v_cndmask_b32_e64 v43, 0, v51, s[0:1]
	v_cmp_ge_i32_e64 s[0:1], v9, v44
	v_and_b32_e32 v13, 62, v3
	v_or_b32_e32 v28, 64, v14
	v_add_u32_e32 v29, 0x80, v14
	v_sub_u32_e32 v46, v27, v26
	v_sub_u32_e32 v53, v11, v45
	v_cndmask_b32_e64 v44, 0, v52, s[0:1]
	v_cmp_ge_i32_e64 s[0:1], v11, v45
	v_and_b32_e32 v15, 0x7e, v3
	v_sub_u32_e32 v47, v29, v28
	v_sub_u32_e32 v54, v13, v46
	v_cndmask_b32_e64 v45, 0, v53, s[0:1]
	v_cmp_ge_i32_e64 s[0:1], v13, v46
	v_mov_b32_e32 v2, 0x80
	v_sub_u32_e32 v36, v18, v4
	v_sub_u32_e32 v37, v20, v6
	;; [unrolled: 1-line block ×7, first 2 shown]
	v_cndmask_b32_e64 v46, 0, v54, s[0:1]
	v_cmp_ge_i32_e64 s[0:1], v15, v47
	v_sub_u32_e64 v16, v3, v2 clamp
	v_min_i32_e32 v17, 0x80, v3
	v_min_i32_e32 v36, v5, v36
	;; [unrolled: 1-line block ×7, first 2 shown]
	v_cndmask_b32_e64 v47, 0, v55, s[0:1]
	s_mov_b32 s21, 0
	v_mov_b32_e32 v1, 0
	v_cmp_lt_i32_e32 vcc, v16, v17
	v_add_u32_e32 v30, v18, v5
	v_add_u32_e32 v31, v20, v7
	;; [unrolled: 1-line block ×6, first 2 shown]
	v_cmp_lt_i32_e64 s[0:1], v42, v36
	v_cmp_lt_i32_e64 s[2:3], v43, v37
	;; [unrolled: 1-line block ×6, first 2 shown]
	s_mov_b32 s22, 0xc0c0001
	s_movk_i32 s23, 0x100
	s_waitcnt vmcnt(0)
	v_lshlrev_b16_e32 v49, 8, v49
	v_or_b32_e32 v48, v48, v49
	v_and_b32_e32 v51, 0xffff, v48
	v_add_u32_e32 v48, 0x80, v3
	s_branch .LBB52_2
.LBB52_1:                               ;   in Loop: Header=BB52_2 Depth=1
	s_or_b64 exec, exec, s[14:15]
	v_cmp_ge_i32_e64 s[14:15], v54, v2
	s_waitcnt lgkmcnt(0)
	v_cmp_lt_i16_sdwa s[16:17], sext(v55), sext(v53) src0_sel:BYTE_0 src1_sel:BYTE_0
	v_cndmask_b32_e64 v49, v51, v52, s[12:13]
	v_cmp_gt_i32_e64 s[12:13], s23, v50
	s_or_b64 s[14:15], s[14:15], s[16:17]
	s_and_b64 s[12:13], s[12:13], s[14:15]
	v_cndmask_b32_e64 v50, v53, v55, s[12:13]
	v_lshlrev_b16_e32 v51, 8, v50
	v_or_b32_sdwa v51, v49, v51 dst_sel:DWORD dst_unused:UNUSED_PAD src0_sel:BYTE_0 src1_sel:DWORD
	s_add_i32 s21, s21, 1
	s_cmp_eq_u32 s21, 10
	v_and_b32_e32 v51, 0xffff, v51
	s_cbranch_scc1 .LBB52_58
.LBB52_2:                               ; =>This Loop Header: Depth=1
                                        ;     Child Loop BB52_4 Depth 2
                                        ;     Child Loop BB52_12 Depth 2
	;; [unrolled: 1-line block ×7, first 2 shown]
	v_perm_b32 v49, 0, v51, s22
	v_cmp_lt_i16_sdwa s[12:13], sext(v51), sext(v51) src0_sel:BYTE_1 src1_sel:BYTE_0
	s_barrier
	s_nop 0
	v_cndmask_b32_e64 v49, v51, v49, s[12:13]
	ds_write_b8 v3, v49
	v_lshrrev_b16_e32 v49, 8, v49
	v_mov_b32_e32 v50, v42
	ds_write_b8 v3, v49 offset:1
	s_waitcnt lgkmcnt(0)
	s_barrier
	s_and_saveexec_b64 s[14:15], s[0:1]
	s_cbranch_execz .LBB52_6
; %bb.3:                                ;   in Loop: Header=BB52_2 Depth=1
	s_mov_b64 s[16:17], 0
	v_mov_b32_e32 v50, v42
	v_mov_b32_e32 v49, v36
.LBB52_4:                               ;   Parent Loop BB52_2 Depth=1
                                        ; =>  This Inner Loop Header: Depth=2
	v_sub_u32_e32 v51, v49, v50
	v_lshrrev_b32_e32 v52, 31, v51
	v_add_u32_e32 v51, v51, v52
	v_ashrrev_i32_e32 v51, 1, v51
	v_add_u32_e32 v51, v51, v50
	v_not_b32_e32 v53, v51
	v_add_u32_e32 v52, v4, v51
	v_add3_u32 v53, v5, v53, v18
	ds_read_i8 v52, v52
	ds_read_i8 v53, v53
	v_add_u32_e32 v54, 1, v51
	s_waitcnt lgkmcnt(0)
	v_cmp_lt_i16_e64 s[12:13], v53, v52
	s_nop 1
	v_cndmask_b32_e64 v49, v49, v51, s[12:13]
	v_cndmask_b32_e64 v50, v54, v50, s[12:13]
	v_cmp_ge_i32_e64 s[12:13], v50, v49
	s_or_b64 s[16:17], s[12:13], s[16:17]
	s_andn2_b64 exec, exec, s[16:17]
	s_cbranch_execnz .LBB52_4
; %bb.5:                                ;   in Loop: Header=BB52_2 Depth=1
	s_or_b64 exec, exec, s[16:17]
.LBB52_6:                               ;   in Loop: Header=BB52_2 Depth=1
	s_or_b64 exec, exec, s[14:15]
	v_add_u32_e32 v49, v50, v4
	v_sub_u32_e32 v50, v30, v50
	ds_read_u8 v51, v49
	ds_read_u8 v52, v50
	v_cmp_le_i32_e64 s[14:15], v18, v49
	v_cmp_gt_i32_e64 s[12:13], v19, v50
                                        ; implicit-def: $vgpr53
	s_waitcnt lgkmcnt(1)
	v_bfe_i32 v51, v51, 0, 8
	s_waitcnt lgkmcnt(0)
	v_bfe_i32 v52, v52, 0, 8
	v_cmp_lt_i16_e64 s[16:17], v52, v51
	s_or_b64 s[14:15], s[14:15], s[16:17]
	s_and_b64 s[12:13], s[12:13], s[14:15]
	s_xor_b64 s[14:15], s[12:13], -1
	s_and_saveexec_b64 s[16:17], s[14:15]
	s_xor_b64 s[14:15], exec, s[16:17]
	s_cbranch_execz .LBB52_8
; %bb.7:                                ;   in Loop: Header=BB52_2 Depth=1
	ds_read_u8 v53, v49 offset:1
.LBB52_8:                               ;   in Loop: Header=BB52_2 Depth=1
	s_or_saveexec_b64 s[14:15], s[14:15]
	v_mov_b32_e32 v54, v52
	s_xor_b64 exec, exec, s[14:15]
	s_cbranch_execz .LBB52_10
; %bb.9:                                ;   in Loop: Header=BB52_2 Depth=1
	ds_read_u8 v54, v50 offset:1
	s_waitcnt lgkmcnt(1)
	v_mov_b32_e32 v53, v51
.LBB52_10:                              ;   in Loop: Header=BB52_2 Depth=1
	s_or_b64 exec, exec, s[14:15]
	v_add_u32_e32 v55, 1, v49
	v_cndmask_b32_e64 v51, v51, v52, s[12:13]
	v_add_u32_e32 v52, 1, v50
	v_cndmask_b32_e64 v49, v55, v49, s[12:13]
	v_cndmask_b32_e64 v50, v50, v52, s[12:13]
	v_cmp_ge_i32_e64 s[14:15], v49, v18
	s_waitcnt lgkmcnt(0)
	v_cmp_lt_i16_sdwa s[16:17], sext(v54), sext(v53) src0_sel:BYTE_0 src1_sel:BYTE_0
	v_cmp_lt_i32_e64 s[12:13], v50, v19
	s_or_b64 s[14:15], s[14:15], s[16:17]
	s_and_b64 s[12:13], s[12:13], s[14:15]
	v_mov_b32_e32 v50, v43
	v_cndmask_b32_e64 v49, v53, v54, s[12:13]
	s_barrier
	ds_write_b8 v3, v51
	ds_write_b8 v3, v49 offset:1
	s_waitcnt lgkmcnt(0)
	s_barrier
	s_and_saveexec_b64 s[14:15], s[2:3]
	s_cbranch_execz .LBB52_14
; %bb.11:                               ;   in Loop: Header=BB52_2 Depth=1
	s_mov_b64 s[16:17], 0
	v_mov_b32_e32 v50, v43
	v_mov_b32_e32 v49, v37
.LBB52_12:                              ;   Parent Loop BB52_2 Depth=1
                                        ; =>  This Inner Loop Header: Depth=2
	v_sub_u32_e32 v51, v49, v50
	v_lshrrev_b32_e32 v52, 31, v51
	v_add_u32_e32 v51, v51, v52
	v_ashrrev_i32_e32 v51, 1, v51
	v_add_u32_e32 v51, v51, v50
	v_not_b32_e32 v53, v51
	v_add_u32_e32 v52, v6, v51
	v_add3_u32 v53, v7, v53, v20
	ds_read_i8 v52, v52
	ds_read_i8 v53, v53
	v_add_u32_e32 v54, 1, v51
	s_waitcnt lgkmcnt(0)
	v_cmp_lt_i16_e64 s[12:13], v53, v52
	s_nop 1
	v_cndmask_b32_e64 v49, v49, v51, s[12:13]
	v_cndmask_b32_e64 v50, v54, v50, s[12:13]
	v_cmp_ge_i32_e64 s[12:13], v50, v49
	s_or_b64 s[16:17], s[12:13], s[16:17]
	s_andn2_b64 exec, exec, s[16:17]
	s_cbranch_execnz .LBB52_12
; %bb.13:                               ;   in Loop: Header=BB52_2 Depth=1
	s_or_b64 exec, exec, s[16:17]
.LBB52_14:                              ;   in Loop: Header=BB52_2 Depth=1
	s_or_b64 exec, exec, s[14:15]
	v_add_u32_e32 v49, v50, v6
	v_sub_u32_e32 v50, v31, v50
	ds_read_u8 v51, v49
	ds_read_u8 v52, v50
	v_cmp_le_i32_e64 s[14:15], v20, v49
	v_cmp_gt_i32_e64 s[12:13], v21, v50
                                        ; implicit-def: $vgpr53
	s_waitcnt lgkmcnt(1)
	v_bfe_i32 v51, v51, 0, 8
	s_waitcnt lgkmcnt(0)
	v_bfe_i32 v52, v52, 0, 8
	v_cmp_lt_i16_e64 s[16:17], v52, v51
	s_or_b64 s[14:15], s[14:15], s[16:17]
	s_and_b64 s[12:13], s[12:13], s[14:15]
	s_xor_b64 s[14:15], s[12:13], -1
	s_and_saveexec_b64 s[16:17], s[14:15]
	s_xor_b64 s[14:15], exec, s[16:17]
	s_cbranch_execz .LBB52_16
; %bb.15:                               ;   in Loop: Header=BB52_2 Depth=1
	ds_read_u8 v53, v49 offset:1
.LBB52_16:                              ;   in Loop: Header=BB52_2 Depth=1
	s_or_saveexec_b64 s[14:15], s[14:15]
	v_mov_b32_e32 v54, v52
	s_xor_b64 exec, exec, s[14:15]
	s_cbranch_execz .LBB52_18
; %bb.17:                               ;   in Loop: Header=BB52_2 Depth=1
	ds_read_u8 v54, v50 offset:1
	s_waitcnt lgkmcnt(1)
	v_mov_b32_e32 v53, v51
.LBB52_18:                              ;   in Loop: Header=BB52_2 Depth=1
	s_or_b64 exec, exec, s[14:15]
	v_add_u32_e32 v55, 1, v49
	v_cndmask_b32_e64 v51, v51, v52, s[12:13]
	v_add_u32_e32 v52, 1, v50
	v_cndmask_b32_e64 v49, v55, v49, s[12:13]
	v_cndmask_b32_e64 v50, v50, v52, s[12:13]
	v_cmp_ge_i32_e64 s[14:15], v49, v20
	s_waitcnt lgkmcnt(0)
	v_cmp_lt_i16_sdwa s[16:17], sext(v54), sext(v53) src0_sel:BYTE_0 src1_sel:BYTE_0
	v_cmp_lt_i32_e64 s[12:13], v50, v21
	s_or_b64 s[14:15], s[14:15], s[16:17]
	s_and_b64 s[12:13], s[12:13], s[14:15]
	v_mov_b32_e32 v50, v44
	v_cndmask_b32_e64 v49, v53, v54, s[12:13]
	s_barrier
	ds_write_b8 v3, v51
	ds_write_b8 v3, v49 offset:1
	s_waitcnt lgkmcnt(0)
	s_barrier
	s_and_saveexec_b64 s[14:15], s[4:5]
	s_cbranch_execz .LBB52_22
; %bb.19:                               ;   in Loop: Header=BB52_2 Depth=1
	s_mov_b64 s[16:17], 0
	v_mov_b32_e32 v50, v44
	v_mov_b32_e32 v49, v38
.LBB52_20:                              ;   Parent Loop BB52_2 Depth=1
                                        ; =>  This Inner Loop Header: Depth=2
	v_sub_u32_e32 v51, v49, v50
	v_lshrrev_b32_e32 v52, 31, v51
	v_add_u32_e32 v51, v51, v52
	v_ashrrev_i32_e32 v51, 1, v51
	v_add_u32_e32 v51, v51, v50
	v_not_b32_e32 v53, v51
	v_add_u32_e32 v52, v8, v51
	v_add3_u32 v53, v9, v53, v22
	ds_read_i8 v52, v52
	ds_read_i8 v53, v53
	v_add_u32_e32 v54, 1, v51
	s_waitcnt lgkmcnt(0)
	v_cmp_lt_i16_e64 s[12:13], v53, v52
	s_nop 1
	v_cndmask_b32_e64 v49, v49, v51, s[12:13]
	v_cndmask_b32_e64 v50, v54, v50, s[12:13]
	v_cmp_ge_i32_e64 s[12:13], v50, v49
	s_or_b64 s[16:17], s[12:13], s[16:17]
	s_andn2_b64 exec, exec, s[16:17]
	s_cbranch_execnz .LBB52_20
; %bb.21:                               ;   in Loop: Header=BB52_2 Depth=1
	s_or_b64 exec, exec, s[16:17]
.LBB52_22:                              ;   in Loop: Header=BB52_2 Depth=1
	s_or_b64 exec, exec, s[14:15]
	v_add_u32_e32 v49, v50, v8
	v_sub_u32_e32 v50, v32, v50
	ds_read_u8 v51, v49
	ds_read_u8 v52, v50
	v_cmp_le_i32_e64 s[14:15], v22, v49
	v_cmp_gt_i32_e64 s[12:13], v23, v50
                                        ; implicit-def: $vgpr53
	s_waitcnt lgkmcnt(1)
	v_bfe_i32 v51, v51, 0, 8
	s_waitcnt lgkmcnt(0)
	v_bfe_i32 v52, v52, 0, 8
	v_cmp_lt_i16_e64 s[16:17], v52, v51
	s_or_b64 s[14:15], s[14:15], s[16:17]
	s_and_b64 s[12:13], s[12:13], s[14:15]
	s_xor_b64 s[14:15], s[12:13], -1
	s_and_saveexec_b64 s[16:17], s[14:15]
	s_xor_b64 s[14:15], exec, s[16:17]
	s_cbranch_execz .LBB52_24
; %bb.23:                               ;   in Loop: Header=BB52_2 Depth=1
	ds_read_u8 v53, v49 offset:1
.LBB52_24:                              ;   in Loop: Header=BB52_2 Depth=1
	s_or_saveexec_b64 s[14:15], s[14:15]
	v_mov_b32_e32 v54, v52
	s_xor_b64 exec, exec, s[14:15]
	s_cbranch_execz .LBB52_26
; %bb.25:                               ;   in Loop: Header=BB52_2 Depth=1
	ds_read_u8 v54, v50 offset:1
	s_waitcnt lgkmcnt(1)
	v_mov_b32_e32 v53, v51
.LBB52_26:                              ;   in Loop: Header=BB52_2 Depth=1
	s_or_b64 exec, exec, s[14:15]
	v_add_u32_e32 v55, 1, v49
	v_cndmask_b32_e64 v51, v51, v52, s[12:13]
	v_add_u32_e32 v52, 1, v50
	v_cndmask_b32_e64 v49, v55, v49, s[12:13]
	v_cndmask_b32_e64 v50, v50, v52, s[12:13]
	v_cmp_ge_i32_e64 s[14:15], v49, v22
	s_waitcnt lgkmcnt(0)
	v_cmp_lt_i16_sdwa s[16:17], sext(v54), sext(v53) src0_sel:BYTE_0 src1_sel:BYTE_0
	v_cmp_lt_i32_e64 s[12:13], v50, v23
	s_or_b64 s[14:15], s[14:15], s[16:17]
	s_and_b64 s[12:13], s[12:13], s[14:15]
	v_mov_b32_e32 v50, v45
	v_cndmask_b32_e64 v49, v53, v54, s[12:13]
	s_barrier
	ds_write_b8 v3, v51
	ds_write_b8 v3, v49 offset:1
	s_waitcnt lgkmcnt(0)
	s_barrier
	s_and_saveexec_b64 s[14:15], s[6:7]
	s_cbranch_execz .LBB52_30
; %bb.27:                               ;   in Loop: Header=BB52_2 Depth=1
	s_mov_b64 s[16:17], 0
	v_mov_b32_e32 v50, v45
	v_mov_b32_e32 v49, v39
.LBB52_28:                              ;   Parent Loop BB52_2 Depth=1
                                        ; =>  This Inner Loop Header: Depth=2
	v_sub_u32_e32 v51, v49, v50
	v_lshrrev_b32_e32 v52, 31, v51
	v_add_u32_e32 v51, v51, v52
	v_ashrrev_i32_e32 v51, 1, v51
	v_add_u32_e32 v51, v51, v50
	v_not_b32_e32 v53, v51
	v_add_u32_e32 v52, v10, v51
	v_add3_u32 v53, v11, v53, v24
	ds_read_i8 v52, v52
	ds_read_i8 v53, v53
	v_add_u32_e32 v54, 1, v51
	s_waitcnt lgkmcnt(0)
	v_cmp_lt_i16_e64 s[12:13], v53, v52
	s_nop 1
	v_cndmask_b32_e64 v49, v49, v51, s[12:13]
	v_cndmask_b32_e64 v50, v54, v50, s[12:13]
	v_cmp_ge_i32_e64 s[12:13], v50, v49
	s_or_b64 s[16:17], s[12:13], s[16:17]
	s_andn2_b64 exec, exec, s[16:17]
	s_cbranch_execnz .LBB52_28
; %bb.29:                               ;   in Loop: Header=BB52_2 Depth=1
	s_or_b64 exec, exec, s[16:17]
.LBB52_30:                              ;   in Loop: Header=BB52_2 Depth=1
	s_or_b64 exec, exec, s[14:15]
	v_add_u32_e32 v49, v50, v10
	v_sub_u32_e32 v50, v33, v50
	ds_read_u8 v51, v49
	ds_read_u8 v52, v50
	v_cmp_le_i32_e64 s[14:15], v24, v49
	v_cmp_gt_i32_e64 s[12:13], v25, v50
                                        ; implicit-def: $vgpr53
	s_waitcnt lgkmcnt(1)
	v_bfe_i32 v51, v51, 0, 8
	s_waitcnt lgkmcnt(0)
	v_bfe_i32 v52, v52, 0, 8
	v_cmp_lt_i16_e64 s[16:17], v52, v51
	s_or_b64 s[14:15], s[14:15], s[16:17]
	s_and_b64 s[12:13], s[12:13], s[14:15]
	s_xor_b64 s[14:15], s[12:13], -1
	s_and_saveexec_b64 s[16:17], s[14:15]
	s_xor_b64 s[14:15], exec, s[16:17]
	s_cbranch_execz .LBB52_32
; %bb.31:                               ;   in Loop: Header=BB52_2 Depth=1
	ds_read_u8 v53, v49 offset:1
.LBB52_32:                              ;   in Loop: Header=BB52_2 Depth=1
	s_or_saveexec_b64 s[14:15], s[14:15]
	v_mov_b32_e32 v54, v52
	s_xor_b64 exec, exec, s[14:15]
	s_cbranch_execz .LBB52_34
; %bb.33:                               ;   in Loop: Header=BB52_2 Depth=1
	ds_read_u8 v54, v50 offset:1
	s_waitcnt lgkmcnt(1)
	v_mov_b32_e32 v53, v51
.LBB52_34:                              ;   in Loop: Header=BB52_2 Depth=1
	s_or_b64 exec, exec, s[14:15]
	v_add_u32_e32 v55, 1, v49
	v_cndmask_b32_e64 v51, v51, v52, s[12:13]
	v_add_u32_e32 v52, 1, v50
	v_cndmask_b32_e64 v49, v55, v49, s[12:13]
	v_cndmask_b32_e64 v50, v50, v52, s[12:13]
	v_cmp_ge_i32_e64 s[14:15], v49, v24
	s_waitcnt lgkmcnt(0)
	v_cmp_lt_i16_sdwa s[16:17], sext(v54), sext(v53) src0_sel:BYTE_0 src1_sel:BYTE_0
	v_cmp_lt_i32_e64 s[12:13], v50, v25
	s_or_b64 s[14:15], s[14:15], s[16:17]
	s_and_b64 s[12:13], s[12:13], s[14:15]
	v_mov_b32_e32 v50, v46
	v_cndmask_b32_e64 v49, v53, v54, s[12:13]
	s_barrier
	ds_write_b8 v3, v51
	ds_write_b8 v3, v49 offset:1
	s_waitcnt lgkmcnt(0)
	s_barrier
	s_and_saveexec_b64 s[14:15], s[8:9]
	s_cbranch_execz .LBB52_38
; %bb.35:                               ;   in Loop: Header=BB52_2 Depth=1
	s_mov_b64 s[16:17], 0
	v_mov_b32_e32 v50, v46
	v_mov_b32_e32 v49, v40
.LBB52_36:                              ;   Parent Loop BB52_2 Depth=1
                                        ; =>  This Inner Loop Header: Depth=2
	v_sub_u32_e32 v51, v49, v50
	v_lshrrev_b32_e32 v52, 31, v51
	v_add_u32_e32 v51, v51, v52
	v_ashrrev_i32_e32 v51, 1, v51
	v_add_u32_e32 v51, v51, v50
	v_not_b32_e32 v53, v51
	v_add_u32_e32 v52, v12, v51
	v_add3_u32 v53, v13, v53, v26
	ds_read_i8 v52, v52
	ds_read_i8 v53, v53
	v_add_u32_e32 v54, 1, v51
	s_waitcnt lgkmcnt(0)
	v_cmp_lt_i16_e64 s[12:13], v53, v52
	s_nop 1
	v_cndmask_b32_e64 v49, v49, v51, s[12:13]
	v_cndmask_b32_e64 v50, v54, v50, s[12:13]
	v_cmp_ge_i32_e64 s[12:13], v50, v49
	s_or_b64 s[16:17], s[12:13], s[16:17]
	s_andn2_b64 exec, exec, s[16:17]
	s_cbranch_execnz .LBB52_36
; %bb.37:                               ;   in Loop: Header=BB52_2 Depth=1
	s_or_b64 exec, exec, s[16:17]
.LBB52_38:                              ;   in Loop: Header=BB52_2 Depth=1
	s_or_b64 exec, exec, s[14:15]
	v_add_u32_e32 v49, v50, v12
	v_sub_u32_e32 v50, v34, v50
	ds_read_u8 v51, v49
	ds_read_u8 v52, v50
	v_cmp_le_i32_e64 s[14:15], v26, v49
	v_cmp_gt_i32_e64 s[12:13], v27, v50
                                        ; implicit-def: $vgpr53
	s_waitcnt lgkmcnt(1)
	v_bfe_i32 v51, v51, 0, 8
	s_waitcnt lgkmcnt(0)
	v_bfe_i32 v52, v52, 0, 8
	v_cmp_lt_i16_e64 s[16:17], v52, v51
	s_or_b64 s[14:15], s[14:15], s[16:17]
	s_and_b64 s[12:13], s[12:13], s[14:15]
	s_xor_b64 s[14:15], s[12:13], -1
	s_and_saveexec_b64 s[16:17], s[14:15]
	s_xor_b64 s[14:15], exec, s[16:17]
	s_cbranch_execz .LBB52_40
; %bb.39:                               ;   in Loop: Header=BB52_2 Depth=1
	ds_read_u8 v53, v49 offset:1
.LBB52_40:                              ;   in Loop: Header=BB52_2 Depth=1
	s_or_saveexec_b64 s[14:15], s[14:15]
	v_mov_b32_e32 v54, v52
	s_xor_b64 exec, exec, s[14:15]
	s_cbranch_execz .LBB52_42
; %bb.41:                               ;   in Loop: Header=BB52_2 Depth=1
	ds_read_u8 v54, v50 offset:1
	s_waitcnt lgkmcnt(1)
	v_mov_b32_e32 v53, v51
.LBB52_42:                              ;   in Loop: Header=BB52_2 Depth=1
	s_or_b64 exec, exec, s[14:15]
	v_add_u32_e32 v55, 1, v49
	v_cndmask_b32_e64 v51, v51, v52, s[12:13]
	v_add_u32_e32 v52, 1, v50
	v_cndmask_b32_e64 v49, v55, v49, s[12:13]
	v_cndmask_b32_e64 v50, v50, v52, s[12:13]
	v_cmp_ge_i32_e64 s[14:15], v49, v26
	s_waitcnt lgkmcnt(0)
	v_cmp_lt_i16_sdwa s[16:17], sext(v54), sext(v53) src0_sel:BYTE_0 src1_sel:BYTE_0
	v_cmp_lt_i32_e64 s[12:13], v50, v27
	s_or_b64 s[14:15], s[14:15], s[16:17]
	s_and_b64 s[12:13], s[12:13], s[14:15]
	v_mov_b32_e32 v50, v47
	v_cndmask_b32_e64 v49, v53, v54, s[12:13]
	s_barrier
	ds_write_b8 v3, v51
	ds_write_b8 v3, v49 offset:1
	s_waitcnt lgkmcnt(0)
	s_barrier
	s_and_saveexec_b64 s[14:15], s[10:11]
	s_cbranch_execz .LBB52_46
; %bb.43:                               ;   in Loop: Header=BB52_2 Depth=1
	s_mov_b64 s[16:17], 0
	v_mov_b32_e32 v50, v47
	v_mov_b32_e32 v49, v41
.LBB52_44:                              ;   Parent Loop BB52_2 Depth=1
                                        ; =>  This Inner Loop Header: Depth=2
	v_sub_u32_e32 v51, v49, v50
	v_lshrrev_b32_e32 v52, 31, v51
	v_add_u32_e32 v51, v51, v52
	v_ashrrev_i32_e32 v51, 1, v51
	v_add_u32_e32 v51, v51, v50
	v_not_b32_e32 v53, v51
	v_add_u32_e32 v52, v14, v51
	v_add3_u32 v53, v15, v53, v28
	ds_read_i8 v52, v52
	ds_read_i8 v53, v53
	v_add_u32_e32 v54, 1, v51
	s_waitcnt lgkmcnt(0)
	v_cmp_lt_i16_e64 s[12:13], v53, v52
	s_nop 1
	v_cndmask_b32_e64 v49, v49, v51, s[12:13]
	v_cndmask_b32_e64 v50, v54, v50, s[12:13]
	v_cmp_ge_i32_e64 s[12:13], v50, v49
	s_or_b64 s[16:17], s[12:13], s[16:17]
	s_andn2_b64 exec, exec, s[16:17]
	s_cbranch_execnz .LBB52_44
; %bb.45:                               ;   in Loop: Header=BB52_2 Depth=1
	s_or_b64 exec, exec, s[16:17]
.LBB52_46:                              ;   in Loop: Header=BB52_2 Depth=1
	s_or_b64 exec, exec, s[14:15]
	v_add_u32_e32 v49, v50, v14
	v_sub_u32_e32 v50, v35, v50
	ds_read_u8 v51, v49
	ds_read_u8 v52, v50
	v_cmp_le_i32_e64 s[14:15], v28, v49
	v_cmp_gt_i32_e64 s[12:13], v29, v50
                                        ; implicit-def: $vgpr53
	s_waitcnt lgkmcnt(1)
	v_bfe_i32 v51, v51, 0, 8
	s_waitcnt lgkmcnt(0)
	v_bfe_i32 v52, v52, 0, 8
	v_cmp_lt_i16_e64 s[16:17], v52, v51
	s_or_b64 s[14:15], s[14:15], s[16:17]
	s_and_b64 s[12:13], s[12:13], s[14:15]
	s_xor_b64 s[14:15], s[12:13], -1
	s_and_saveexec_b64 s[16:17], s[14:15]
	s_xor_b64 s[14:15], exec, s[16:17]
	s_cbranch_execz .LBB52_48
; %bb.47:                               ;   in Loop: Header=BB52_2 Depth=1
	ds_read_u8 v53, v49 offset:1
.LBB52_48:                              ;   in Loop: Header=BB52_2 Depth=1
	s_or_saveexec_b64 s[14:15], s[14:15]
	v_mov_b32_e32 v54, v52
	s_xor_b64 exec, exec, s[14:15]
	s_cbranch_execz .LBB52_50
; %bb.49:                               ;   in Loop: Header=BB52_2 Depth=1
	ds_read_u8 v54, v50 offset:1
	s_waitcnt lgkmcnt(1)
	v_mov_b32_e32 v53, v51
.LBB52_50:                              ;   in Loop: Header=BB52_2 Depth=1
	s_or_b64 exec, exec, s[14:15]
	v_add_u32_e32 v55, 1, v49
	v_cndmask_b32_e64 v51, v51, v52, s[12:13]
	v_add_u32_e32 v52, 1, v50
	v_cndmask_b32_e64 v49, v55, v49, s[12:13]
	v_cndmask_b32_e64 v50, v50, v52, s[12:13]
	v_cmp_ge_i32_e64 s[14:15], v49, v28
	s_waitcnt lgkmcnt(0)
	v_cmp_lt_i16_sdwa s[16:17], sext(v54), sext(v53) src0_sel:BYTE_0 src1_sel:BYTE_0
	v_cmp_lt_i32_e64 s[12:13], v50, v29
	s_or_b64 s[14:15], s[14:15], s[16:17]
	s_and_b64 s[12:13], s[12:13], s[14:15]
	v_cndmask_b32_e64 v49, v53, v54, s[12:13]
	s_barrier
	ds_write_b8 v3, v51
	ds_write_b8 v3, v49 offset:1
	v_mov_b32_e32 v49, v16
	s_waitcnt lgkmcnt(0)
	s_barrier
	s_and_saveexec_b64 s[14:15], vcc
	s_cbranch_execz .LBB52_54
; %bb.51:                               ;   in Loop: Header=BB52_2 Depth=1
	s_mov_b64 s[16:17], 0
	v_mov_b32_e32 v49, v16
	v_mov_b32_e32 v50, v17
.LBB52_52:                              ;   Parent Loop BB52_2 Depth=1
                                        ; =>  This Inner Loop Header: Depth=2
	v_sub_u32_e32 v51, v50, v49
	v_lshrrev_b32_e32 v52, 31, v51
	v_add_u32_e32 v51, v51, v52
	v_ashrrev_i32_e32 v51, 1, v51
	v_add_u32_e32 v51, v51, v49
	v_not_b32_e32 v52, v51
	v_add3_u32 v52, v3, v52, v2
	ds_read_i8 v53, v51
	ds_read_i8 v52, v52
	v_add_u32_e32 v54, 1, v51
	s_waitcnt lgkmcnt(0)
	v_cmp_lt_i16_e64 s[12:13], v52, v53
	s_nop 1
	v_cndmask_b32_e64 v50, v50, v51, s[12:13]
	v_cndmask_b32_e64 v49, v54, v49, s[12:13]
	v_cmp_ge_i32_e64 s[12:13], v49, v50
	s_or_b64 s[16:17], s[12:13], s[16:17]
	s_andn2_b64 exec, exec, s[16:17]
	s_cbranch_execnz .LBB52_52
; %bb.53:                               ;   in Loop: Header=BB52_2 Depth=1
	s_or_b64 exec, exec, s[16:17]
.LBB52_54:                              ;   in Loop: Header=BB52_2 Depth=1
	s_or_b64 exec, exec, s[14:15]
	v_sub_u32_e32 v50, v48, v49
	ds_read_u8 v51, v49
	ds_read_u8 v52, v50
	v_cmp_le_i32_e64 s[14:15], v2, v49
	v_cmp_gt_i32_e64 s[12:13], s23, v50
                                        ; implicit-def: $vgpr53
                                        ; implicit-def: $vgpr54
	s_waitcnt lgkmcnt(1)
	v_bfe_i32 v51, v51, 0, 8
	s_waitcnt lgkmcnt(0)
	v_bfe_i32 v52, v52, 0, 8
	v_cmp_lt_i16_e64 s[16:17], v52, v51
	s_or_b64 s[14:15], s[14:15], s[16:17]
	s_and_b64 s[12:13], s[12:13], s[14:15]
	s_xor_b64 s[14:15], s[12:13], -1
	s_and_saveexec_b64 s[16:17], s[14:15]
	s_xor_b64 s[14:15], exec, s[16:17]
	s_cbranch_execz .LBB52_56
; %bb.55:                               ;   in Loop: Header=BB52_2 Depth=1
	ds_read_u8 v53, v49 offset:1
	v_add_u32_e32 v54, 1, v49
                                        ; implicit-def: $vgpr49
.LBB52_56:                              ;   in Loop: Header=BB52_2 Depth=1
	s_or_saveexec_b64 s[14:15], s[14:15]
	v_mov_b32_e32 v55, v52
	s_xor_b64 exec, exec, s[14:15]
	s_cbranch_execz .LBB52_1
; %bb.57:                               ;   in Loop: Header=BB52_2 Depth=1
	ds_read_u8 v55, v50 offset:1
	v_add_u32_e32 v50, 1, v50
	v_mov_b32_e32 v54, v49
	s_waitcnt lgkmcnt(1)
	v_mov_b32_e32 v53, v51
	s_branch .LBB52_1
.LBB52_58:
	s_add_u32 s0, s18, s20
	s_addc_u32 s1, s19, 0
	v_lshl_add_u64 v[0:1], s[0:1], 0, v[0:1]
	global_store_byte v[0:1], v49, off
	global_store_byte v[0:1], v50, off offset:128
	s_endpgm
	.section	.rodata,"a",@progbits
	.p2align	6, 0x0
	.amdhsa_kernel _Z16sort_keys_kernelIaLj128ELj2EN10test_utils4lessELj10EEvPKT_PS2_T2_
		.amdhsa_group_segment_fixed_size 257
		.amdhsa_private_segment_fixed_size 0
		.amdhsa_kernarg_size 20
		.amdhsa_user_sgpr_count 2
		.amdhsa_user_sgpr_dispatch_ptr 0
		.amdhsa_user_sgpr_queue_ptr 0
		.amdhsa_user_sgpr_kernarg_segment_ptr 1
		.amdhsa_user_sgpr_dispatch_id 0
		.amdhsa_user_sgpr_kernarg_preload_length 0
		.amdhsa_user_sgpr_kernarg_preload_offset 0
		.amdhsa_user_sgpr_private_segment_size 0
		.amdhsa_uses_dynamic_stack 0
		.amdhsa_enable_private_segment 0
		.amdhsa_system_sgpr_workgroup_id_x 1
		.amdhsa_system_sgpr_workgroup_id_y 0
		.amdhsa_system_sgpr_workgroup_id_z 0
		.amdhsa_system_sgpr_workgroup_info 0
		.amdhsa_system_vgpr_workitem_id 0
		.amdhsa_next_free_vgpr 56
		.amdhsa_next_free_sgpr 24
		.amdhsa_accum_offset 56
		.amdhsa_reserve_vcc 1
		.amdhsa_float_round_mode_32 0
		.amdhsa_float_round_mode_16_64 0
		.amdhsa_float_denorm_mode_32 3
		.amdhsa_float_denorm_mode_16_64 3
		.amdhsa_dx10_clamp 1
		.amdhsa_ieee_mode 1
		.amdhsa_fp16_overflow 0
		.amdhsa_tg_split 0
		.amdhsa_exception_fp_ieee_invalid_op 0
		.amdhsa_exception_fp_denorm_src 0
		.amdhsa_exception_fp_ieee_div_zero 0
		.amdhsa_exception_fp_ieee_overflow 0
		.amdhsa_exception_fp_ieee_underflow 0
		.amdhsa_exception_fp_ieee_inexact 0
		.amdhsa_exception_int_div_zero 0
	.end_amdhsa_kernel
	.section	.text._Z16sort_keys_kernelIaLj128ELj2EN10test_utils4lessELj10EEvPKT_PS2_T2_,"axG",@progbits,_Z16sort_keys_kernelIaLj128ELj2EN10test_utils4lessELj10EEvPKT_PS2_T2_,comdat
.Lfunc_end52:
	.size	_Z16sort_keys_kernelIaLj128ELj2EN10test_utils4lessELj10EEvPKT_PS2_T2_, .Lfunc_end52-_Z16sort_keys_kernelIaLj128ELj2EN10test_utils4lessELj10EEvPKT_PS2_T2_
                                        ; -- End function
	.section	.AMDGPU.csdata,"",@progbits
; Kernel info:
; codeLenInByte = 3288
; NumSgprs: 30
; NumVgprs: 56
; NumAgprs: 0
; TotalNumVgprs: 56
; ScratchSize: 0
; MemoryBound: 0
; FloatMode: 240
; IeeeMode: 1
; LDSByteSize: 257 bytes/workgroup (compile time only)
; SGPRBlocks: 3
; VGPRBlocks: 6
; NumSGPRsForWavesPerEU: 30
; NumVGPRsForWavesPerEU: 56
; AccumOffset: 56
; Occupancy: 8
; WaveLimiterHint : 1
; COMPUTE_PGM_RSRC2:SCRATCH_EN: 0
; COMPUTE_PGM_RSRC2:USER_SGPR: 2
; COMPUTE_PGM_RSRC2:TRAP_HANDLER: 0
; COMPUTE_PGM_RSRC2:TGID_X_EN: 1
; COMPUTE_PGM_RSRC2:TGID_Y_EN: 0
; COMPUTE_PGM_RSRC2:TGID_Z_EN: 0
; COMPUTE_PGM_RSRC2:TIDIG_COMP_CNT: 0
; COMPUTE_PGM_RSRC3_GFX90A:ACCUM_OFFSET: 13
; COMPUTE_PGM_RSRC3_GFX90A:TG_SPLIT: 0
	.section	.text._Z17sort_pairs_kernelIaLj128ELj2EN10test_utils4lessELj10EEvPKT_PS2_T2_,"axG",@progbits,_Z17sort_pairs_kernelIaLj128ELj2EN10test_utils4lessELj10EEvPKT_PS2_T2_,comdat
	.protected	_Z17sort_pairs_kernelIaLj128ELj2EN10test_utils4lessELj10EEvPKT_PS2_T2_ ; -- Begin function _Z17sort_pairs_kernelIaLj128ELj2EN10test_utils4lessELj10EEvPKT_PS2_T2_
	.globl	_Z17sort_pairs_kernelIaLj128ELj2EN10test_utils4lessELj10EEvPKT_PS2_T2_
	.p2align	8
	.type	_Z17sort_pairs_kernelIaLj128ELj2EN10test_utils4lessELj10EEvPKT_PS2_T2_,@function
_Z17sort_pairs_kernelIaLj128ELj2EN10test_utils4lessELj10EEvPKT_PS2_T2_: ; @_Z17sort_pairs_kernelIaLj128ELj2EN10test_utils4lessELj10EEvPKT_PS2_T2_
; %bb.0:
	s_load_dwordx4 s[20:23], s[0:1], 0x0
	s_lshl_b32 s24, s2, 8
	v_lshlrev_b32_e32 v6, 1, v0
	v_and_b32_e32 v7, 0xfc, v6
	v_and_b32_e32 v9, 0xf8, v6
	s_waitcnt lgkmcnt(0)
	s_add_u32 s0, s20, s24
	s_addc_u32 s1, s21, 0
	global_load_ubyte v2, v0, s[0:1] offset:128
	global_load_ubyte v3, v0, s[0:1]
	v_or_b32_e32 v19, 2, v7
	v_add_u32_e32 v20, 4, v7
	v_and_b32_e32 v8, 2, v6
	v_and_b32_e32 v11, 0xf0, v6
	v_or_b32_e32 v21, 4, v9
	v_add_u32_e32 v22, 8, v9
	v_sub_u32_e32 v42, v20, v19
	v_and_b32_e32 v10, 6, v6
	v_and_b32_e32 v13, 0xe0, v6
	v_or_b32_e32 v23, 8, v11
	v_add_u32_e32 v24, 16, v11
	v_sub_u32_e32 v4, v19, v7
	v_sub_u32_e32 v43, v22, v21
	;; [unrolled: 1-line block ×3, first 2 shown]
	v_cmp_ge_i32_e32 vcc, v8, v42
	v_and_b32_e32 v12, 14, v6
	v_and_b32_e32 v15, 0xc0, v6
	v_or_b32_e32 v25, 16, v13
	v_add_u32_e32 v26, 32, v13
	v_sub_u32_e32 v44, v24, v23
	v_min_i32_e32 v36, v8, v4
	v_sub_u32_e32 v4, v10, v43
	v_cndmask_b32_e32 v42, 0, v48, vcc
	v_cmp_ge_i32_e32 vcc, v10, v43
	v_and_b32_e32 v14, 30, v6
	v_and_b32_e32 v17, 0x80, v6
	v_or_b32_e32 v27, 32, v15
	v_add_u32_e32 v28, 64, v15
	v_sub_u32_e32 v45, v26, v25
	v_sub_u32_e32 v49, v12, v44
	v_cndmask_b32_e32 v43, 0, v4, vcc
	v_cmp_ge_i32_e32 vcc, v12, v44
	v_and_b32_e32 v16, 62, v6
	v_or_b32_e32 v29, 64, v17
	v_add_u32_e32 v30, 0x80, v17
	v_sub_u32_e32 v46, v28, v27
	v_sub_u32_e32 v50, v14, v45
	v_cndmask_b32_e32 v44, 0, v49, vcc
	v_cmp_ge_i32_e32 vcc, v14, v45
	v_and_b32_e32 v18, 0x7e, v6
	v_sub_u32_e32 v47, v30, v29
	v_sub_u32_e32 v51, v16, v46
	v_cndmask_b32_e32 v45, 0, v50, vcc
	v_cmp_ge_i32_e32 vcc, v16, v46
	v_mov_b32_e32 v5, 0x80
	v_sub_u32_e32 v37, v21, v9
	v_sub_u32_e32 v38, v23, v11
	;; [unrolled: 1-line block ×6, first 2 shown]
	v_cndmask_b32_e32 v46, 0, v51, vcc
	v_cmp_ge_i32_e32 vcc, v18, v47
	v_min_i32_e32 v37, v10, v37
	v_min_i32_e32 v38, v12, v38
	;; [unrolled: 1-line block ×5, first 2 shown]
	v_cndmask_b32_e32 v47, 0, v52, vcc
	v_sub_u32_e64 v49, v6, v5 clamp
	v_min_i32_e32 v50, 0x80, v6
	s_mov_b32 s20, 0
	v_mov_b32_e32 v1, 0
	s_movk_i32 s21, 0x100
	v_add_u32_e32 v31, v19, v8
	v_add_u32_e32 v32, v21, v10
	v_add_u32_e32 v33, v23, v12
	v_add_u32_e32 v34, v25, v14
	v_add_u32_e32 v35, v27, v16
	v_cmp_lt_i32_e32 vcc, v42, v36
	v_cmp_lt_i32_e64 s[0:1], v43, v37
	v_cmp_lt_i32_e64 s[2:3], v44, v38
	;; [unrolled: 1-line block ×5, first 2 shown]
	v_add_u32_e32 v48, v29, v18
	v_cmp_lt_i32_e64 s[10:11], v49, v50
	v_add_u32_e32 v51, 0x80, v6
	s_waitcnt vmcnt(1)
	v_lshlrev_b16_e32 v2, 8, v2
	s_waitcnt vmcnt(0)
	v_add_u16_e32 v4, 1, v3
	v_or_b32_e32 v3, v3, v2
	v_or_b32_sdwa v2, v2, v4 dst_sel:DWORD dst_unused:UNUSED_PAD src0_sel:DWORD src1_sel:BYTE_0
	v_and_b32_e32 v4, 0xffff, v3
	v_add_u16_e32 v2, 0x100, v2
	s_mov_b32 s25, 0xc0c0001
	s_branch .LBB53_2
.LBB53_1:                               ;   in Loop: Header=BB53_2 Depth=1
	s_or_b64 exec, exec, s[14:15]
	v_cmp_ge_i32_e64 s[16:17], v56, v5
	s_waitcnt lgkmcnt(0)
	v_cmp_lt_i16_sdwa s[18:19], sext(v57), sext(v3) src0_sel:BYTE_0 src1_sel:BYTE_0
	v_cmp_gt_i32_e64 s[14:15], s21, v4
	s_or_b64 s[16:17], s[16:17], s[18:19]
	s_and_b64 s[14:15], s[14:15], s[16:17]
	v_cndmask_b32_e64 v4, v56, v4, s[14:15]
	s_barrier
	ds_write_b8 v6, v52
	ds_write_b8 v6, v53 offset:1
	s_waitcnt lgkmcnt(0)
	s_barrier
	ds_read_u8 v52, v2
	ds_read_u8 v53, v4
	v_cndmask_b32_e64 v3, v3, v57, s[14:15]
	v_cndmask_b32_e64 v54, v54, v55, s[12:13]
	v_lshlrev_b16_e32 v2, 8, v3
	v_or_b32_sdwa v2, v54, v2 dst_sel:DWORD dst_unused:UNUSED_PAD src0_sel:BYTE_0 src1_sel:DWORD
	v_and_b32_e32 v4, 0xffff, v2
	s_waitcnt lgkmcnt(0)
	v_lshlrev_b16_e32 v2, 8, v53
	v_or_b32_e32 v2, v52, v2
	s_add_i32 s20, s20, 1
	s_cmp_eq_u32 s20, 10
	v_and_b32_e32 v2, 0xffff, v2
	s_cbranch_scc1 .LBB53_58
.LBB53_2:                               ; =>This Loop Header: Depth=1
                                        ;     Child Loop BB53_4 Depth 2
                                        ;     Child Loop BB53_12 Depth 2
                                        ;     Child Loop BB53_20 Depth 2
                                        ;     Child Loop BB53_28 Depth 2
                                        ;     Child Loop BB53_36 Depth 2
                                        ;     Child Loop BB53_44 Depth 2
                                        ;     Child Loop BB53_52 Depth 2
	v_perm_b32 v3, 0, v4, s25
	v_cmp_lt_i16_sdwa s[12:13], sext(v4), sext(v4) src0_sel:BYTE_1 src1_sel:BYTE_0
	s_barrier
	s_nop 0
	v_cndmask_b32_e64 v3, v4, v3, s[12:13]
	ds_write_b8 v6, v3
	v_lshrrev_b16_e32 v3, 8, v3
	v_mov_b32_e32 v4, v42
	ds_write_b8 v6, v3 offset:1
	s_waitcnt lgkmcnt(0)
	s_barrier
	s_and_saveexec_b64 s[16:17], vcc
	s_cbranch_execz .LBB53_6
; %bb.3:                                ;   in Loop: Header=BB53_2 Depth=1
	s_mov_b64 s[18:19], 0
	v_mov_b32_e32 v4, v42
	v_mov_b32_e32 v3, v36
.LBB53_4:                               ;   Parent Loop BB53_2 Depth=1
                                        ; =>  This Inner Loop Header: Depth=2
	v_sub_u32_e32 v52, v3, v4
	v_lshrrev_b32_e32 v53, 31, v52
	v_add_u32_e32 v52, v52, v53
	v_ashrrev_i32_e32 v52, 1, v52
	v_add_u32_e32 v52, v52, v4
	v_not_b32_e32 v54, v52
	v_add_u32_e32 v53, v7, v52
	v_add3_u32 v54, v8, v54, v19
	ds_read_i8 v53, v53
	ds_read_i8 v54, v54
	v_add_u32_e32 v55, 1, v52
	s_waitcnt lgkmcnt(0)
	v_cmp_lt_i16_e64 s[14:15], v54, v53
	s_nop 1
	v_cndmask_b32_e64 v3, v3, v52, s[14:15]
	v_cndmask_b32_e64 v4, v55, v4, s[14:15]
	v_cmp_ge_i32_e64 s[14:15], v4, v3
	s_or_b64 s[18:19], s[14:15], s[18:19]
	s_andn2_b64 exec, exec, s[18:19]
	s_cbranch_execnz .LBB53_4
; %bb.5:                                ;   in Loop: Header=BB53_2 Depth=1
	s_or_b64 exec, exec, s[18:19]
.LBB53_6:                               ;   in Loop: Header=BB53_2 Depth=1
	s_or_b64 exec, exec, s[16:17]
	v_add_u32_e32 v3, v4, v7
	v_sub_u32_e32 v4, v31, v4
	ds_read_u8 v52, v3
	ds_read_u8 v54, v4
	v_cmp_le_i32_e64 s[16:17], v19, v3
	v_cmp_gt_i32_e64 s[14:15], v20, v4
	s_waitcnt lgkmcnt(1)
	v_bfe_i32 v53, v52, 0, 8
	s_waitcnt lgkmcnt(0)
	v_bfe_i32 v54, v54, 0, 8
	v_cmp_lt_i16_e64 s[18:19], v54, v53
	s_or_b64 s[16:17], s[16:17], s[18:19]
	s_and_b64 s[14:15], s[14:15], s[16:17]
	s_xor_b64 s[16:17], s[14:15], -1
                                        ; implicit-def: $vgpr52
	s_and_saveexec_b64 s[18:19], s[16:17]
	s_xor_b64 s[16:17], exec, s[18:19]
	s_cbranch_execz .LBB53_8
; %bb.7:                                ;   in Loop: Header=BB53_2 Depth=1
	ds_read_u8 v52, v3 offset:1
.LBB53_8:                               ;   in Loop: Header=BB53_2 Depth=1
	s_or_saveexec_b64 s[16:17], s[16:17]
	v_mov_b32_e32 v55, v54
	s_xor_b64 exec, exec, s[16:17]
	s_cbranch_execz .LBB53_10
; %bb.9:                                ;   in Loop: Header=BB53_2 Depth=1
	ds_read_u8 v55, v4 offset:1
	s_waitcnt lgkmcnt(1)
	v_mov_b32_e32 v52, v53
.LBB53_10:                              ;   in Loop: Header=BB53_2 Depth=1
	s_or_b64 exec, exec, s[16:17]
	v_add_u32_e32 v57, 1, v3
	v_cndmask_b32_e64 v53, v53, v54, s[14:15]
	v_add_u32_e32 v54, 1, v4
	v_cndmask_b32_e64 v57, v57, v3, s[14:15]
	v_perm_b32 v56, 0, v2, s25
	v_cndmask_b32_e64 v54, v4, v54, s[14:15]
	v_cndmask_b32_e64 v3, v3, v4, s[14:15]
	v_cmp_ge_i32_e64 s[14:15], v57, v19
	s_waitcnt lgkmcnt(0)
	v_cmp_lt_i16_sdwa s[16:17], sext(v55), sext(v52) src0_sel:BYTE_0 src1_sel:BYTE_0
	v_cndmask_b32_e64 v2, v2, v56, s[12:13]
	v_cmp_lt_i32_e64 s[12:13], v54, v20
	s_or_b64 s[14:15], s[14:15], s[16:17]
	s_and_b64 s[12:13], s[12:13], s[14:15]
	s_barrier
	ds_write_b8 v6, v2
	v_lshrrev_b16_e32 v2, 8, v2
	v_cndmask_b32_e64 v4, v52, v55, s[12:13]
	v_cndmask_b32_e64 v52, v57, v54, s[12:13]
	ds_write_b8 v6, v2 offset:1
	s_waitcnt lgkmcnt(0)
	s_barrier
	ds_read_u8 v2, v3
	ds_read_u8 v3, v52
	v_mov_b32_e32 v52, v43
	s_waitcnt lgkmcnt(0)
	s_barrier
	ds_write_b8 v6, v53
	ds_write_b8 v6, v4 offset:1
	s_waitcnt lgkmcnt(0)
	s_barrier
	s_and_saveexec_b64 s[14:15], s[0:1]
	s_cbranch_execz .LBB53_14
; %bb.11:                               ;   in Loop: Header=BB53_2 Depth=1
	s_mov_b64 s[16:17], 0
	v_mov_b32_e32 v52, v43
	v_mov_b32_e32 v4, v37
.LBB53_12:                              ;   Parent Loop BB53_2 Depth=1
                                        ; =>  This Inner Loop Header: Depth=2
	v_sub_u32_e32 v53, v4, v52
	v_lshrrev_b32_e32 v54, 31, v53
	v_add_u32_e32 v53, v53, v54
	v_ashrrev_i32_e32 v53, 1, v53
	v_add_u32_e32 v53, v53, v52
	v_not_b32_e32 v55, v53
	v_add_u32_e32 v54, v9, v53
	v_add3_u32 v55, v10, v55, v21
	ds_read_i8 v54, v54
	ds_read_i8 v55, v55
	v_add_u32_e32 v56, 1, v53
	s_waitcnt lgkmcnt(0)
	v_cmp_lt_i16_e64 s[12:13], v55, v54
	s_nop 1
	v_cndmask_b32_e64 v4, v4, v53, s[12:13]
	v_cndmask_b32_e64 v52, v56, v52, s[12:13]
	v_cmp_ge_i32_e64 s[12:13], v52, v4
	s_or_b64 s[16:17], s[12:13], s[16:17]
	s_andn2_b64 exec, exec, s[16:17]
	s_cbranch_execnz .LBB53_12
; %bb.13:                               ;   in Loop: Header=BB53_2 Depth=1
	s_or_b64 exec, exec, s[16:17]
.LBB53_14:                              ;   in Loop: Header=BB53_2 Depth=1
	s_or_b64 exec, exec, s[14:15]
	v_add_u32_e32 v4, v52, v9
	v_sub_u32_e32 v52, v32, v52
	ds_read_u8 v53, v4
	ds_read_u8 v54, v52
	v_cmp_le_i32_e64 s[14:15], v21, v4
	v_cmp_gt_i32_e64 s[12:13], v22, v52
	s_waitcnt lgkmcnt(1)
	v_bfe_i32 v53, v53, 0, 8
	s_waitcnt lgkmcnt(0)
	v_bfe_i32 v55, v54, 0, 8
	v_cmp_lt_i16_e64 s[16:17], v55, v53
	s_or_b64 s[14:15], s[14:15], s[16:17]
	s_and_b64 s[12:13], s[12:13], s[14:15]
	s_xor_b64 s[14:15], s[12:13], -1
                                        ; implicit-def: $vgpr54
	s_and_saveexec_b64 s[16:17], s[14:15]
	s_xor_b64 s[14:15], exec, s[16:17]
	s_cbranch_execz .LBB53_16
; %bb.15:                               ;   in Loop: Header=BB53_2 Depth=1
	ds_read_u8 v54, v4 offset:1
.LBB53_16:                              ;   in Loop: Header=BB53_2 Depth=1
	s_or_saveexec_b64 s[14:15], s[14:15]
	v_mov_b32_e32 v56, v55
	s_xor_b64 exec, exec, s[14:15]
	s_cbranch_execz .LBB53_18
; %bb.17:                               ;   in Loop: Header=BB53_2 Depth=1
	ds_read_u8 v56, v52 offset:1
	s_waitcnt lgkmcnt(1)
	v_mov_b32_e32 v54, v53
.LBB53_18:                              ;   in Loop: Header=BB53_2 Depth=1
	s_or_b64 exec, exec, s[14:15]
	v_add_u32_e32 v57, 1, v4
	v_cndmask_b32_e64 v53, v53, v55, s[12:13]
	v_add_u32_e32 v55, 1, v52
	v_cndmask_b32_e64 v57, v57, v4, s[12:13]
	v_cndmask_b32_e64 v55, v52, v55, s[12:13]
	v_cmp_ge_i32_e64 s[14:15], v57, v21
	s_waitcnt lgkmcnt(0)
	v_cmp_lt_i16_sdwa s[16:17], sext(v56), sext(v54) src0_sel:BYTE_0 src1_sel:BYTE_0
	v_cndmask_b32_e64 v4, v4, v52, s[12:13]
	v_cmp_lt_i32_e64 s[12:13], v55, v22
	s_or_b64 s[14:15], s[14:15], s[16:17]
	s_and_b64 s[12:13], s[12:13], s[14:15]
	v_cndmask_b32_e64 v52, v54, v56, s[12:13]
	v_cndmask_b32_e64 v54, v57, v55, s[12:13]
	s_barrier
	ds_write_b8 v6, v2
	ds_write_b8 v6, v3 offset:1
	s_waitcnt lgkmcnt(0)
	s_barrier
	ds_read_u8 v2, v4
	ds_read_u8 v3, v54
	s_waitcnt lgkmcnt(0)
	s_barrier
	ds_write_b8 v6, v53
	ds_write_b8 v6, v52 offset:1
	v_mov_b32_e32 v52, v44
	s_waitcnt lgkmcnt(0)
	s_barrier
	s_and_saveexec_b64 s[14:15], s[2:3]
	s_cbranch_execz .LBB53_22
; %bb.19:                               ;   in Loop: Header=BB53_2 Depth=1
	s_mov_b64 s[16:17], 0
	v_mov_b32_e32 v52, v44
	v_mov_b32_e32 v4, v38
.LBB53_20:                              ;   Parent Loop BB53_2 Depth=1
                                        ; =>  This Inner Loop Header: Depth=2
	v_sub_u32_e32 v53, v4, v52
	v_lshrrev_b32_e32 v54, 31, v53
	v_add_u32_e32 v53, v53, v54
	v_ashrrev_i32_e32 v53, 1, v53
	v_add_u32_e32 v53, v53, v52
	v_not_b32_e32 v55, v53
	v_add_u32_e32 v54, v11, v53
	v_add3_u32 v55, v12, v55, v23
	ds_read_i8 v54, v54
	ds_read_i8 v55, v55
	v_add_u32_e32 v56, 1, v53
	s_waitcnt lgkmcnt(0)
	v_cmp_lt_i16_e64 s[12:13], v55, v54
	s_nop 1
	v_cndmask_b32_e64 v4, v4, v53, s[12:13]
	v_cndmask_b32_e64 v52, v56, v52, s[12:13]
	v_cmp_ge_i32_e64 s[12:13], v52, v4
	s_or_b64 s[16:17], s[12:13], s[16:17]
	s_andn2_b64 exec, exec, s[16:17]
	s_cbranch_execnz .LBB53_20
; %bb.21:                               ;   in Loop: Header=BB53_2 Depth=1
	s_or_b64 exec, exec, s[16:17]
.LBB53_22:                              ;   in Loop: Header=BB53_2 Depth=1
	s_or_b64 exec, exec, s[14:15]
	v_add_u32_e32 v4, v52, v11
	v_sub_u32_e32 v52, v33, v52
	ds_read_u8 v53, v4
	ds_read_u8 v54, v52
	v_cmp_le_i32_e64 s[14:15], v23, v4
	v_cmp_gt_i32_e64 s[12:13], v24, v52
	s_waitcnt lgkmcnt(1)
	v_bfe_i32 v53, v53, 0, 8
	s_waitcnt lgkmcnt(0)
	v_bfe_i32 v55, v54, 0, 8
	v_cmp_lt_i16_e64 s[16:17], v55, v53
	s_or_b64 s[14:15], s[14:15], s[16:17]
	s_and_b64 s[12:13], s[12:13], s[14:15]
	s_xor_b64 s[14:15], s[12:13], -1
                                        ; implicit-def: $vgpr54
	s_and_saveexec_b64 s[16:17], s[14:15]
	s_xor_b64 s[14:15], exec, s[16:17]
	s_cbranch_execz .LBB53_24
; %bb.23:                               ;   in Loop: Header=BB53_2 Depth=1
	ds_read_u8 v54, v4 offset:1
.LBB53_24:                              ;   in Loop: Header=BB53_2 Depth=1
	s_or_saveexec_b64 s[14:15], s[14:15]
	v_mov_b32_e32 v56, v55
	s_xor_b64 exec, exec, s[14:15]
	s_cbranch_execz .LBB53_26
; %bb.25:                               ;   in Loop: Header=BB53_2 Depth=1
	ds_read_u8 v56, v52 offset:1
	s_waitcnt lgkmcnt(1)
	v_mov_b32_e32 v54, v53
.LBB53_26:                              ;   in Loop: Header=BB53_2 Depth=1
	s_or_b64 exec, exec, s[14:15]
	v_add_u32_e32 v57, 1, v4
	v_cndmask_b32_e64 v53, v53, v55, s[12:13]
	v_add_u32_e32 v55, 1, v52
	v_cndmask_b32_e64 v57, v57, v4, s[12:13]
	v_cndmask_b32_e64 v55, v52, v55, s[12:13]
	v_cmp_ge_i32_e64 s[14:15], v57, v23
	s_waitcnt lgkmcnt(0)
	v_cmp_lt_i16_sdwa s[16:17], sext(v56), sext(v54) src0_sel:BYTE_0 src1_sel:BYTE_0
	v_cndmask_b32_e64 v4, v4, v52, s[12:13]
	v_cmp_lt_i32_e64 s[12:13], v55, v24
	s_or_b64 s[14:15], s[14:15], s[16:17]
	s_and_b64 s[12:13], s[12:13], s[14:15]
	v_cndmask_b32_e64 v52, v54, v56, s[12:13]
	v_cndmask_b32_e64 v54, v57, v55, s[12:13]
	s_barrier
	ds_write_b8 v6, v2
	ds_write_b8 v6, v3 offset:1
	s_waitcnt lgkmcnt(0)
	s_barrier
	ds_read_u8 v2, v4
	ds_read_u8 v3, v54
	s_waitcnt lgkmcnt(0)
	s_barrier
	ds_write_b8 v6, v53
	ds_write_b8 v6, v52 offset:1
	v_mov_b32_e32 v52, v45
	s_waitcnt lgkmcnt(0)
	s_barrier
	s_and_saveexec_b64 s[14:15], s[4:5]
	s_cbranch_execz .LBB53_30
; %bb.27:                               ;   in Loop: Header=BB53_2 Depth=1
	s_mov_b64 s[16:17], 0
	v_mov_b32_e32 v52, v45
	v_mov_b32_e32 v4, v39
.LBB53_28:                              ;   Parent Loop BB53_2 Depth=1
                                        ; =>  This Inner Loop Header: Depth=2
	v_sub_u32_e32 v53, v4, v52
	v_lshrrev_b32_e32 v54, 31, v53
	v_add_u32_e32 v53, v53, v54
	v_ashrrev_i32_e32 v53, 1, v53
	v_add_u32_e32 v53, v53, v52
	v_not_b32_e32 v55, v53
	v_add_u32_e32 v54, v13, v53
	v_add3_u32 v55, v14, v55, v25
	ds_read_i8 v54, v54
	ds_read_i8 v55, v55
	v_add_u32_e32 v56, 1, v53
	s_waitcnt lgkmcnt(0)
	v_cmp_lt_i16_e64 s[12:13], v55, v54
	s_nop 1
	v_cndmask_b32_e64 v4, v4, v53, s[12:13]
	v_cndmask_b32_e64 v52, v56, v52, s[12:13]
	v_cmp_ge_i32_e64 s[12:13], v52, v4
	s_or_b64 s[16:17], s[12:13], s[16:17]
	s_andn2_b64 exec, exec, s[16:17]
	s_cbranch_execnz .LBB53_28
; %bb.29:                               ;   in Loop: Header=BB53_2 Depth=1
	s_or_b64 exec, exec, s[16:17]
.LBB53_30:                              ;   in Loop: Header=BB53_2 Depth=1
	s_or_b64 exec, exec, s[14:15]
	v_add_u32_e32 v4, v52, v13
	v_sub_u32_e32 v52, v34, v52
	ds_read_u8 v53, v4
	ds_read_u8 v54, v52
	v_cmp_le_i32_e64 s[14:15], v25, v4
	v_cmp_gt_i32_e64 s[12:13], v26, v52
	s_waitcnt lgkmcnt(1)
	v_bfe_i32 v53, v53, 0, 8
	s_waitcnt lgkmcnt(0)
	v_bfe_i32 v55, v54, 0, 8
	v_cmp_lt_i16_e64 s[16:17], v55, v53
	s_or_b64 s[14:15], s[14:15], s[16:17]
	s_and_b64 s[12:13], s[12:13], s[14:15]
	s_xor_b64 s[14:15], s[12:13], -1
                                        ; implicit-def: $vgpr54
	s_and_saveexec_b64 s[16:17], s[14:15]
	s_xor_b64 s[14:15], exec, s[16:17]
	s_cbranch_execz .LBB53_32
; %bb.31:                               ;   in Loop: Header=BB53_2 Depth=1
	ds_read_u8 v54, v4 offset:1
.LBB53_32:                              ;   in Loop: Header=BB53_2 Depth=1
	s_or_saveexec_b64 s[14:15], s[14:15]
	v_mov_b32_e32 v56, v55
	s_xor_b64 exec, exec, s[14:15]
	s_cbranch_execz .LBB53_34
; %bb.33:                               ;   in Loop: Header=BB53_2 Depth=1
	ds_read_u8 v56, v52 offset:1
	s_waitcnt lgkmcnt(1)
	v_mov_b32_e32 v54, v53
.LBB53_34:                              ;   in Loop: Header=BB53_2 Depth=1
	s_or_b64 exec, exec, s[14:15]
	v_add_u32_e32 v57, 1, v4
	v_cndmask_b32_e64 v53, v53, v55, s[12:13]
	v_add_u32_e32 v55, 1, v52
	v_cndmask_b32_e64 v57, v57, v4, s[12:13]
	v_cndmask_b32_e64 v55, v52, v55, s[12:13]
	v_cmp_ge_i32_e64 s[14:15], v57, v25
	s_waitcnt lgkmcnt(0)
	v_cmp_lt_i16_sdwa s[16:17], sext(v56), sext(v54) src0_sel:BYTE_0 src1_sel:BYTE_0
	v_cndmask_b32_e64 v4, v4, v52, s[12:13]
	v_cmp_lt_i32_e64 s[12:13], v55, v26
	s_or_b64 s[14:15], s[14:15], s[16:17]
	s_and_b64 s[12:13], s[12:13], s[14:15]
	v_cndmask_b32_e64 v52, v54, v56, s[12:13]
	v_cndmask_b32_e64 v54, v57, v55, s[12:13]
	s_barrier
	ds_write_b8 v6, v2
	ds_write_b8 v6, v3 offset:1
	s_waitcnt lgkmcnt(0)
	s_barrier
	ds_read_u8 v2, v4
	ds_read_u8 v3, v54
	s_waitcnt lgkmcnt(0)
	s_barrier
	ds_write_b8 v6, v53
	ds_write_b8 v6, v52 offset:1
	v_mov_b32_e32 v52, v46
	s_waitcnt lgkmcnt(0)
	s_barrier
	s_and_saveexec_b64 s[14:15], s[6:7]
	s_cbranch_execz .LBB53_38
; %bb.35:                               ;   in Loop: Header=BB53_2 Depth=1
	s_mov_b64 s[16:17], 0
	v_mov_b32_e32 v52, v46
	v_mov_b32_e32 v4, v40
.LBB53_36:                              ;   Parent Loop BB53_2 Depth=1
                                        ; =>  This Inner Loop Header: Depth=2
	v_sub_u32_e32 v53, v4, v52
	v_lshrrev_b32_e32 v54, 31, v53
	v_add_u32_e32 v53, v53, v54
	v_ashrrev_i32_e32 v53, 1, v53
	v_add_u32_e32 v53, v53, v52
	v_not_b32_e32 v55, v53
	v_add_u32_e32 v54, v15, v53
	v_add3_u32 v55, v16, v55, v27
	ds_read_i8 v54, v54
	ds_read_i8 v55, v55
	v_add_u32_e32 v56, 1, v53
	s_waitcnt lgkmcnt(0)
	v_cmp_lt_i16_e64 s[12:13], v55, v54
	s_nop 1
	v_cndmask_b32_e64 v4, v4, v53, s[12:13]
	v_cndmask_b32_e64 v52, v56, v52, s[12:13]
	v_cmp_ge_i32_e64 s[12:13], v52, v4
	s_or_b64 s[16:17], s[12:13], s[16:17]
	s_andn2_b64 exec, exec, s[16:17]
	s_cbranch_execnz .LBB53_36
; %bb.37:                               ;   in Loop: Header=BB53_2 Depth=1
	s_or_b64 exec, exec, s[16:17]
.LBB53_38:                              ;   in Loop: Header=BB53_2 Depth=1
	s_or_b64 exec, exec, s[14:15]
	v_add_u32_e32 v4, v52, v15
	v_sub_u32_e32 v52, v35, v52
	ds_read_u8 v53, v4
	ds_read_u8 v54, v52
	v_cmp_le_i32_e64 s[14:15], v27, v4
	v_cmp_gt_i32_e64 s[12:13], v28, v52
	s_waitcnt lgkmcnt(1)
	v_bfe_i32 v53, v53, 0, 8
	s_waitcnt lgkmcnt(0)
	v_bfe_i32 v55, v54, 0, 8
	v_cmp_lt_i16_e64 s[16:17], v55, v53
	s_or_b64 s[14:15], s[14:15], s[16:17]
	s_and_b64 s[12:13], s[12:13], s[14:15]
	s_xor_b64 s[14:15], s[12:13], -1
                                        ; implicit-def: $vgpr54
	s_and_saveexec_b64 s[16:17], s[14:15]
	s_xor_b64 s[14:15], exec, s[16:17]
	s_cbranch_execz .LBB53_40
; %bb.39:                               ;   in Loop: Header=BB53_2 Depth=1
	ds_read_u8 v54, v4 offset:1
.LBB53_40:                              ;   in Loop: Header=BB53_2 Depth=1
	s_or_saveexec_b64 s[14:15], s[14:15]
	v_mov_b32_e32 v56, v55
	s_xor_b64 exec, exec, s[14:15]
	s_cbranch_execz .LBB53_42
; %bb.41:                               ;   in Loop: Header=BB53_2 Depth=1
	ds_read_u8 v56, v52 offset:1
	s_waitcnt lgkmcnt(1)
	v_mov_b32_e32 v54, v53
.LBB53_42:                              ;   in Loop: Header=BB53_2 Depth=1
	s_or_b64 exec, exec, s[14:15]
	v_add_u32_e32 v57, 1, v4
	v_cndmask_b32_e64 v53, v53, v55, s[12:13]
	v_add_u32_e32 v55, 1, v52
	v_cndmask_b32_e64 v57, v57, v4, s[12:13]
	v_cndmask_b32_e64 v55, v52, v55, s[12:13]
	v_cmp_ge_i32_e64 s[14:15], v57, v27
	s_waitcnt lgkmcnt(0)
	v_cmp_lt_i16_sdwa s[16:17], sext(v56), sext(v54) src0_sel:BYTE_0 src1_sel:BYTE_0
	v_cndmask_b32_e64 v4, v4, v52, s[12:13]
	v_cmp_lt_i32_e64 s[12:13], v55, v28
	s_or_b64 s[14:15], s[14:15], s[16:17]
	s_and_b64 s[12:13], s[12:13], s[14:15]
	v_cndmask_b32_e64 v52, v54, v56, s[12:13]
	v_cndmask_b32_e64 v54, v57, v55, s[12:13]
	s_barrier
	ds_write_b8 v6, v2
	ds_write_b8 v6, v3 offset:1
	s_waitcnt lgkmcnt(0)
	s_barrier
	ds_read_u8 v2, v4
	ds_read_u8 v3, v54
	s_waitcnt lgkmcnt(0)
	s_barrier
	ds_write_b8 v6, v53
	ds_write_b8 v6, v52 offset:1
	v_mov_b32_e32 v52, v47
	s_waitcnt lgkmcnt(0)
	s_barrier
	s_and_saveexec_b64 s[14:15], s[8:9]
	s_cbranch_execz .LBB53_46
; %bb.43:                               ;   in Loop: Header=BB53_2 Depth=1
	s_mov_b64 s[16:17], 0
	v_mov_b32_e32 v52, v47
	v_mov_b32_e32 v4, v41
.LBB53_44:                              ;   Parent Loop BB53_2 Depth=1
                                        ; =>  This Inner Loop Header: Depth=2
	v_sub_u32_e32 v53, v4, v52
	v_lshrrev_b32_e32 v54, 31, v53
	v_add_u32_e32 v53, v53, v54
	v_ashrrev_i32_e32 v53, 1, v53
	v_add_u32_e32 v53, v53, v52
	v_not_b32_e32 v55, v53
	v_add_u32_e32 v54, v17, v53
	v_add3_u32 v55, v18, v55, v29
	ds_read_i8 v54, v54
	ds_read_i8 v55, v55
	v_add_u32_e32 v56, 1, v53
	s_waitcnt lgkmcnt(0)
	v_cmp_lt_i16_e64 s[12:13], v55, v54
	s_nop 1
	v_cndmask_b32_e64 v4, v4, v53, s[12:13]
	v_cndmask_b32_e64 v52, v56, v52, s[12:13]
	v_cmp_ge_i32_e64 s[12:13], v52, v4
	s_or_b64 s[16:17], s[12:13], s[16:17]
	s_andn2_b64 exec, exec, s[16:17]
	s_cbranch_execnz .LBB53_44
; %bb.45:                               ;   in Loop: Header=BB53_2 Depth=1
	s_or_b64 exec, exec, s[16:17]
.LBB53_46:                              ;   in Loop: Header=BB53_2 Depth=1
	s_or_b64 exec, exec, s[14:15]
	v_add_u32_e32 v4, v52, v17
	v_sub_u32_e32 v52, v48, v52
	ds_read_u8 v53, v4
	ds_read_u8 v54, v52
	v_cmp_le_i32_e64 s[14:15], v29, v4
	v_cmp_gt_i32_e64 s[12:13], v30, v52
	s_waitcnt lgkmcnt(1)
	v_bfe_i32 v53, v53, 0, 8
	s_waitcnt lgkmcnt(0)
	v_bfe_i32 v55, v54, 0, 8
	v_cmp_lt_i16_e64 s[16:17], v55, v53
	s_or_b64 s[14:15], s[14:15], s[16:17]
	s_and_b64 s[12:13], s[12:13], s[14:15]
	s_xor_b64 s[14:15], s[12:13], -1
                                        ; implicit-def: $vgpr54
	s_and_saveexec_b64 s[16:17], s[14:15]
	s_xor_b64 s[14:15], exec, s[16:17]
	s_cbranch_execz .LBB53_48
; %bb.47:                               ;   in Loop: Header=BB53_2 Depth=1
	ds_read_u8 v54, v4 offset:1
.LBB53_48:                              ;   in Loop: Header=BB53_2 Depth=1
	s_or_saveexec_b64 s[14:15], s[14:15]
	v_mov_b32_e32 v56, v55
	s_xor_b64 exec, exec, s[14:15]
	s_cbranch_execz .LBB53_50
; %bb.49:                               ;   in Loop: Header=BB53_2 Depth=1
	ds_read_u8 v56, v52 offset:1
	s_waitcnt lgkmcnt(1)
	v_mov_b32_e32 v54, v53
.LBB53_50:                              ;   in Loop: Header=BB53_2 Depth=1
	s_or_b64 exec, exec, s[14:15]
	v_add_u32_e32 v57, 1, v4
	v_cndmask_b32_e64 v55, v53, v55, s[12:13]
	v_add_u32_e32 v53, 1, v52
	v_cndmask_b32_e64 v57, v57, v4, s[12:13]
	v_cndmask_b32_e64 v53, v52, v53, s[12:13]
	v_cmp_ge_i32_e64 s[14:15], v57, v29
	s_waitcnt lgkmcnt(0)
	v_cmp_lt_i16_sdwa s[16:17], sext(v56), sext(v54) src0_sel:BYTE_0 src1_sel:BYTE_0
	v_cndmask_b32_e64 v4, v4, v52, s[12:13]
	v_cmp_lt_i32_e64 s[12:13], v53, v30
	s_or_b64 s[14:15], s[14:15], s[16:17]
	s_and_b64 s[12:13], s[12:13], s[14:15]
	v_cndmask_b32_e64 v53, v57, v53, s[12:13]
	s_barrier
	ds_write_b8 v6, v2
	ds_write_b8 v6, v3 offset:1
	s_waitcnt lgkmcnt(0)
	s_barrier
	ds_read_u8 v52, v4
	ds_read_u8 v53, v53
	v_mov_b32_e32 v2, v49
	v_cndmask_b32_e64 v54, v54, v56, s[12:13]
	s_waitcnt lgkmcnt(0)
	s_barrier
	ds_write_b8 v6, v55
	ds_write_b8 v6, v54 offset:1
	s_waitcnt lgkmcnt(0)
	s_barrier
	s_and_saveexec_b64 s[14:15], s[10:11]
	s_cbranch_execz .LBB53_54
; %bb.51:                               ;   in Loop: Header=BB53_2 Depth=1
	s_mov_b64 s[16:17], 0
	v_mov_b32_e32 v2, v49
	v_mov_b32_e32 v3, v50
.LBB53_52:                              ;   Parent Loop BB53_2 Depth=1
                                        ; =>  This Inner Loop Header: Depth=2
	v_sub_u32_e32 v4, v3, v2
	v_lshrrev_b32_e32 v54, 31, v4
	v_add_u32_e32 v4, v4, v54
	v_ashrrev_i32_e32 v4, 1, v4
	v_add_u32_e32 v4, v4, v2
	v_not_b32_e32 v54, v4
	v_add3_u32 v54, v6, v54, v5
	ds_read_i8 v55, v4
	ds_read_i8 v54, v54
	v_add_u32_e32 v56, 1, v4
	s_waitcnt lgkmcnt(0)
	v_cmp_lt_i16_e64 s[12:13], v54, v55
	s_nop 1
	v_cndmask_b32_e64 v3, v3, v4, s[12:13]
	v_cndmask_b32_e64 v2, v56, v2, s[12:13]
	v_cmp_ge_i32_e64 s[12:13], v2, v3
	s_or_b64 s[16:17], s[12:13], s[16:17]
	s_andn2_b64 exec, exec, s[16:17]
	s_cbranch_execnz .LBB53_52
; %bb.53:                               ;   in Loop: Header=BB53_2 Depth=1
	s_or_b64 exec, exec, s[16:17]
.LBB53_54:                              ;   in Loop: Header=BB53_2 Depth=1
	s_or_b64 exec, exec, s[14:15]
	v_sub_u32_e32 v4, v51, v2
	ds_read_u8 v3, v2
	ds_read_u8 v55, v4
	v_cmp_le_i32_e64 s[14:15], v5, v2
	v_cmp_gt_i32_e64 s[12:13], s21, v4
                                        ; implicit-def: $vgpr56
	s_waitcnt lgkmcnt(1)
	v_bfe_i32 v54, v3, 0, 8
	s_waitcnt lgkmcnt(0)
	v_bfe_i32 v55, v55, 0, 8
	v_cmp_lt_i16_e64 s[16:17], v55, v54
	s_or_b64 s[14:15], s[14:15], s[16:17]
	s_and_b64 s[12:13], s[12:13], s[14:15]
	s_xor_b64 s[14:15], s[12:13], -1
                                        ; implicit-def: $vgpr3
	s_and_saveexec_b64 s[16:17], s[14:15]
	s_xor_b64 s[14:15], exec, s[16:17]
	s_cbranch_execz .LBB53_56
; %bb.55:                               ;   in Loop: Header=BB53_2 Depth=1
	ds_read_u8 v3, v2 offset:1
	v_add_u32_e32 v56, 1, v2
.LBB53_56:                              ;   in Loop: Header=BB53_2 Depth=1
	s_or_saveexec_b64 s[14:15], s[14:15]
	v_mov_b32_e32 v57, v55
	s_xor_b64 exec, exec, s[14:15]
	s_cbranch_execz .LBB53_1
; %bb.57:                               ;   in Loop: Header=BB53_2 Depth=1
	ds_read_u8 v57, v4 offset:1
	v_mov_b32_e32 v56, v2
	v_add_u32_e32 v58, 1, v4
	s_waitcnt lgkmcnt(1)
	v_mov_b64_e32 v[2:3], v[4:5]
	v_mov_b32_e32 v4, v58
	v_mov_b32_e32 v3, v54
	s_branch .LBB53_1
.LBB53_58:
	s_add_u32 s0, s22, s24
	s_addc_u32 s1, s23, 0
	v_add_u16_e32 v2, v54, v52
	v_lshl_add_u64 v[0:1], s[0:1], 0, v[0:1]
	v_add_u16_e32 v3, v3, v53
	global_store_byte v[0:1], v2, off
	global_store_byte v[0:1], v3, off offset:128
	s_endpgm
	.section	.rodata,"a",@progbits
	.p2align	6, 0x0
	.amdhsa_kernel _Z17sort_pairs_kernelIaLj128ELj2EN10test_utils4lessELj10EEvPKT_PS2_T2_
		.amdhsa_group_segment_fixed_size 257
		.amdhsa_private_segment_fixed_size 0
		.amdhsa_kernarg_size 20
		.amdhsa_user_sgpr_count 2
		.amdhsa_user_sgpr_dispatch_ptr 0
		.amdhsa_user_sgpr_queue_ptr 0
		.amdhsa_user_sgpr_kernarg_segment_ptr 1
		.amdhsa_user_sgpr_dispatch_id 0
		.amdhsa_user_sgpr_kernarg_preload_length 0
		.amdhsa_user_sgpr_kernarg_preload_offset 0
		.amdhsa_user_sgpr_private_segment_size 0
		.amdhsa_uses_dynamic_stack 0
		.amdhsa_enable_private_segment 0
		.amdhsa_system_sgpr_workgroup_id_x 1
		.amdhsa_system_sgpr_workgroup_id_y 0
		.amdhsa_system_sgpr_workgroup_id_z 0
		.amdhsa_system_sgpr_workgroup_info 0
		.amdhsa_system_vgpr_workitem_id 0
		.amdhsa_next_free_vgpr 59
		.amdhsa_next_free_sgpr 26
		.amdhsa_accum_offset 60
		.amdhsa_reserve_vcc 1
		.amdhsa_float_round_mode_32 0
		.amdhsa_float_round_mode_16_64 0
		.amdhsa_float_denorm_mode_32 3
		.amdhsa_float_denorm_mode_16_64 3
		.amdhsa_dx10_clamp 1
		.amdhsa_ieee_mode 1
		.amdhsa_fp16_overflow 0
		.amdhsa_tg_split 0
		.amdhsa_exception_fp_ieee_invalid_op 0
		.amdhsa_exception_fp_denorm_src 0
		.amdhsa_exception_fp_ieee_div_zero 0
		.amdhsa_exception_fp_ieee_overflow 0
		.amdhsa_exception_fp_ieee_underflow 0
		.amdhsa_exception_fp_ieee_inexact 0
		.amdhsa_exception_int_div_zero 0
	.end_amdhsa_kernel
	.section	.text._Z17sort_pairs_kernelIaLj128ELj2EN10test_utils4lessELj10EEvPKT_PS2_T2_,"axG",@progbits,_Z17sort_pairs_kernelIaLj128ELj2EN10test_utils4lessELj10EEvPKT_PS2_T2_,comdat
.Lfunc_end53:
	.size	_Z17sort_pairs_kernelIaLj128ELj2EN10test_utils4lessELj10EEvPKT_PS2_T2_, .Lfunc_end53-_Z17sort_pairs_kernelIaLj128ELj2EN10test_utils4lessELj10EEvPKT_PS2_T2_
                                        ; -- End function
	.section	.AMDGPU.csdata,"",@progbits
; Kernel info:
; codeLenInByte = 3756
; NumSgprs: 32
; NumVgprs: 59
; NumAgprs: 0
; TotalNumVgprs: 59
; ScratchSize: 0
; MemoryBound: 0
; FloatMode: 240
; IeeeMode: 1
; LDSByteSize: 257 bytes/workgroup (compile time only)
; SGPRBlocks: 3
; VGPRBlocks: 7
; NumSGPRsForWavesPerEU: 32
; NumVGPRsForWavesPerEU: 59
; AccumOffset: 60
; Occupancy: 8
; WaveLimiterHint : 1
; COMPUTE_PGM_RSRC2:SCRATCH_EN: 0
; COMPUTE_PGM_RSRC2:USER_SGPR: 2
; COMPUTE_PGM_RSRC2:TRAP_HANDLER: 0
; COMPUTE_PGM_RSRC2:TGID_X_EN: 1
; COMPUTE_PGM_RSRC2:TGID_Y_EN: 0
; COMPUTE_PGM_RSRC2:TGID_Z_EN: 0
; COMPUTE_PGM_RSRC2:TIDIG_COMP_CNT: 0
; COMPUTE_PGM_RSRC3_GFX90A:ACCUM_OFFSET: 14
; COMPUTE_PGM_RSRC3_GFX90A:TG_SPLIT: 0
	.section	.text._Z16sort_keys_kernelIaLj128ELj3EN10test_utils4lessELj10EEvPKT_PS2_T2_,"axG",@progbits,_Z16sort_keys_kernelIaLj128ELj3EN10test_utils4lessELj10EEvPKT_PS2_T2_,comdat
	.protected	_Z16sort_keys_kernelIaLj128ELj3EN10test_utils4lessELj10EEvPKT_PS2_T2_ ; -- Begin function _Z16sort_keys_kernelIaLj128ELj3EN10test_utils4lessELj10EEvPKT_PS2_T2_
	.globl	_Z16sort_keys_kernelIaLj128ELj3EN10test_utils4lessELj10EEvPKT_PS2_T2_
	.p2align	8
	.type	_Z16sort_keys_kernelIaLj128ELj3EN10test_utils4lessELj10EEvPKT_PS2_T2_,@function
_Z16sort_keys_kernelIaLj128ELj3EN10test_utils4lessELj10EEvPKT_PS2_T2_: ; @_Z16sort_keys_kernelIaLj128ELj3EN10test_utils4lessELj10EEvPKT_PS2_T2_
; %bb.0:
	s_load_dwordx4 s[16:19], s[0:1], 0x0
	s_mul_i32 s20, s2, 0x180
	v_and_b32_e32 v3, 0x7e, v0
	v_and_b32_e32 v8, 0x60, v0
	v_mul_u32_u24_e32 v9, 3, v3
	s_waitcnt lgkmcnt(0)
	s_add_u32 s0, s16, s20
	s_addc_u32 s1, s17, 0
	global_load_ubyte v33, v0, s[0:1]
	global_load_ubyte v34, v0, s[0:1] offset:128
	global_load_ubyte v35, v0, s[0:1] offset:256
	v_and_b32_e32 v4, 1, v0
	v_and_b32_e32 v5, 0x7c, v0
	v_mul_u32_u24_e32 v36, 3, v8
	v_min_u32_e32 v13, 0x17d, v9
	v_min_u32_e32 v14, 0x17a, v9
	v_and_b32_e32 v6, 0x78, v0
	v_cmp_eq_u32_e32 vcc, 1, v4
	v_mul_u32_u24_e32 v10, 3, v5
	v_add_u32_e32 v13, 3, v13
	v_add_u32_e32 v14, 6, v14
	v_and_b32_e32 v7, 0x70, v0
	v_and_b32_e32 v37, 31, v0
	v_cndmask_b32_e64 v3, 0, 3, vcc
	v_mul_u32_u24_e32 v11, 3, v6
	v_min_u32_e32 v15, 0x17a, v10
	v_min_u32_e32 v16, 0x174, v10
	v_sub_u32_e32 v29, v14, v13
	v_and_b32_e32 v22, 3, v0
	v_mul_u32_u24_e32 v12, 3, v7
	v_mul_u32_u24_e32 v7, 3, v37
	v_min_u32_e32 v17, 0x174, v11
	v_min_u32_e32 v18, 0x168, v11
	v_add_u32_e32 v15, 6, v15
	v_add_u32_e32 v16, 12, v16
	v_sub_u32_e32 v38, v3, v29
	v_cmp_ge_i32_e32 vcc, v3, v29
	v_and_b32_e32 v23, 7, v0
	v_mul_u32_u24_e32 v4, 3, v22
	v_add_u32_e32 v17, 12, v17
	v_add_u32_e32 v18, 24, v18
	v_sub_u32_e32 v30, v16, v15
	v_cndmask_b32_e32 v29, 0, v38, vcc
	v_mul_u32_u24_e32 v5, 3, v23
	v_sub_u32_e32 v31, v18, v17
	v_sub_u32_e32 v39, v4, v30
	v_cmp_ge_i32_e32 vcc, v4, v30
	v_min_u32_e32 v19, 0x168, v12
	v_min_u32_e32 v20, 0x150, v12
	v_sub_u32_e32 v40, v5, v31
	v_cndmask_b32_e32 v30, 0, v39, vcc
	v_cmp_ge_i32_e32 vcc, v5, v31
	v_and_b32_e32 v24, 15, v0
	v_add_u32_e32 v19, 24, v19
	v_add_u32_e32 v20, 48, v20
	v_cndmask_b32_e32 v31, 0, v40, vcc
	v_mul_u32_u24_e32 v6, 3, v24
	v_sub_u32_e32 v32, v20, v19
	v_and_b32_e32 v45, 63, v0
	v_min_u32_e32 v8, 0x180, v9
	v_min_u32_e32 v9, 0x180, v10
	;; [unrolled: 1-line block ×5, first 2 shown]
	v_sub_u32_e32 v41, v6, v32
	v_cmp_ge_i32_e32 vcc, v6, v32
	v_mul_u32_u24_e32 v2, 3, v0
	v_sub_u32_e32 v25, v13, v8
	v_sub_u32_e32 v26, v15, v9
	;; [unrolled: 1-line block ×4, first 2 shown]
	v_cndmask_b32_e32 v32, 0, v41, vcc
	v_mov_b32_e32 v41, 0xc0
	v_min_i32_e32 v25, v3, v25
	v_min_i32_e32 v26, v4, v26
	;; [unrolled: 1-line block ×5, first 2 shown]
	s_movk_i32 s21, 0x180
	s_mov_b32 s22, 0
	v_mov_b32_e32 v1, 0
	v_add_u32_e32 v21, v13, v3
	v_mad_u32_u24 v22, v22, 3, v15
	v_mad_u32_u24 v23, v23, 3, v17
	;; [unrolled: 1-line block ×3, first 2 shown]
	v_cmp_lt_i32_e32 vcc, v29, v25
	v_cmp_lt_i32_e64 s[0:1], v30, v26
	v_cmp_lt_i32_e64 s[2:3], v31, v27
	;; [unrolled: 1-line block ×3, first 2 shown]
	s_waitcnt vmcnt(1)
	v_lshlrev_b16_e32 v34, 8, v34
	v_or_b32_e32 v33, v33, v34
	v_and_b32_e32 v33, 0xffff, v33
	s_waitcnt vmcnt(0)
	v_lshl_or_b32 v49, v35, 16, v33
	v_min_u32_e32 v33, 0x150, v36
	v_min_u32_e32 v34, 0x120, v36
	v_add_u32_e32 v33, 48, v33
	v_add_u32_e32 v34, 0x60, v34
	v_sub_u32_e32 v35, v34, v33
	v_sub_u32_e32 v38, v7, v35
	v_cmp_ge_i32_e64 s[6:7], v7, v35
	v_sub_u32_e32 v36, v33, v12
	v_min_i32_e32 v36, v7, v36
	v_cndmask_b32_e64 v35, 0, v38, s[6:7]
	v_and_b32_e32 v38, 64, v0
	v_mul_u32_u24_e32 v42, 3, v38
	v_min_u32_e32 v39, 0x180, v42
	v_min_u32_e32 v40, 0x120, v42
	v_min_u32_e32 v42, 0xc0, v42
	v_add_u32_e32 v40, 0x60, v40
	v_add_u32_e32 v42, 0xc0, v42
	v_mul_u32_u24_e32 v38, 3, v45
	v_sub_u32_e32 v43, v42, v40
	v_sub_u32_e32 v44, v40, v39
	;; [unrolled: 1-line block ×3, first 2 shown]
	v_cmp_ge_i32_e64 s[8:9], v38, v43
	v_min_i32_e32 v44, v38, v44
	v_cmp_lt_i32_e64 s[6:7], v35, v36
	v_cndmask_b32_e64 v43, 0, v46, s[8:9]
	v_sub_u32_e64 v46, v2, v41 clamp
	v_mad_u32_u24 v37, v37, 3, v33
	v_cmp_lt_i32_e64 s[8:9], v43, v44
	v_mad_u32_u24 v45, v45, 3, v40
	v_cmp_lt_i32_e64 s[10:11], v46, v47
	v_mad_u32_u24 v48, v0, 3, v41
	s_mov_b32 s23, 0x7060405
	s_mov_b32 s24, 0x7000604
	;; [unrolled: 1-line block ×3, first 2 shown]
	s_branch .LBB54_2
.LBB54_1:                               ;   in Loop: Header=BB54_2 Depth=1
	s_or_b64 exec, exec, s[16:17]
	v_cndmask_b32_e64 v52, v52, v53, s[14:15]
	v_cmp_ge_i32_e64 s[14:15], v56, v41
	s_waitcnt lgkmcnt(0)
	v_cmp_lt_i16_sdwa s[16:17], sext(v57), sext(v51) src0_sel:BYTE_0 src1_sel:BYTE_0
	v_cndmask_b32_e64 v50, v49, v50, s[12:13]
	v_cmp_gt_i32_e64 s[12:13], s21, v54
	s_or_b64 s[14:15], s[14:15], s[16:17]
	s_and_b64 s[12:13], s[12:13], s[14:15]
	v_cndmask_b32_e64 v51, v51, v57, s[12:13]
	v_lshlrev_b16_e32 v49, 8, v52
	v_and_b32_e32 v53, 0xff, v51
	v_or_b32_sdwa v49, v50, v49 dst_sel:DWORD dst_unused:UNUSED_PAD src0_sel:BYTE_0 src1_sel:DWORD
	v_lshlrev_b32_e32 v53, 16, v53
	s_add_i32 s22, s22, 1
	s_cmp_eq_u32 s22, 10
	v_or_b32_sdwa v49, v49, v53 dst_sel:DWORD dst_unused:UNUSED_PAD src0_sel:WORD_0 src1_sel:DWORD
	s_cbranch_scc1 .LBB54_86
.LBB54_2:                               ; =>This Loop Header: Depth=1
                                        ;     Child Loop BB54_4 Depth 2
                                        ;     Child Loop BB54_16 Depth 2
	;; [unrolled: 1-line block ×7, first 2 shown]
	v_lshrrev_b32_e32 v51, 8, v49
	v_perm_b32 v50, v49, v49, s23
	v_cmp_lt_i16_sdwa s[12:13], sext(v51), sext(v49) src0_sel:BYTE_0 src1_sel:BYTE_0
	v_min_i16_sdwa v53, sext(v51), sext(v49) dst_sel:DWORD dst_unused:UNUSED_PAD src0_sel:BYTE_0 src1_sel:BYTE_0
	s_nop 0
	v_cndmask_b32_e64 v50, v49, v50, s[12:13]
	v_lshrrev_b32_e32 v52, 16, v50
	v_max_i16_sdwa v49, sext(v51), sext(v49) dst_sel:DWORD dst_unused:UNUSED_PAD src0_sel:BYTE_0 src1_sel:BYTE_0
	v_perm_b32 v51, v50, v49, s24
	v_cmp_lt_i16_sdwa s[12:13], sext(v52), v49 src0_sel:BYTE_0 src1_sel:DWORD
	v_min_i16_sdwa v49, sext(v52), v49 dst_sel:DWORD dst_unused:UNUSED_PAD src0_sel:BYTE_0 src1_sel:DWORD
	s_barrier
	v_cndmask_b32_e64 v50, v50, v51, s[12:13]
	v_lshlrev_b16_e32 v51, 8, v53
	v_or_b32_sdwa v49, v49, v51 dst_sel:DWORD dst_unused:UNUSED_PAD src0_sel:BYTE_0 src1_sel:DWORD
	v_and_b32_e32 v49, 0xffff, v49
	v_and_or_b32 v49, v50, s25, v49
	v_cmp_lt_i16_sdwa s[12:13], sext(v52), v53 src0_sel:BYTE_0 src1_sel:DWORD
	s_nop 1
	v_cndmask_b32_e64 v49, v50, v49, s[12:13]
	v_lshrrev_b32_e32 v50, 8, v49
	ds_write_b8 v2, v49
	ds_write_b8 v2, v50 offset:1
	ds_write_b8_d16_hi v2, v49 offset:2
	v_mov_b32_e32 v49, v29
	s_waitcnt lgkmcnt(0)
	s_barrier
	s_and_saveexec_b64 s[14:15], vcc
	s_cbranch_execz .LBB54_6
; %bb.3:                                ;   in Loop: Header=BB54_2 Depth=1
	s_mov_b64 s[16:17], 0
	v_mov_b32_e32 v49, v29
	v_mov_b32_e32 v50, v25
.LBB54_4:                               ;   Parent Loop BB54_2 Depth=1
                                        ; =>  This Inner Loop Header: Depth=2
	v_sub_u32_e32 v51, v50, v49
	v_lshrrev_b32_e32 v52, 31, v51
	v_add_u32_e32 v51, v51, v52
	v_ashrrev_i32_e32 v51, 1, v51
	v_add_u32_e32 v51, v51, v49
	v_not_b32_e32 v53, v51
	v_add_u32_e32 v52, v8, v51
	v_add3_u32 v53, v3, v53, v13
	ds_read_i8 v52, v52
	ds_read_i8 v53, v53
	v_add_u32_e32 v54, 1, v51
	s_waitcnt lgkmcnt(0)
	v_cmp_lt_i16_e64 s[12:13], v53, v52
	s_nop 1
	v_cndmask_b32_e64 v50, v50, v51, s[12:13]
	v_cndmask_b32_e64 v49, v54, v49, s[12:13]
	v_cmp_ge_i32_e64 s[12:13], v49, v50
	s_or_b64 s[16:17], s[12:13], s[16:17]
	s_andn2_b64 exec, exec, s[16:17]
	s_cbranch_execnz .LBB54_4
; %bb.5:                                ;   in Loop: Header=BB54_2 Depth=1
	s_or_b64 exec, exec, s[16:17]
.LBB54_6:                               ;   in Loop: Header=BB54_2 Depth=1
	s_or_b64 exec, exec, s[14:15]
	v_add_u32_e32 v53, v49, v8
	v_sub_u32_e32 v54, v21, v49
	ds_read_u8 v49, v53
	ds_read_u8 v50, v54
	v_cmp_le_i32_e64 s[14:15], v13, v53
	v_cmp_gt_i32_e64 s[12:13], v14, v54
                                        ; implicit-def: $vgpr51
	s_waitcnt lgkmcnt(1)
	v_bfe_i32 v49, v49, 0, 8
	s_waitcnt lgkmcnt(0)
	v_bfe_i32 v50, v50, 0, 8
	v_cmp_lt_i16_e64 s[16:17], v50, v49
	s_or_b64 s[14:15], s[14:15], s[16:17]
	s_and_b64 s[12:13], s[12:13], s[14:15]
	s_xor_b64 s[14:15], s[12:13], -1
	s_and_saveexec_b64 s[16:17], s[14:15]
	s_xor_b64 s[14:15], exec, s[16:17]
	s_cbranch_execz .LBB54_8
; %bb.7:                                ;   in Loop: Header=BB54_2 Depth=1
	ds_read_u8 v51, v53 offset:1
.LBB54_8:                               ;   in Loop: Header=BB54_2 Depth=1
	s_or_saveexec_b64 s[14:15], s[14:15]
	v_mov_b32_e32 v52, v50
	s_xor_b64 exec, exec, s[14:15]
	s_cbranch_execz .LBB54_10
; %bb.9:                                ;   in Loop: Header=BB54_2 Depth=1
	ds_read_u8 v52, v54 offset:1
	s_waitcnt lgkmcnt(1)
	v_mov_b32_e32 v51, v49
.LBB54_10:                              ;   in Loop: Header=BB54_2 Depth=1
	s_or_b64 exec, exec, s[14:15]
	v_add_u32_e32 v56, 1, v53
	v_add_u32_e32 v55, 1, v54
	v_cndmask_b32_e64 v53, v56, v53, s[12:13]
	v_cndmask_b32_e64 v54, v54, v55, s[12:13]
	v_cmp_ge_i32_e64 s[16:17], v53, v13
	s_waitcnt lgkmcnt(0)
	v_cmp_lt_i16_sdwa s[26:27], sext(v52), sext(v51) src0_sel:BYTE_0 src1_sel:BYTE_0
	v_cmp_lt_i32_e64 s[14:15], v54, v14
	s_or_b64 s[16:17], s[16:17], s[26:27]
	s_and_b64 s[14:15], s[14:15], s[16:17]
	s_xor_b64 s[16:17], s[14:15], -1
                                        ; implicit-def: $vgpr55
	s_and_saveexec_b64 s[26:27], s[16:17]
	s_xor_b64 s[16:17], exec, s[26:27]
	s_cbranch_execz .LBB54_12
; %bb.11:                               ;   in Loop: Header=BB54_2 Depth=1
	ds_read_u8 v55, v53 offset:1
.LBB54_12:                              ;   in Loop: Header=BB54_2 Depth=1
	s_or_saveexec_b64 s[16:17], s[16:17]
	v_mov_b32_e32 v56, v52
	s_xor_b64 exec, exec, s[16:17]
	s_cbranch_execz .LBB54_14
; %bb.13:                               ;   in Loop: Header=BB54_2 Depth=1
	ds_read_u8 v56, v54 offset:1
	s_waitcnt lgkmcnt(1)
	v_mov_b32_e32 v55, v51
.LBB54_14:                              ;   in Loop: Header=BB54_2 Depth=1
	s_or_b64 exec, exec, s[16:17]
	v_add_u32_e32 v57, 1, v53
	v_cndmask_b32_e64 v51, v51, v52, s[14:15]
	v_add_u32_e32 v52, 1, v54
	v_cndmask_b32_e64 v53, v57, v53, s[14:15]
	v_cndmask_b32_e64 v52, v54, v52, s[14:15]
	v_cmp_ge_i32_e64 s[14:15], v53, v13
	s_waitcnt lgkmcnt(0)
	v_cmp_lt_i16_sdwa s[16:17], sext(v56), sext(v55) src0_sel:BYTE_0 src1_sel:BYTE_0
	v_cndmask_b32_e64 v49, v49, v50, s[12:13]
	v_cmp_lt_i32_e64 s[12:13], v52, v14
	s_or_b64 s[14:15], s[14:15], s[16:17]
	s_and_b64 s[12:13], s[12:13], s[14:15]
	v_cndmask_b32_e64 v50, v55, v56, s[12:13]
	s_barrier
	ds_write_b8 v2, v49
	ds_write_b8 v2, v51 offset:1
	ds_write_b8 v2, v50 offset:2
	v_mov_b32_e32 v49, v30
	s_waitcnt lgkmcnt(0)
	s_barrier
	s_and_saveexec_b64 s[14:15], s[0:1]
	s_cbranch_execz .LBB54_18
; %bb.15:                               ;   in Loop: Header=BB54_2 Depth=1
	s_mov_b64 s[16:17], 0
	v_mov_b32_e32 v49, v30
	v_mov_b32_e32 v50, v26
.LBB54_16:                              ;   Parent Loop BB54_2 Depth=1
                                        ; =>  This Inner Loop Header: Depth=2
	v_sub_u32_e32 v51, v50, v49
	v_lshrrev_b32_e32 v52, 31, v51
	v_add_u32_e32 v51, v51, v52
	v_ashrrev_i32_e32 v51, 1, v51
	v_add_u32_e32 v51, v51, v49
	v_not_b32_e32 v53, v51
	v_add_u32_e32 v52, v9, v51
	v_add3_u32 v53, v4, v53, v15
	ds_read_i8 v52, v52
	ds_read_i8 v53, v53
	v_add_u32_e32 v54, 1, v51
	s_waitcnt lgkmcnt(0)
	v_cmp_lt_i16_e64 s[12:13], v53, v52
	s_nop 1
	v_cndmask_b32_e64 v50, v50, v51, s[12:13]
	v_cndmask_b32_e64 v49, v54, v49, s[12:13]
	v_cmp_ge_i32_e64 s[12:13], v49, v50
	s_or_b64 s[16:17], s[12:13], s[16:17]
	s_andn2_b64 exec, exec, s[16:17]
	s_cbranch_execnz .LBB54_16
; %bb.17:                               ;   in Loop: Header=BB54_2 Depth=1
	s_or_b64 exec, exec, s[16:17]
.LBB54_18:                              ;   in Loop: Header=BB54_2 Depth=1
	s_or_b64 exec, exec, s[14:15]
	v_add_u32_e32 v53, v49, v9
	v_sub_u32_e32 v54, v22, v49
	ds_read_u8 v49, v53
	ds_read_u8 v50, v54
	v_cmp_le_i32_e64 s[14:15], v15, v53
	v_cmp_gt_i32_e64 s[12:13], v16, v54
                                        ; implicit-def: $vgpr51
	s_waitcnt lgkmcnt(1)
	v_bfe_i32 v49, v49, 0, 8
	s_waitcnt lgkmcnt(0)
	v_bfe_i32 v50, v50, 0, 8
	v_cmp_lt_i16_e64 s[16:17], v50, v49
	s_or_b64 s[14:15], s[14:15], s[16:17]
	s_and_b64 s[12:13], s[12:13], s[14:15]
	s_xor_b64 s[14:15], s[12:13], -1
	s_and_saveexec_b64 s[16:17], s[14:15]
	s_xor_b64 s[14:15], exec, s[16:17]
	s_cbranch_execz .LBB54_20
; %bb.19:                               ;   in Loop: Header=BB54_2 Depth=1
	ds_read_u8 v51, v53 offset:1
.LBB54_20:                              ;   in Loop: Header=BB54_2 Depth=1
	s_or_saveexec_b64 s[14:15], s[14:15]
	v_mov_b32_e32 v52, v50
	s_xor_b64 exec, exec, s[14:15]
	s_cbranch_execz .LBB54_22
; %bb.21:                               ;   in Loop: Header=BB54_2 Depth=1
	ds_read_u8 v52, v54 offset:1
	s_waitcnt lgkmcnt(1)
	v_mov_b32_e32 v51, v49
.LBB54_22:                              ;   in Loop: Header=BB54_2 Depth=1
	s_or_b64 exec, exec, s[14:15]
	v_add_u32_e32 v56, 1, v53
	v_add_u32_e32 v55, 1, v54
	v_cndmask_b32_e64 v53, v56, v53, s[12:13]
	v_cndmask_b32_e64 v54, v54, v55, s[12:13]
	v_cmp_ge_i32_e64 s[16:17], v53, v15
	s_waitcnt lgkmcnt(0)
	v_cmp_lt_i16_sdwa s[26:27], sext(v52), sext(v51) src0_sel:BYTE_0 src1_sel:BYTE_0
	v_cmp_lt_i32_e64 s[14:15], v54, v16
	s_or_b64 s[16:17], s[16:17], s[26:27]
	s_and_b64 s[14:15], s[14:15], s[16:17]
	s_xor_b64 s[16:17], s[14:15], -1
                                        ; implicit-def: $vgpr55
	s_and_saveexec_b64 s[26:27], s[16:17]
	s_xor_b64 s[16:17], exec, s[26:27]
	s_cbranch_execz .LBB54_24
; %bb.23:                               ;   in Loop: Header=BB54_2 Depth=1
	ds_read_u8 v55, v53 offset:1
.LBB54_24:                              ;   in Loop: Header=BB54_2 Depth=1
	s_or_saveexec_b64 s[16:17], s[16:17]
	v_mov_b32_e32 v56, v52
	s_xor_b64 exec, exec, s[16:17]
	s_cbranch_execz .LBB54_26
; %bb.25:                               ;   in Loop: Header=BB54_2 Depth=1
	ds_read_u8 v56, v54 offset:1
	s_waitcnt lgkmcnt(1)
	v_mov_b32_e32 v55, v51
.LBB54_26:                              ;   in Loop: Header=BB54_2 Depth=1
	s_or_b64 exec, exec, s[16:17]
	v_add_u32_e32 v57, 1, v53
	v_cndmask_b32_e64 v51, v51, v52, s[14:15]
	v_add_u32_e32 v52, 1, v54
	v_cndmask_b32_e64 v53, v57, v53, s[14:15]
	v_cndmask_b32_e64 v52, v54, v52, s[14:15]
	v_cmp_ge_i32_e64 s[14:15], v53, v15
	s_waitcnt lgkmcnt(0)
	v_cmp_lt_i16_sdwa s[16:17], sext(v56), sext(v55) src0_sel:BYTE_0 src1_sel:BYTE_0
	v_cndmask_b32_e64 v49, v49, v50, s[12:13]
	v_cmp_lt_i32_e64 s[12:13], v52, v16
	s_or_b64 s[14:15], s[14:15], s[16:17]
	s_and_b64 s[12:13], s[12:13], s[14:15]
	v_cndmask_b32_e64 v50, v55, v56, s[12:13]
	s_barrier
	ds_write_b8 v2, v49
	ds_write_b8 v2, v51 offset:1
	ds_write_b8 v2, v50 offset:2
	v_mov_b32_e32 v49, v31
	s_waitcnt lgkmcnt(0)
	s_barrier
	s_and_saveexec_b64 s[14:15], s[2:3]
	s_cbranch_execz .LBB54_30
; %bb.27:                               ;   in Loop: Header=BB54_2 Depth=1
	s_mov_b64 s[16:17], 0
	v_mov_b32_e32 v49, v31
	v_mov_b32_e32 v50, v27
.LBB54_28:                              ;   Parent Loop BB54_2 Depth=1
                                        ; =>  This Inner Loop Header: Depth=2
	v_sub_u32_e32 v51, v50, v49
	v_lshrrev_b32_e32 v52, 31, v51
	v_add_u32_e32 v51, v51, v52
	v_ashrrev_i32_e32 v51, 1, v51
	v_add_u32_e32 v51, v51, v49
	v_not_b32_e32 v53, v51
	v_add_u32_e32 v52, v10, v51
	v_add3_u32 v53, v5, v53, v17
	ds_read_i8 v52, v52
	ds_read_i8 v53, v53
	v_add_u32_e32 v54, 1, v51
	s_waitcnt lgkmcnt(0)
	v_cmp_lt_i16_e64 s[12:13], v53, v52
	s_nop 1
	v_cndmask_b32_e64 v50, v50, v51, s[12:13]
	v_cndmask_b32_e64 v49, v54, v49, s[12:13]
	v_cmp_ge_i32_e64 s[12:13], v49, v50
	s_or_b64 s[16:17], s[12:13], s[16:17]
	s_andn2_b64 exec, exec, s[16:17]
	s_cbranch_execnz .LBB54_28
; %bb.29:                               ;   in Loop: Header=BB54_2 Depth=1
	s_or_b64 exec, exec, s[16:17]
.LBB54_30:                              ;   in Loop: Header=BB54_2 Depth=1
	s_or_b64 exec, exec, s[14:15]
	v_add_u32_e32 v53, v49, v10
	v_sub_u32_e32 v54, v23, v49
	ds_read_u8 v49, v53
	ds_read_u8 v50, v54
	v_cmp_le_i32_e64 s[14:15], v17, v53
	v_cmp_gt_i32_e64 s[12:13], v18, v54
                                        ; implicit-def: $vgpr51
	s_waitcnt lgkmcnt(1)
	v_bfe_i32 v49, v49, 0, 8
	s_waitcnt lgkmcnt(0)
	v_bfe_i32 v50, v50, 0, 8
	v_cmp_lt_i16_e64 s[16:17], v50, v49
	s_or_b64 s[14:15], s[14:15], s[16:17]
	s_and_b64 s[12:13], s[12:13], s[14:15]
	s_xor_b64 s[14:15], s[12:13], -1
	s_and_saveexec_b64 s[16:17], s[14:15]
	s_xor_b64 s[14:15], exec, s[16:17]
	s_cbranch_execz .LBB54_32
; %bb.31:                               ;   in Loop: Header=BB54_2 Depth=1
	ds_read_u8 v51, v53 offset:1
.LBB54_32:                              ;   in Loop: Header=BB54_2 Depth=1
	s_or_saveexec_b64 s[14:15], s[14:15]
	v_mov_b32_e32 v52, v50
	s_xor_b64 exec, exec, s[14:15]
	s_cbranch_execz .LBB54_34
; %bb.33:                               ;   in Loop: Header=BB54_2 Depth=1
	ds_read_u8 v52, v54 offset:1
	s_waitcnt lgkmcnt(1)
	v_mov_b32_e32 v51, v49
.LBB54_34:                              ;   in Loop: Header=BB54_2 Depth=1
	s_or_b64 exec, exec, s[14:15]
	v_add_u32_e32 v56, 1, v53
	v_add_u32_e32 v55, 1, v54
	v_cndmask_b32_e64 v53, v56, v53, s[12:13]
	v_cndmask_b32_e64 v54, v54, v55, s[12:13]
	v_cmp_ge_i32_e64 s[16:17], v53, v17
	s_waitcnt lgkmcnt(0)
	v_cmp_lt_i16_sdwa s[26:27], sext(v52), sext(v51) src0_sel:BYTE_0 src1_sel:BYTE_0
	v_cmp_lt_i32_e64 s[14:15], v54, v18
	s_or_b64 s[16:17], s[16:17], s[26:27]
	s_and_b64 s[14:15], s[14:15], s[16:17]
	s_xor_b64 s[16:17], s[14:15], -1
                                        ; implicit-def: $vgpr55
	s_and_saveexec_b64 s[26:27], s[16:17]
	s_xor_b64 s[16:17], exec, s[26:27]
	s_cbranch_execz .LBB54_36
; %bb.35:                               ;   in Loop: Header=BB54_2 Depth=1
	ds_read_u8 v55, v53 offset:1
.LBB54_36:                              ;   in Loop: Header=BB54_2 Depth=1
	s_or_saveexec_b64 s[16:17], s[16:17]
	v_mov_b32_e32 v56, v52
	s_xor_b64 exec, exec, s[16:17]
	s_cbranch_execz .LBB54_38
; %bb.37:                               ;   in Loop: Header=BB54_2 Depth=1
	ds_read_u8 v56, v54 offset:1
	s_waitcnt lgkmcnt(1)
	v_mov_b32_e32 v55, v51
.LBB54_38:                              ;   in Loop: Header=BB54_2 Depth=1
	s_or_b64 exec, exec, s[16:17]
	v_add_u32_e32 v57, 1, v53
	v_cndmask_b32_e64 v51, v51, v52, s[14:15]
	v_add_u32_e32 v52, 1, v54
	v_cndmask_b32_e64 v53, v57, v53, s[14:15]
	v_cndmask_b32_e64 v52, v54, v52, s[14:15]
	v_cmp_ge_i32_e64 s[14:15], v53, v17
	s_waitcnt lgkmcnt(0)
	v_cmp_lt_i16_sdwa s[16:17], sext(v56), sext(v55) src0_sel:BYTE_0 src1_sel:BYTE_0
	v_cndmask_b32_e64 v49, v49, v50, s[12:13]
	v_cmp_lt_i32_e64 s[12:13], v52, v18
	s_or_b64 s[14:15], s[14:15], s[16:17]
	s_and_b64 s[12:13], s[12:13], s[14:15]
	v_cndmask_b32_e64 v50, v55, v56, s[12:13]
	s_barrier
	ds_write_b8 v2, v49
	ds_write_b8 v2, v51 offset:1
	ds_write_b8 v2, v50 offset:2
	v_mov_b32_e32 v49, v32
	s_waitcnt lgkmcnt(0)
	s_barrier
	s_and_saveexec_b64 s[14:15], s[4:5]
	s_cbranch_execz .LBB54_42
; %bb.39:                               ;   in Loop: Header=BB54_2 Depth=1
	s_mov_b64 s[16:17], 0
	v_mov_b32_e32 v49, v32
	v_mov_b32_e32 v50, v28
.LBB54_40:                              ;   Parent Loop BB54_2 Depth=1
                                        ; =>  This Inner Loop Header: Depth=2
	v_sub_u32_e32 v51, v50, v49
	v_lshrrev_b32_e32 v52, 31, v51
	v_add_u32_e32 v51, v51, v52
	v_ashrrev_i32_e32 v51, 1, v51
	v_add_u32_e32 v51, v51, v49
	v_not_b32_e32 v53, v51
	v_add_u32_e32 v52, v11, v51
	v_add3_u32 v53, v6, v53, v19
	ds_read_i8 v52, v52
	ds_read_i8 v53, v53
	v_add_u32_e32 v54, 1, v51
	s_waitcnt lgkmcnt(0)
	v_cmp_lt_i16_e64 s[12:13], v53, v52
	s_nop 1
	v_cndmask_b32_e64 v50, v50, v51, s[12:13]
	v_cndmask_b32_e64 v49, v54, v49, s[12:13]
	v_cmp_ge_i32_e64 s[12:13], v49, v50
	s_or_b64 s[16:17], s[12:13], s[16:17]
	s_andn2_b64 exec, exec, s[16:17]
	s_cbranch_execnz .LBB54_40
; %bb.41:                               ;   in Loop: Header=BB54_2 Depth=1
	s_or_b64 exec, exec, s[16:17]
.LBB54_42:                              ;   in Loop: Header=BB54_2 Depth=1
	s_or_b64 exec, exec, s[14:15]
	v_add_u32_e32 v53, v49, v11
	v_sub_u32_e32 v54, v24, v49
	ds_read_u8 v49, v53
	ds_read_u8 v50, v54
	v_cmp_le_i32_e64 s[14:15], v19, v53
	v_cmp_gt_i32_e64 s[12:13], v20, v54
                                        ; implicit-def: $vgpr51
	s_waitcnt lgkmcnt(1)
	v_bfe_i32 v49, v49, 0, 8
	s_waitcnt lgkmcnt(0)
	v_bfe_i32 v50, v50, 0, 8
	v_cmp_lt_i16_e64 s[16:17], v50, v49
	s_or_b64 s[14:15], s[14:15], s[16:17]
	s_and_b64 s[12:13], s[12:13], s[14:15]
	s_xor_b64 s[14:15], s[12:13], -1
	s_and_saveexec_b64 s[16:17], s[14:15]
	s_xor_b64 s[14:15], exec, s[16:17]
	s_cbranch_execz .LBB54_44
; %bb.43:                               ;   in Loop: Header=BB54_2 Depth=1
	ds_read_u8 v51, v53 offset:1
.LBB54_44:                              ;   in Loop: Header=BB54_2 Depth=1
	s_or_saveexec_b64 s[14:15], s[14:15]
	v_mov_b32_e32 v52, v50
	s_xor_b64 exec, exec, s[14:15]
	s_cbranch_execz .LBB54_46
; %bb.45:                               ;   in Loop: Header=BB54_2 Depth=1
	ds_read_u8 v52, v54 offset:1
	s_waitcnt lgkmcnt(1)
	v_mov_b32_e32 v51, v49
.LBB54_46:                              ;   in Loop: Header=BB54_2 Depth=1
	s_or_b64 exec, exec, s[14:15]
	v_add_u32_e32 v56, 1, v53
	v_add_u32_e32 v55, 1, v54
	v_cndmask_b32_e64 v53, v56, v53, s[12:13]
	v_cndmask_b32_e64 v54, v54, v55, s[12:13]
	v_cmp_ge_i32_e64 s[16:17], v53, v19
	s_waitcnt lgkmcnt(0)
	v_cmp_lt_i16_sdwa s[26:27], sext(v52), sext(v51) src0_sel:BYTE_0 src1_sel:BYTE_0
	v_cmp_lt_i32_e64 s[14:15], v54, v20
	s_or_b64 s[16:17], s[16:17], s[26:27]
	s_and_b64 s[14:15], s[14:15], s[16:17]
	s_xor_b64 s[16:17], s[14:15], -1
                                        ; implicit-def: $vgpr55
	s_and_saveexec_b64 s[26:27], s[16:17]
	s_xor_b64 s[16:17], exec, s[26:27]
	s_cbranch_execz .LBB54_48
; %bb.47:                               ;   in Loop: Header=BB54_2 Depth=1
	ds_read_u8 v55, v53 offset:1
.LBB54_48:                              ;   in Loop: Header=BB54_2 Depth=1
	s_or_saveexec_b64 s[16:17], s[16:17]
	v_mov_b32_e32 v56, v52
	s_xor_b64 exec, exec, s[16:17]
	s_cbranch_execz .LBB54_50
; %bb.49:                               ;   in Loop: Header=BB54_2 Depth=1
	ds_read_u8 v56, v54 offset:1
	s_waitcnt lgkmcnt(1)
	v_mov_b32_e32 v55, v51
.LBB54_50:                              ;   in Loop: Header=BB54_2 Depth=1
	s_or_b64 exec, exec, s[16:17]
	v_add_u32_e32 v57, 1, v53
	v_cndmask_b32_e64 v51, v51, v52, s[14:15]
	v_add_u32_e32 v52, 1, v54
	v_cndmask_b32_e64 v53, v57, v53, s[14:15]
	v_cndmask_b32_e64 v52, v54, v52, s[14:15]
	v_cmp_ge_i32_e64 s[14:15], v53, v19
	s_waitcnt lgkmcnt(0)
	v_cmp_lt_i16_sdwa s[16:17], sext(v56), sext(v55) src0_sel:BYTE_0 src1_sel:BYTE_0
	v_cndmask_b32_e64 v49, v49, v50, s[12:13]
	v_cmp_lt_i32_e64 s[12:13], v52, v20
	s_or_b64 s[14:15], s[14:15], s[16:17]
	s_and_b64 s[12:13], s[12:13], s[14:15]
	v_cndmask_b32_e64 v50, v55, v56, s[12:13]
	s_barrier
	ds_write_b8 v2, v49
	ds_write_b8 v2, v51 offset:1
	ds_write_b8 v2, v50 offset:2
	v_mov_b32_e32 v49, v35
	s_waitcnt lgkmcnt(0)
	s_barrier
	s_and_saveexec_b64 s[14:15], s[6:7]
	s_cbranch_execz .LBB54_54
; %bb.51:                               ;   in Loop: Header=BB54_2 Depth=1
	s_mov_b64 s[16:17], 0
	v_mov_b32_e32 v49, v35
	v_mov_b32_e32 v50, v36
.LBB54_52:                              ;   Parent Loop BB54_2 Depth=1
                                        ; =>  This Inner Loop Header: Depth=2
	v_sub_u32_e32 v51, v50, v49
	v_lshrrev_b32_e32 v52, 31, v51
	v_add_u32_e32 v51, v51, v52
	v_ashrrev_i32_e32 v51, 1, v51
	v_add_u32_e32 v51, v51, v49
	v_not_b32_e32 v53, v51
	v_add_u32_e32 v52, v12, v51
	v_add3_u32 v53, v7, v53, v33
	ds_read_i8 v52, v52
	ds_read_i8 v53, v53
	v_add_u32_e32 v54, 1, v51
	s_waitcnt lgkmcnt(0)
	v_cmp_lt_i16_e64 s[12:13], v53, v52
	s_nop 1
	v_cndmask_b32_e64 v50, v50, v51, s[12:13]
	v_cndmask_b32_e64 v49, v54, v49, s[12:13]
	v_cmp_ge_i32_e64 s[12:13], v49, v50
	s_or_b64 s[16:17], s[12:13], s[16:17]
	s_andn2_b64 exec, exec, s[16:17]
	s_cbranch_execnz .LBB54_52
; %bb.53:                               ;   in Loop: Header=BB54_2 Depth=1
	s_or_b64 exec, exec, s[16:17]
.LBB54_54:                              ;   in Loop: Header=BB54_2 Depth=1
	s_or_b64 exec, exec, s[14:15]
	v_add_u32_e32 v53, v49, v12
	v_sub_u32_e32 v54, v37, v49
	ds_read_u8 v49, v53
	ds_read_u8 v50, v54
	v_cmp_le_i32_e64 s[14:15], v33, v53
	v_cmp_gt_i32_e64 s[12:13], v34, v54
                                        ; implicit-def: $vgpr51
	s_waitcnt lgkmcnt(1)
	v_bfe_i32 v49, v49, 0, 8
	s_waitcnt lgkmcnt(0)
	v_bfe_i32 v50, v50, 0, 8
	v_cmp_lt_i16_e64 s[16:17], v50, v49
	s_or_b64 s[14:15], s[14:15], s[16:17]
	s_and_b64 s[12:13], s[12:13], s[14:15]
	s_xor_b64 s[14:15], s[12:13], -1
	s_and_saveexec_b64 s[16:17], s[14:15]
	s_xor_b64 s[14:15], exec, s[16:17]
	s_cbranch_execz .LBB54_56
; %bb.55:                               ;   in Loop: Header=BB54_2 Depth=1
	ds_read_u8 v51, v53 offset:1
.LBB54_56:                              ;   in Loop: Header=BB54_2 Depth=1
	s_or_saveexec_b64 s[14:15], s[14:15]
	v_mov_b32_e32 v52, v50
	s_xor_b64 exec, exec, s[14:15]
	s_cbranch_execz .LBB54_58
; %bb.57:                               ;   in Loop: Header=BB54_2 Depth=1
	ds_read_u8 v52, v54 offset:1
	s_waitcnt lgkmcnt(1)
	v_mov_b32_e32 v51, v49
.LBB54_58:                              ;   in Loop: Header=BB54_2 Depth=1
	s_or_b64 exec, exec, s[14:15]
	v_add_u32_e32 v56, 1, v53
	v_add_u32_e32 v55, 1, v54
	v_cndmask_b32_e64 v53, v56, v53, s[12:13]
	v_cndmask_b32_e64 v54, v54, v55, s[12:13]
	v_cmp_ge_i32_e64 s[16:17], v53, v33
	s_waitcnt lgkmcnt(0)
	v_cmp_lt_i16_sdwa s[26:27], sext(v52), sext(v51) src0_sel:BYTE_0 src1_sel:BYTE_0
	v_cmp_lt_i32_e64 s[14:15], v54, v34
	s_or_b64 s[16:17], s[16:17], s[26:27]
	s_and_b64 s[14:15], s[14:15], s[16:17]
	s_xor_b64 s[16:17], s[14:15], -1
                                        ; implicit-def: $vgpr55
	s_and_saveexec_b64 s[26:27], s[16:17]
	s_xor_b64 s[16:17], exec, s[26:27]
	s_cbranch_execz .LBB54_60
; %bb.59:                               ;   in Loop: Header=BB54_2 Depth=1
	ds_read_u8 v55, v53 offset:1
.LBB54_60:                              ;   in Loop: Header=BB54_2 Depth=1
	s_or_saveexec_b64 s[16:17], s[16:17]
	v_mov_b32_e32 v56, v52
	s_xor_b64 exec, exec, s[16:17]
	s_cbranch_execz .LBB54_62
; %bb.61:                               ;   in Loop: Header=BB54_2 Depth=1
	ds_read_u8 v56, v54 offset:1
	s_waitcnt lgkmcnt(1)
	v_mov_b32_e32 v55, v51
.LBB54_62:                              ;   in Loop: Header=BB54_2 Depth=1
	s_or_b64 exec, exec, s[16:17]
	v_add_u32_e32 v57, 1, v53
	v_cndmask_b32_e64 v51, v51, v52, s[14:15]
	v_add_u32_e32 v52, 1, v54
	v_cndmask_b32_e64 v53, v57, v53, s[14:15]
	v_cndmask_b32_e64 v52, v54, v52, s[14:15]
	v_cmp_ge_i32_e64 s[14:15], v53, v33
	s_waitcnt lgkmcnt(0)
	v_cmp_lt_i16_sdwa s[16:17], sext(v56), sext(v55) src0_sel:BYTE_0 src1_sel:BYTE_0
	v_cndmask_b32_e64 v49, v49, v50, s[12:13]
	v_cmp_lt_i32_e64 s[12:13], v52, v34
	s_or_b64 s[14:15], s[14:15], s[16:17]
	s_and_b64 s[12:13], s[12:13], s[14:15]
	v_cndmask_b32_e64 v50, v55, v56, s[12:13]
	s_barrier
	ds_write_b8 v2, v49
	ds_write_b8 v2, v51 offset:1
	ds_write_b8 v2, v50 offset:2
	v_mov_b32_e32 v49, v43
	s_waitcnt lgkmcnt(0)
	s_barrier
	s_and_saveexec_b64 s[14:15], s[8:9]
	s_cbranch_execz .LBB54_66
; %bb.63:                               ;   in Loop: Header=BB54_2 Depth=1
	s_mov_b64 s[16:17], 0
	v_mov_b32_e32 v49, v43
	v_mov_b32_e32 v50, v44
.LBB54_64:                              ;   Parent Loop BB54_2 Depth=1
                                        ; =>  This Inner Loop Header: Depth=2
	v_sub_u32_e32 v51, v50, v49
	v_lshrrev_b32_e32 v52, 31, v51
	v_add_u32_e32 v51, v51, v52
	v_ashrrev_i32_e32 v51, 1, v51
	v_add_u32_e32 v51, v51, v49
	v_not_b32_e32 v53, v51
	v_add_u32_e32 v52, v39, v51
	v_add3_u32 v53, v38, v53, v40
	ds_read_i8 v52, v52
	ds_read_i8 v53, v53
	v_add_u32_e32 v54, 1, v51
	s_waitcnt lgkmcnt(0)
	v_cmp_lt_i16_e64 s[12:13], v53, v52
	s_nop 1
	v_cndmask_b32_e64 v50, v50, v51, s[12:13]
	v_cndmask_b32_e64 v49, v54, v49, s[12:13]
	v_cmp_ge_i32_e64 s[12:13], v49, v50
	s_or_b64 s[16:17], s[12:13], s[16:17]
	s_andn2_b64 exec, exec, s[16:17]
	s_cbranch_execnz .LBB54_64
; %bb.65:                               ;   in Loop: Header=BB54_2 Depth=1
	s_or_b64 exec, exec, s[16:17]
.LBB54_66:                              ;   in Loop: Header=BB54_2 Depth=1
	s_or_b64 exec, exec, s[14:15]
	v_add_u32_e32 v53, v49, v39
	v_sub_u32_e32 v54, v45, v49
	ds_read_u8 v49, v53
	ds_read_u8 v50, v54
	v_cmp_le_i32_e64 s[14:15], v40, v53
	v_cmp_gt_i32_e64 s[12:13], v42, v54
                                        ; implicit-def: $vgpr51
	s_waitcnt lgkmcnt(1)
	v_bfe_i32 v49, v49, 0, 8
	s_waitcnt lgkmcnt(0)
	v_bfe_i32 v50, v50, 0, 8
	v_cmp_lt_i16_e64 s[16:17], v50, v49
	s_or_b64 s[14:15], s[14:15], s[16:17]
	s_and_b64 s[12:13], s[12:13], s[14:15]
	s_xor_b64 s[14:15], s[12:13], -1
	s_and_saveexec_b64 s[16:17], s[14:15]
	s_xor_b64 s[14:15], exec, s[16:17]
	s_cbranch_execz .LBB54_68
; %bb.67:                               ;   in Loop: Header=BB54_2 Depth=1
	ds_read_u8 v51, v53 offset:1
.LBB54_68:                              ;   in Loop: Header=BB54_2 Depth=1
	s_or_saveexec_b64 s[14:15], s[14:15]
	v_mov_b32_e32 v52, v50
	s_xor_b64 exec, exec, s[14:15]
	s_cbranch_execz .LBB54_70
; %bb.69:                               ;   in Loop: Header=BB54_2 Depth=1
	ds_read_u8 v52, v54 offset:1
	s_waitcnt lgkmcnt(1)
	v_mov_b32_e32 v51, v49
.LBB54_70:                              ;   in Loop: Header=BB54_2 Depth=1
	s_or_b64 exec, exec, s[14:15]
	v_add_u32_e32 v56, 1, v53
	v_add_u32_e32 v55, 1, v54
	v_cndmask_b32_e64 v53, v56, v53, s[12:13]
	v_cndmask_b32_e64 v54, v54, v55, s[12:13]
	v_cmp_ge_i32_e64 s[16:17], v53, v40
	s_waitcnt lgkmcnt(0)
	v_cmp_lt_i16_sdwa s[26:27], sext(v52), sext(v51) src0_sel:BYTE_0 src1_sel:BYTE_0
	v_cmp_lt_i32_e64 s[14:15], v54, v42
	s_or_b64 s[16:17], s[16:17], s[26:27]
	s_and_b64 s[14:15], s[14:15], s[16:17]
	s_xor_b64 s[16:17], s[14:15], -1
                                        ; implicit-def: $vgpr55
	s_and_saveexec_b64 s[26:27], s[16:17]
	s_xor_b64 s[16:17], exec, s[26:27]
	s_cbranch_execz .LBB54_72
; %bb.71:                               ;   in Loop: Header=BB54_2 Depth=1
	ds_read_u8 v55, v53 offset:1
.LBB54_72:                              ;   in Loop: Header=BB54_2 Depth=1
	s_or_saveexec_b64 s[16:17], s[16:17]
	v_mov_b32_e32 v56, v52
	s_xor_b64 exec, exec, s[16:17]
	s_cbranch_execz .LBB54_74
; %bb.73:                               ;   in Loop: Header=BB54_2 Depth=1
	ds_read_u8 v56, v54 offset:1
	s_waitcnt lgkmcnt(1)
	v_mov_b32_e32 v55, v51
.LBB54_74:                              ;   in Loop: Header=BB54_2 Depth=1
	s_or_b64 exec, exec, s[16:17]
	v_add_u32_e32 v57, 1, v53
	v_cndmask_b32_e64 v51, v51, v52, s[14:15]
	v_add_u32_e32 v52, 1, v54
	v_cndmask_b32_e64 v53, v57, v53, s[14:15]
	v_cndmask_b32_e64 v52, v54, v52, s[14:15]
	v_cmp_ge_i32_e64 s[14:15], v53, v40
	s_waitcnt lgkmcnt(0)
	v_cmp_lt_i16_sdwa s[16:17], sext(v56), sext(v55) src0_sel:BYTE_0 src1_sel:BYTE_0
	v_cndmask_b32_e64 v49, v49, v50, s[12:13]
	v_cmp_lt_i32_e64 s[12:13], v52, v42
	s_or_b64 s[14:15], s[14:15], s[16:17]
	s_and_b64 s[12:13], s[12:13], s[14:15]
	v_cndmask_b32_e64 v50, v55, v56, s[12:13]
	s_barrier
	ds_write_b8 v2, v49
	ds_write_b8 v2, v51 offset:1
	ds_write_b8 v2, v50 offset:2
	v_mov_b32_e32 v51, v46
	s_waitcnt lgkmcnt(0)
	s_barrier
	s_and_saveexec_b64 s[14:15], s[10:11]
	s_cbranch_execz .LBB54_78
; %bb.75:                               ;   in Loop: Header=BB54_2 Depth=1
	s_mov_b64 s[16:17], 0
	v_mov_b32_e32 v51, v46
	v_mov_b32_e32 v49, v47
.LBB54_76:                              ;   Parent Loop BB54_2 Depth=1
                                        ; =>  This Inner Loop Header: Depth=2
	v_sub_u32_e32 v50, v49, v51
	v_lshrrev_b32_e32 v52, 31, v50
	v_add_u32_e32 v50, v50, v52
	v_ashrrev_i32_e32 v50, 1, v50
	v_add_u32_e32 v50, v50, v51
	v_not_b32_e32 v52, v50
	v_add3_u32 v52, v2, v52, v41
	ds_read_i8 v53, v50
	ds_read_i8 v52, v52
	v_add_u32_e32 v54, 1, v50
	s_waitcnt lgkmcnt(0)
	v_cmp_lt_i16_e64 s[12:13], v52, v53
	s_nop 1
	v_cndmask_b32_e64 v49, v49, v50, s[12:13]
	v_cndmask_b32_e64 v51, v54, v51, s[12:13]
	v_cmp_ge_i32_e64 s[12:13], v51, v49
	s_or_b64 s[16:17], s[12:13], s[16:17]
	s_andn2_b64 exec, exec, s[16:17]
	s_cbranch_execnz .LBB54_76
; %bb.77:                               ;   in Loop: Header=BB54_2 Depth=1
	s_or_b64 exec, exec, s[16:17]
.LBB54_78:                              ;   in Loop: Header=BB54_2 Depth=1
	s_or_b64 exec, exec, s[14:15]
	v_sub_u32_e32 v54, v48, v51
	ds_read_u8 v49, v51
	ds_read_u8 v50, v54
	v_cmp_le_i32_e64 s[14:15], v41, v51
	v_cmp_gt_i32_e64 s[12:13], s21, v54
                                        ; implicit-def: $vgpr52
	s_waitcnt lgkmcnt(1)
	v_bfe_i32 v49, v49, 0, 8
	s_waitcnt lgkmcnt(0)
	v_bfe_i32 v50, v50, 0, 8
	v_cmp_lt_i16_e64 s[16:17], v50, v49
	s_or_b64 s[14:15], s[14:15], s[16:17]
	s_and_b64 s[12:13], s[12:13], s[14:15]
	s_xor_b64 s[14:15], s[12:13], -1
	s_and_saveexec_b64 s[16:17], s[14:15]
	s_xor_b64 s[14:15], exec, s[16:17]
	s_cbranch_execz .LBB54_80
; %bb.79:                               ;   in Loop: Header=BB54_2 Depth=1
	ds_read_u8 v52, v51 offset:1
.LBB54_80:                              ;   in Loop: Header=BB54_2 Depth=1
	s_or_saveexec_b64 s[14:15], s[14:15]
	v_mov_b32_e32 v53, v50
	s_xor_b64 exec, exec, s[14:15]
	s_cbranch_execz .LBB54_82
; %bb.81:                               ;   in Loop: Header=BB54_2 Depth=1
	ds_read_u8 v53, v54 offset:1
	s_waitcnt lgkmcnt(1)
	v_mov_b32_e32 v52, v49
.LBB54_82:                              ;   in Loop: Header=BB54_2 Depth=1
	s_or_b64 exec, exec, s[14:15]
	v_add_u32_e32 v55, 1, v54
	v_add_u32_e32 v56, 1, v51
	v_cndmask_b32_e64 v54, v54, v55, s[12:13]
	v_cndmask_b32_e64 v55, v56, v51, s[12:13]
	v_cmp_ge_i32_e64 s[16:17], v55, v41
	s_waitcnt lgkmcnt(0)
	v_cmp_lt_i16_sdwa s[26:27], sext(v53), sext(v52) src0_sel:BYTE_0 src1_sel:BYTE_0
	v_cmp_gt_i32_e64 s[14:15], s21, v54
	s_or_b64 s[16:17], s[16:17], s[26:27]
	s_and_b64 s[14:15], s[14:15], s[16:17]
	s_xor_b64 s[16:17], s[14:15], -1
                                        ; implicit-def: $vgpr51
                                        ; implicit-def: $vgpr56
	s_and_saveexec_b64 s[26:27], s[16:17]
	s_xor_b64 s[16:17], exec, s[26:27]
	s_cbranch_execz .LBB54_84
; %bb.83:                               ;   in Loop: Header=BB54_2 Depth=1
	ds_read_u8 v51, v55 offset:1
	v_add_u32_e32 v56, 1, v55
                                        ; implicit-def: $vgpr55
.LBB54_84:                              ;   in Loop: Header=BB54_2 Depth=1
	s_or_saveexec_b64 s[16:17], s[16:17]
	v_mov_b32_e32 v57, v53
	s_xor_b64 exec, exec, s[16:17]
	s_cbranch_execz .LBB54_1
; %bb.85:                               ;   in Loop: Header=BB54_2 Depth=1
	ds_read_u8 v57, v54 offset:1
	v_add_u32_e32 v54, 1, v54
	v_mov_b32_e32 v56, v55
	s_waitcnt lgkmcnt(1)
	v_mov_b32_e32 v51, v52
	s_branch .LBB54_1
.LBB54_86:
	s_add_u32 s0, s18, s20
	s_addc_u32 s1, s19, 0
	v_lshl_add_u64 v[0:1], s[0:1], 0, v[0:1]
	global_store_byte v[0:1], v50, off
	global_store_byte v[0:1], v52, off offset:128
	global_store_byte v[0:1], v51, off offset:256
	s_endpgm
	.section	.rodata,"a",@progbits
	.p2align	6, 0x0
	.amdhsa_kernel _Z16sort_keys_kernelIaLj128ELj3EN10test_utils4lessELj10EEvPKT_PS2_T2_
		.amdhsa_group_segment_fixed_size 385
		.amdhsa_private_segment_fixed_size 0
		.amdhsa_kernarg_size 20
		.amdhsa_user_sgpr_count 2
		.amdhsa_user_sgpr_dispatch_ptr 0
		.amdhsa_user_sgpr_queue_ptr 0
		.amdhsa_user_sgpr_kernarg_segment_ptr 1
		.amdhsa_user_sgpr_dispatch_id 0
		.amdhsa_user_sgpr_kernarg_preload_length 0
		.amdhsa_user_sgpr_kernarg_preload_offset 0
		.amdhsa_user_sgpr_private_segment_size 0
		.amdhsa_uses_dynamic_stack 0
		.amdhsa_enable_private_segment 0
		.amdhsa_system_sgpr_workgroup_id_x 1
		.amdhsa_system_sgpr_workgroup_id_y 0
		.amdhsa_system_sgpr_workgroup_id_z 0
		.amdhsa_system_sgpr_workgroup_info 0
		.amdhsa_system_vgpr_workitem_id 0
		.amdhsa_next_free_vgpr 58
		.amdhsa_next_free_sgpr 28
		.amdhsa_accum_offset 60
		.amdhsa_reserve_vcc 1
		.amdhsa_float_round_mode_32 0
		.amdhsa_float_round_mode_16_64 0
		.amdhsa_float_denorm_mode_32 3
		.amdhsa_float_denorm_mode_16_64 3
		.amdhsa_dx10_clamp 1
		.amdhsa_ieee_mode 1
		.amdhsa_fp16_overflow 0
		.amdhsa_tg_split 0
		.amdhsa_exception_fp_ieee_invalid_op 0
		.amdhsa_exception_fp_denorm_src 0
		.amdhsa_exception_fp_ieee_div_zero 0
		.amdhsa_exception_fp_ieee_overflow 0
		.amdhsa_exception_fp_ieee_underflow 0
		.amdhsa_exception_fp_ieee_inexact 0
		.amdhsa_exception_int_div_zero 0
	.end_amdhsa_kernel
	.section	.text._Z16sort_keys_kernelIaLj128ELj3EN10test_utils4lessELj10EEvPKT_PS2_T2_,"axG",@progbits,_Z16sort_keys_kernelIaLj128ELj3EN10test_utils4lessELj10EEvPKT_PS2_T2_,comdat
.Lfunc_end54:
	.size	_Z16sort_keys_kernelIaLj128ELj3EN10test_utils4lessELj10EEvPKT_PS2_T2_, .Lfunc_end54-_Z16sort_keys_kernelIaLj128ELj3EN10test_utils4lessELj10EEvPKT_PS2_T2_
                                        ; -- End function
	.section	.AMDGPU.csdata,"",@progbits
; Kernel info:
; codeLenInByte = 4592
; NumSgprs: 34
; NumVgprs: 58
; NumAgprs: 0
; TotalNumVgprs: 58
; ScratchSize: 0
; MemoryBound: 0
; FloatMode: 240
; IeeeMode: 1
; LDSByteSize: 385 bytes/workgroup (compile time only)
; SGPRBlocks: 4
; VGPRBlocks: 7
; NumSGPRsForWavesPerEU: 34
; NumVGPRsForWavesPerEU: 58
; AccumOffset: 60
; Occupancy: 8
; WaveLimiterHint : 1
; COMPUTE_PGM_RSRC2:SCRATCH_EN: 0
; COMPUTE_PGM_RSRC2:USER_SGPR: 2
; COMPUTE_PGM_RSRC2:TRAP_HANDLER: 0
; COMPUTE_PGM_RSRC2:TGID_X_EN: 1
; COMPUTE_PGM_RSRC2:TGID_Y_EN: 0
; COMPUTE_PGM_RSRC2:TGID_Z_EN: 0
; COMPUTE_PGM_RSRC2:TIDIG_COMP_CNT: 0
; COMPUTE_PGM_RSRC3_GFX90A:ACCUM_OFFSET: 14
; COMPUTE_PGM_RSRC3_GFX90A:TG_SPLIT: 0
	.section	.text._Z17sort_pairs_kernelIaLj128ELj3EN10test_utils4lessELj10EEvPKT_PS2_T2_,"axG",@progbits,_Z17sort_pairs_kernelIaLj128ELj3EN10test_utils4lessELj10EEvPKT_PS2_T2_,comdat
	.protected	_Z17sort_pairs_kernelIaLj128ELj3EN10test_utils4lessELj10EEvPKT_PS2_T2_ ; -- Begin function _Z17sort_pairs_kernelIaLj128ELj3EN10test_utils4lessELj10EEvPKT_PS2_T2_
	.globl	_Z17sort_pairs_kernelIaLj128ELj3EN10test_utils4lessELj10EEvPKT_PS2_T2_
	.p2align	8
	.type	_Z17sort_pairs_kernelIaLj128ELj3EN10test_utils4lessELj10EEvPKT_PS2_T2_,@function
_Z17sort_pairs_kernelIaLj128ELj3EN10test_utils4lessELj10EEvPKT_PS2_T2_: ; @_Z17sort_pairs_kernelIaLj128ELj3EN10test_utils4lessELj10EEvPKT_PS2_T2_
; %bb.0:
	s_load_dwordx4 s[24:27], s[0:1], 0x0
	s_mul_i32 s28, s2, 0x180
	v_and_b32_e32 v3, 0x7e, v0
	v_and_b32_e32 v5, 0x7c, v0
	v_and_b32_e32 v6, 0x78, v0
	s_waitcnt lgkmcnt(0)
	s_add_u32 s0, s24, s28
	s_addc_u32 s1, s25, 0
	global_load_ubyte v30, v0, s[0:1] offset:128
	global_load_ubyte v31, v0, s[0:1] offset:256
	global_load_ubyte v32, v0, s[0:1]
	v_and_b32_e32 v7, 0x70, v0
	v_mul_u32_u24_e32 v8, 3, v3
	v_and_b32_e32 v4, 1, v0
	v_mul_u32_u24_e32 v9, 3, v5
	v_mul_u32_u24_e32 v10, 3, v6
	;; [unrolled: 1-line block ×3, first 2 shown]
	v_min_u32_e32 v12, 0x17d, v8
	v_min_u32_e32 v13, 0x17a, v8
	v_cmp_eq_u32_e32 vcc, 1, v4
	v_min_u32_e32 v7, 0x180, v8
	v_min_u32_e32 v8, 0x180, v9
	;; [unrolled: 1-line block ×10, first 2 shown]
	v_add_u32_e32 v11, 3, v12
	v_add_u32_e32 v12, 6, v13
	v_and_b32_e32 v20, 3, v0
	v_cndmask_b32_e64 v3, 0, 3, vcc
	v_add_u32_e32 v13, 6, v14
	v_add_u32_e32 v14, 12, v15
	v_sub_u32_e32 v26, v12, v11
	v_mul_u32_u24_e32 v4, 3, v20
	v_sub_u32_e32 v27, v14, v13
	v_sub_u32_e32 v34, v3, v26
	v_cmp_ge_i32_e32 vcc, v3, v26
	v_sub_u32_e32 v35, v4, v27
	v_and_b32_e32 v21, 7, v0
	v_cndmask_b32_e32 v26, 0, v34, vcc
	v_cmp_ge_i32_e32 vcc, v4, v27
	v_add_u32_e32 v15, 12, v16
	v_add_u32_e32 v16, 24, v17
	v_cndmask_b32_e32 v27, 0, v35, vcc
	v_and_b32_e32 v33, 15, v0
	v_mul_u32_u24_e32 v5, 3, v21
	v_add_u32_e32 v17, 24, v18
	v_add_u32_e32 v18, 48, v19
	v_sub_u32_e32 v28, v16, v15
	v_mul_u32_u24_e32 v6, 3, v33
	v_sub_u32_e32 v29, v18, v17
	v_sub_u32_e32 v36, v5, v28
	v_cmp_ge_i32_e32 vcc, v5, v28
	v_sub_u32_e32 v37, v6, v29
	v_and_b32_e32 v45, 63, v0
	v_cndmask_b32_e32 v28, 0, v36, vcc
	v_cmp_ge_i32_e32 vcc, v6, v29
	v_mul_u32_u24_e32 v2, 3, v0
	v_sub_u32_e32 v22, v11, v7
	v_cndmask_b32_e32 v29, 0, v37, vcc
	v_and_b32_e32 v37, 31, v0
	v_sub_u32_e32 v23, v13, v8
	v_sub_u32_e32 v24, v15, v9
	;; [unrolled: 1-line block ×3, first 2 shown]
	v_mov_b32_e32 v41, 0xc0
	v_min_i32_e32 v22, v3, v22
	v_min_i32_e32 v23, v4, v23
	;; [unrolled: 1-line block ×5, first 2 shown]
	s_movk_i32 s24, 0x180
	s_mov_b32 s25, 0
	v_mov_b32_e32 v1, 0
	v_add_u32_e32 v19, v11, v3
	v_mad_u32_u24 v20, v20, 3, v13
	v_mad_u32_u24 v21, v21, 3, v15
	v_cmp_lt_i32_e32 vcc, v26, v22
	v_cmp_lt_i32_e64 s[0:1], v27, v23
	v_cmp_lt_i32_e64 s[2:3], v28, v24
	;; [unrolled: 1-line block ×3, first 2 shown]
	v_mad_u32_u24 v48, v0, 3, v41
	s_mov_b32 s29, 0x7060405
	s_mov_b32 s30, 0x7000604
	;; [unrolled: 1-line block ×3, first 2 shown]
	s_waitcnt vmcnt(2)
	v_lshlrev_b16_e32 v30, 8, v30
	s_waitcnt vmcnt(1)
	v_lshlrev_b32_e32 v34, 16, v31
	s_waitcnt vmcnt(0)
	v_add_u16_e32 v35, 1, v32
	v_add_u16_e32 v31, 1, v31
	v_or_b32_e32 v32, v32, v30
	v_or_b32_sdwa v30, v30, v35 dst_sel:DWORD dst_unused:UNUSED_PAD src0_sel:DWORD src1_sel:BYTE_0
	v_and_b32_e32 v31, 0xff, v31
	v_add_u16_e32 v30, 0x100, v30
	v_lshlrev_b32_e32 v31, 16, v31
	v_or_b32_e32 v49, v30, v31
	v_and_b32_e32 v31, 0x60, v0
	v_or_b32_sdwa v50, v32, v34 dst_sel:DWORD dst_unused:UNUSED_PAD src0_sel:WORD_0 src1_sel:DWORD
	v_mul_u32_u24_e32 v34, 3, v31
	v_mad_u32_u24 v30, v33, 3, v17
	v_min_u32_e32 v32, 0x180, v34
	v_min_u32_e32 v33, 0x150, v34
	;; [unrolled: 1-line block ×3, first 2 shown]
	v_add_u32_e32 v33, 48, v33
	v_add_u32_e32 v34, 0x60, v34
	v_mul_u32_u24_e32 v31, 3, v37
	v_sub_u32_e32 v35, v34, v33
	v_sub_u32_e32 v38, v31, v35
	v_cmp_ge_i32_e64 s[6:7], v31, v35
	v_sub_u32_e32 v36, v33, v32
	v_min_i32_e32 v36, v31, v36
	v_cndmask_b32_e64 v35, 0, v38, s[6:7]
	v_and_b32_e32 v38, 64, v0
	v_mul_u32_u24_e32 v42, 3, v38
	v_min_u32_e32 v39, 0x180, v42
	v_min_u32_e32 v40, 0x120, v42
	;; [unrolled: 1-line block ×3, first 2 shown]
	v_add_u32_e32 v40, 0x60, v40
	v_add_u32_e32 v42, 0xc0, v42
	v_mul_u32_u24_e32 v38, 3, v45
	v_sub_u32_e32 v43, v42, v40
	v_sub_u32_e32 v44, v40, v39
	v_sub_u32_e32 v46, v38, v43
	v_cmp_ge_i32_e64 s[8:9], v38, v43
	v_min_i32_e32 v44, v38, v44
	v_cmp_lt_i32_e64 s[6:7], v35, v36
	v_cndmask_b32_e64 v43, 0, v46, s[8:9]
	v_sub_u32_e64 v46, v2, v41 clamp
	v_mad_u32_u24 v37, v37, 3, v33
	v_cmp_lt_i32_e64 s[8:9], v43, v44
	v_mad_u32_u24 v45, v45, 3, v40
	v_cmp_lt_i32_e64 s[10:11], v46, v47
	s_mov_b32 s33, 0xc0c0001
	s_branch .LBB55_2
.LBB55_1:                               ;   in Loop: Header=BB55_2 Depth=1
	s_or_b64 exec, exec, s[16:17]
	v_cndmask_b32_e64 v54, v54, v55, s[12:13]
	v_cndmask_b32_e64 v55, v56, v57, s[14:15]
	v_cmp_ge_i32_e64 s[14:15], v59, v41
	s_waitcnt lgkmcnt(0)
	v_cmp_lt_i16_sdwa s[16:17], sext(v63), sext(v60) src0_sel:BYTE_0 src1_sel:BYTE_0
	v_cndmask_b32_e64 v53, v52, v53, s[12:13]
	v_cmp_gt_i32_e64 s[12:13], s24, v58
	s_or_b64 s[14:15], s[14:15], s[16:17]
	s_and_b64 s[12:13], s[12:13], s[14:15]
	v_lshlrev_b16_e32 v56, 8, v55
	v_or_b32_sdwa v57, v54, v56 dst_sel:DWORD dst_unused:UNUSED_PAD src0_sel:BYTE_0 src1_sel:DWORD
	v_cndmask_b32_e64 v58, v59, v58, s[12:13]
	s_barrier
	ds_write_b8 v2, v50
	ds_write_b8 v2, v51 offset:1
	ds_write_b8 v2, v49 offset:2
	s_waitcnt lgkmcnt(0)
	s_barrier
	ds_read_u8 v51, v62
	ds_read_u8 v56, v53
	;; [unrolled: 1-line block ×3, first 2 shown]
	v_cndmask_b32_e64 v52, v60, v63, s[12:13]
	v_and_b32_e32 v60, 0xff, v52
	v_lshlrev_b32_e32 v49, 16, v60
	v_or_b32_sdwa v50, v57, v49 dst_sel:DWORD dst_unused:UNUSED_PAD src0_sel:WORD_0 src1_sel:DWORD
	s_waitcnt lgkmcnt(2)
	v_lshlrev_b16_e32 v49, 8, v51
	s_waitcnt lgkmcnt(1)
	v_or_b32_e32 v49, v56, v49
	s_waitcnt lgkmcnt(0)
	v_lshlrev_b32_e32 v57, 16, v53
	s_add_i32 s25, s25, 1
	s_cmp_eq_u32 s25, 10
	v_or_b32_sdwa v49, v49, v57 dst_sel:DWORD dst_unused:UNUSED_PAD src0_sel:WORD_0 src1_sel:DWORD
	s_cbranch_scc1 .LBB55_86
.LBB55_2:                               ; =>This Loop Header: Depth=1
                                        ;     Child Loop BB55_4 Depth 2
                                        ;     Child Loop BB55_16 Depth 2
	;; [unrolled: 1-line block ×7, first 2 shown]
	v_lshrrev_b32_e32 v52, 8, v50
	v_perm_b32 v51, v50, v50, s29
	v_cmp_lt_i16_sdwa s[14:15], sext(v52), sext(v50) src0_sel:BYTE_0 src1_sel:BYTE_0
	s_barrier
	s_nop 0
	v_cndmask_b32_e64 v51, v50, v51, s[14:15]
	v_lshrrev_b32_e32 v53, 16, v51
	v_max_i16_sdwa v50, sext(v52), sext(v50) dst_sel:DWORD dst_unused:UNUSED_PAD src0_sel:BYTE_0 src1_sel:BYTE_0
	v_perm_b32 v52, v51, v50, s30
	v_cmp_lt_i16_sdwa s[12:13], sext(v53), v50 src0_sel:BYTE_0 src1_sel:DWORD
	v_min_i16_sdwa v50, sext(v53), v50 dst_sel:DWORD dst_unused:UNUSED_PAD src0_sel:BYTE_0 src1_sel:DWORD
	s_nop 0
	v_cndmask_b32_e64 v51, v51, v52, s[12:13]
	v_lshlrev_b16_e32 v52, 8, v51
	v_or_b32_sdwa v52, v50, v52 dst_sel:DWORD dst_unused:UNUSED_PAD src0_sel:BYTE_0 src1_sel:DWORD
	v_and_b32_e32 v52, 0xffff, v52
	v_and_or_b32 v52, v51, s31, v52
	v_cmp_lt_i16_sdwa s[16:17], v50, sext(v51) src0_sel:DWORD src1_sel:BYTE_0
	s_nop 1
	v_cndmask_b32_e64 v50, v51, v52, s[16:17]
	v_lshrrev_b32_e32 v51, 8, v50
	ds_write_b8 v2, v50
	ds_write_b8 v2, v51 offset:1
	ds_write_b8_d16_hi v2, v50 offset:2
	v_mov_b32_e32 v51, v26
	s_waitcnt lgkmcnt(0)
	s_barrier
	s_and_saveexec_b64 s[20:21], vcc
	s_cbranch_execz .LBB55_6
; %bb.3:                                ;   in Loop: Header=BB55_2 Depth=1
	s_mov_b64 s[22:23], 0
	v_mov_b32_e32 v51, v26
	v_mov_b32_e32 v50, v22
.LBB55_4:                               ;   Parent Loop BB55_2 Depth=1
                                        ; =>  This Inner Loop Header: Depth=2
	v_sub_u32_e32 v52, v50, v51
	v_lshrrev_b32_e32 v53, 31, v52
	v_add_u32_e32 v52, v52, v53
	v_ashrrev_i32_e32 v52, 1, v52
	v_add_u32_e32 v52, v52, v51
	v_not_b32_e32 v54, v52
	v_add_u32_e32 v53, v7, v52
	v_add3_u32 v54, v3, v54, v11
	ds_read_i8 v53, v53
	ds_read_i8 v54, v54
	v_add_u32_e32 v55, 1, v52
	s_waitcnt lgkmcnt(0)
	v_cmp_lt_i16_e64 s[18:19], v54, v53
	s_nop 1
	v_cndmask_b32_e64 v50, v50, v52, s[18:19]
	v_cndmask_b32_e64 v51, v55, v51, s[18:19]
	v_cmp_ge_i32_e64 s[18:19], v51, v50
	s_or_b64 s[22:23], s[18:19], s[22:23]
	s_andn2_b64 exec, exec, s[22:23]
	s_cbranch_execnz .LBB55_4
; %bb.5:                                ;   in Loop: Header=BB55_2 Depth=1
	s_or_b64 exec, exec, s[22:23]
.LBB55_6:                               ;   in Loop: Header=BB55_2 Depth=1
	s_or_b64 exec, exec, s[20:21]
	v_add_u32_e32 v50, v51, v7
	v_sub_u32_e32 v51, v19, v51
	ds_read_u8 v52, v50
	ds_read_u8 v53, v51
	v_cmp_le_i32_e64 s[20:21], v11, v50
	v_cmp_gt_i32_e64 s[18:19], v12, v51
                                        ; implicit-def: $vgpr54
	s_waitcnt lgkmcnt(1)
	v_bfe_i32 v52, v52, 0, 8
	s_waitcnt lgkmcnt(0)
	v_bfe_i32 v53, v53, 0, 8
	v_cmp_lt_i16_e64 s[22:23], v53, v52
	s_or_b64 s[20:21], s[20:21], s[22:23]
	s_and_b64 s[18:19], s[18:19], s[20:21]
	s_xor_b64 s[20:21], s[18:19], -1
	s_and_saveexec_b64 s[22:23], s[20:21]
	s_xor_b64 s[20:21], exec, s[22:23]
	s_cbranch_execz .LBB55_8
; %bb.7:                                ;   in Loop: Header=BB55_2 Depth=1
	ds_read_u8 v54, v50 offset:1
.LBB55_8:                               ;   in Loop: Header=BB55_2 Depth=1
	s_or_saveexec_b64 s[20:21], s[20:21]
	v_mov_b32_e32 v55, v53
	s_xor_b64 exec, exec, s[20:21]
	s_cbranch_execz .LBB55_10
; %bb.9:                                ;   in Loop: Header=BB55_2 Depth=1
	ds_read_u8 v55, v51 offset:1
	s_waitcnt lgkmcnt(1)
	v_mov_b32_e32 v54, v52
.LBB55_10:                              ;   in Loop: Header=BB55_2 Depth=1
	s_or_b64 exec, exec, s[20:21]
	v_add_u32_e32 v58, 1, v50
	v_add_u32_e32 v56, 1, v51
	v_cndmask_b32_e64 v58, v58, v50, s[18:19]
	v_cndmask_b32_e64 v57, v51, v56, s[18:19]
	v_cmp_ge_i32_e64 s[22:23], v58, v11
	s_waitcnt lgkmcnt(0)
	v_cmp_lt_i16_sdwa s[34:35], sext(v55), sext(v54) src0_sel:BYTE_0 src1_sel:BYTE_0
	v_cmp_lt_i32_e64 s[20:21], v57, v12
	s_or_b64 s[22:23], s[22:23], s[34:35]
	s_and_b64 s[20:21], s[20:21], s[22:23]
	s_xor_b64 s[22:23], s[20:21], -1
                                        ; implicit-def: $vgpr56
	s_and_saveexec_b64 s[34:35], s[22:23]
	s_xor_b64 s[22:23], exec, s[34:35]
	s_cbranch_execz .LBB55_12
; %bb.11:                               ;   in Loop: Header=BB55_2 Depth=1
	ds_read_u8 v56, v58 offset:1
.LBB55_12:                              ;   in Loop: Header=BB55_2 Depth=1
	s_or_saveexec_b64 s[22:23], s[22:23]
	v_mov_b32_e32 v59, v55
	s_xor_b64 exec, exec, s[22:23]
	s_cbranch_execz .LBB55_14
; %bb.13:                               ;   in Loop: Header=BB55_2 Depth=1
	ds_read_u8 v59, v57 offset:1
	s_waitcnt lgkmcnt(1)
	v_mov_b32_e32 v56, v54
.LBB55_14:                              ;   in Loop: Header=BB55_2 Depth=1
	s_or_b64 exec, exec, s[22:23]
	v_perm_b32 v60, v49, v49, s29
	v_cndmask_b32_e64 v49, v49, v60, s[14:15]
	v_cndmask_b32_e64 v50, v50, v51, s[18:19]
	v_lshrrev_b32_e32 v51, 16, v49
	v_cndmask_b32_e64 v52, v52, v53, s[18:19]
	v_lshlrev_b16_e32 v51, 8, v51
	v_lshrrev_b16_e32 v53, 8, v49
	v_or_b32_sdwa v51, v49, v51 dst_sel:DWORD dst_unused:UNUSED_PAD src0_sel:BYTE_0 src1_sel:DWORD
	v_lshlrev_b32_e32 v53, 16, v53
	v_or_b32_sdwa v51, v51, v53 dst_sel:DWORD dst_unused:UNUSED_PAD src0_sel:WORD_0 src1_sel:DWORD
	v_cndmask_b32_e64 v49, v49, v51, s[12:13]
	v_add_u32_e32 v61, 1, v58
	v_perm_b32 v51, 0, v49, s33
	v_cndmask_b32_e64 v54, v54, v55, s[20:21]
	v_add_u32_e32 v55, 1, v57
	v_cndmask_b32_e64 v61, v61, v58, s[20:21]
	v_and_or_b32 v51, v49, s31, v51
	v_cndmask_b32_e64 v55, v57, v55, s[20:21]
	v_cndmask_b32_e64 v49, v49, v51, s[16:17]
	v_cmp_ge_i32_e64 s[14:15], v61, v11
	s_waitcnt lgkmcnt(0)
	v_cmp_lt_i16_sdwa s[16:17], sext(v59), sext(v56) src0_sel:BYTE_0 src1_sel:BYTE_0
	v_cmp_lt_i32_e64 s[12:13], v55, v12
	s_or_b64 s[14:15], s[14:15], s[16:17]
	s_and_b64 s[12:13], s[12:13], s[14:15]
	v_cndmask_b32_e64 v51, v61, v55, s[12:13]
	v_lshrrev_b32_e32 v55, 8, v49
	v_cndmask_b32_e64 v57, v58, v57, s[20:21]
	s_barrier
	ds_write_b8 v2, v49
	ds_write_b8 v2, v55 offset:1
	ds_write_b8_d16_hi v2, v49 offset:2
	s_waitcnt lgkmcnt(0)
	s_barrier
	ds_read_u8 v49, v51
	ds_read_u8 v50, v50
	;; [unrolled: 1-line block ×3, first 2 shown]
	v_cndmask_b32_e64 v53, v56, v59, s[12:13]
	s_waitcnt lgkmcnt(0)
	s_barrier
	ds_write_b8 v2, v52
	ds_write_b8 v2, v54 offset:1
	ds_write_b8 v2, v53 offset:2
	v_mov_b32_e32 v53, v27
	s_waitcnt lgkmcnt(0)
	s_barrier
	s_and_saveexec_b64 s[14:15], s[0:1]
	s_cbranch_execz .LBB55_18
; %bb.15:                               ;   in Loop: Header=BB55_2 Depth=1
	s_mov_b64 s[16:17], 0
	v_mov_b32_e32 v53, v27
	v_mov_b32_e32 v52, v23
.LBB55_16:                              ;   Parent Loop BB55_2 Depth=1
                                        ; =>  This Inner Loop Header: Depth=2
	v_sub_u32_e32 v54, v52, v53
	v_lshrrev_b32_e32 v55, 31, v54
	v_add_u32_e32 v54, v54, v55
	v_ashrrev_i32_e32 v54, 1, v54
	v_add_u32_e32 v54, v54, v53
	v_not_b32_e32 v56, v54
	v_add_u32_e32 v55, v8, v54
	v_add3_u32 v56, v4, v56, v13
	ds_read_i8 v55, v55
	ds_read_i8 v56, v56
	v_add_u32_e32 v57, 1, v54
	s_waitcnt lgkmcnt(0)
	v_cmp_lt_i16_e64 s[12:13], v56, v55
	s_nop 1
	v_cndmask_b32_e64 v52, v52, v54, s[12:13]
	v_cndmask_b32_e64 v53, v57, v53, s[12:13]
	v_cmp_ge_i32_e64 s[12:13], v53, v52
	s_or_b64 s[16:17], s[12:13], s[16:17]
	s_andn2_b64 exec, exec, s[16:17]
	s_cbranch_execnz .LBB55_16
; %bb.17:                               ;   in Loop: Header=BB55_2 Depth=1
	s_or_b64 exec, exec, s[16:17]
.LBB55_18:                              ;   in Loop: Header=BB55_2 Depth=1
	s_or_b64 exec, exec, s[14:15]
	v_add_u32_e32 v52, v53, v8
	v_sub_u32_e32 v53, v20, v53
	ds_read_u8 v54, v52
	ds_read_u8 v55, v53
	v_cmp_le_i32_e64 s[14:15], v13, v52
	v_cmp_gt_i32_e64 s[12:13], v14, v53
                                        ; implicit-def: $vgpr56
	s_waitcnt lgkmcnt(1)
	v_bfe_i32 v54, v54, 0, 8
	s_waitcnt lgkmcnt(0)
	v_bfe_i32 v55, v55, 0, 8
	v_cmp_lt_i16_e64 s[16:17], v55, v54
	s_or_b64 s[14:15], s[14:15], s[16:17]
	s_and_b64 s[12:13], s[12:13], s[14:15]
	s_xor_b64 s[14:15], s[12:13], -1
	s_and_saveexec_b64 s[16:17], s[14:15]
	s_xor_b64 s[14:15], exec, s[16:17]
	s_cbranch_execz .LBB55_20
; %bb.19:                               ;   in Loop: Header=BB55_2 Depth=1
	ds_read_u8 v56, v52 offset:1
.LBB55_20:                              ;   in Loop: Header=BB55_2 Depth=1
	s_or_saveexec_b64 s[14:15], s[14:15]
	v_mov_b32_e32 v57, v55
	s_xor_b64 exec, exec, s[14:15]
	s_cbranch_execz .LBB55_22
; %bb.21:                               ;   in Loop: Header=BB55_2 Depth=1
	ds_read_u8 v57, v53 offset:1
	s_waitcnt lgkmcnt(1)
	v_mov_b32_e32 v56, v54
.LBB55_22:                              ;   in Loop: Header=BB55_2 Depth=1
	s_or_b64 exec, exec, s[14:15]
	v_add_u32_e32 v59, 1, v52
	v_add_u32_e32 v58, 1, v53
	v_cndmask_b32_e64 v59, v59, v52, s[12:13]
	v_cndmask_b32_e64 v58, v53, v58, s[12:13]
	v_cmp_ge_i32_e64 s[16:17], v59, v13
	s_waitcnt lgkmcnt(0)
	v_cmp_lt_i16_sdwa s[18:19], sext(v57), sext(v56) src0_sel:BYTE_0 src1_sel:BYTE_0
	v_cmp_lt_i32_e64 s[14:15], v58, v14
	s_or_b64 s[16:17], s[16:17], s[18:19]
	s_and_b64 s[14:15], s[14:15], s[16:17]
	s_xor_b64 s[16:17], s[14:15], -1
                                        ; implicit-def: $vgpr60
	s_and_saveexec_b64 s[18:19], s[16:17]
	s_xor_b64 s[16:17], exec, s[18:19]
	s_cbranch_execz .LBB55_24
; %bb.23:                               ;   in Loop: Header=BB55_2 Depth=1
	ds_read_u8 v60, v59 offset:1
.LBB55_24:                              ;   in Loop: Header=BB55_2 Depth=1
	s_or_saveexec_b64 s[16:17], s[16:17]
	v_mov_b32_e32 v61, v57
	s_xor_b64 exec, exec, s[16:17]
	s_cbranch_execz .LBB55_26
; %bb.25:                               ;   in Loop: Header=BB55_2 Depth=1
	ds_read_u8 v61, v58 offset:1
	s_waitcnt lgkmcnt(1)
	v_mov_b32_e32 v60, v56
.LBB55_26:                              ;   in Loop: Header=BB55_2 Depth=1
	s_or_b64 exec, exec, s[16:17]
	v_add_u32_e32 v62, 1, v59
	v_cndmask_b32_e64 v56, v56, v57, s[14:15]
	v_add_u32_e32 v57, 1, v58
	v_cndmask_b32_e64 v62, v62, v59, s[14:15]
	v_cndmask_b32_e64 v57, v58, v57, s[14:15]
	;; [unrolled: 1-line block ×3, first 2 shown]
	v_cmp_ge_i32_e64 s[14:15], v62, v13
	s_waitcnt lgkmcnt(0)
	v_cmp_lt_i16_sdwa s[16:17], sext(v61), sext(v60) src0_sel:BYTE_0 src1_sel:BYTE_0
	v_cndmask_b32_e64 v54, v54, v55, s[12:13]
	v_cndmask_b32_e64 v52, v52, v53, s[12:13]
	v_cmp_lt_i32_e64 s[12:13], v57, v14
	s_or_b64 s[14:15], s[14:15], s[16:17]
	s_and_b64 s[12:13], s[12:13], s[14:15]
	v_cndmask_b32_e64 v55, v62, v57, s[12:13]
	s_barrier
	ds_write_b8 v2, v50
	ds_write_b8 v2, v51 offset:1
	ds_write_b8 v2, v49 offset:2
	s_waitcnt lgkmcnt(0)
	s_barrier
	ds_read_u8 v49, v55
	ds_read_u8 v50, v52
	;; [unrolled: 1-line block ×3, first 2 shown]
	v_cndmask_b32_e64 v53, v60, v61, s[12:13]
	s_waitcnt lgkmcnt(0)
	s_barrier
	ds_write_b8 v2, v54
	ds_write_b8 v2, v56 offset:1
	ds_write_b8 v2, v53 offset:2
	v_mov_b32_e32 v53, v28
	s_waitcnt lgkmcnt(0)
	s_barrier
	s_and_saveexec_b64 s[14:15], s[2:3]
	s_cbranch_execz .LBB55_30
; %bb.27:                               ;   in Loop: Header=BB55_2 Depth=1
	s_mov_b64 s[16:17], 0
	v_mov_b32_e32 v53, v28
	v_mov_b32_e32 v52, v24
.LBB55_28:                              ;   Parent Loop BB55_2 Depth=1
                                        ; =>  This Inner Loop Header: Depth=2
	v_sub_u32_e32 v54, v52, v53
	v_lshrrev_b32_e32 v55, 31, v54
	v_add_u32_e32 v54, v54, v55
	v_ashrrev_i32_e32 v54, 1, v54
	v_add_u32_e32 v54, v54, v53
	v_not_b32_e32 v56, v54
	v_add_u32_e32 v55, v9, v54
	v_add3_u32 v56, v5, v56, v15
	ds_read_i8 v55, v55
	ds_read_i8 v56, v56
	v_add_u32_e32 v57, 1, v54
	s_waitcnt lgkmcnt(0)
	v_cmp_lt_i16_e64 s[12:13], v56, v55
	s_nop 1
	v_cndmask_b32_e64 v52, v52, v54, s[12:13]
	v_cndmask_b32_e64 v53, v57, v53, s[12:13]
	v_cmp_ge_i32_e64 s[12:13], v53, v52
	s_or_b64 s[16:17], s[12:13], s[16:17]
	s_andn2_b64 exec, exec, s[16:17]
	s_cbranch_execnz .LBB55_28
; %bb.29:                               ;   in Loop: Header=BB55_2 Depth=1
	s_or_b64 exec, exec, s[16:17]
.LBB55_30:                              ;   in Loop: Header=BB55_2 Depth=1
	s_or_b64 exec, exec, s[14:15]
	v_add_u32_e32 v52, v53, v9
	v_sub_u32_e32 v53, v21, v53
	ds_read_u8 v54, v52
	ds_read_u8 v55, v53
	v_cmp_le_i32_e64 s[14:15], v15, v52
	v_cmp_gt_i32_e64 s[12:13], v16, v53
                                        ; implicit-def: $vgpr56
	s_waitcnt lgkmcnt(1)
	v_bfe_i32 v54, v54, 0, 8
	s_waitcnt lgkmcnt(0)
	v_bfe_i32 v55, v55, 0, 8
	v_cmp_lt_i16_e64 s[16:17], v55, v54
	s_or_b64 s[14:15], s[14:15], s[16:17]
	s_and_b64 s[12:13], s[12:13], s[14:15]
	s_xor_b64 s[14:15], s[12:13], -1
	s_and_saveexec_b64 s[16:17], s[14:15]
	s_xor_b64 s[14:15], exec, s[16:17]
	s_cbranch_execz .LBB55_32
; %bb.31:                               ;   in Loop: Header=BB55_2 Depth=1
	ds_read_u8 v56, v52 offset:1
.LBB55_32:                              ;   in Loop: Header=BB55_2 Depth=1
	s_or_saveexec_b64 s[14:15], s[14:15]
	v_mov_b32_e32 v57, v55
	s_xor_b64 exec, exec, s[14:15]
	s_cbranch_execz .LBB55_34
; %bb.33:                               ;   in Loop: Header=BB55_2 Depth=1
	ds_read_u8 v57, v53 offset:1
	s_waitcnt lgkmcnt(1)
	v_mov_b32_e32 v56, v54
.LBB55_34:                              ;   in Loop: Header=BB55_2 Depth=1
	s_or_b64 exec, exec, s[14:15]
	v_add_u32_e32 v59, 1, v52
	v_add_u32_e32 v58, 1, v53
	v_cndmask_b32_e64 v59, v59, v52, s[12:13]
	v_cndmask_b32_e64 v58, v53, v58, s[12:13]
	v_cmp_ge_i32_e64 s[16:17], v59, v15
	s_waitcnt lgkmcnt(0)
	v_cmp_lt_i16_sdwa s[18:19], sext(v57), sext(v56) src0_sel:BYTE_0 src1_sel:BYTE_0
	v_cmp_lt_i32_e64 s[14:15], v58, v16
	s_or_b64 s[16:17], s[16:17], s[18:19]
	s_and_b64 s[14:15], s[14:15], s[16:17]
	s_xor_b64 s[16:17], s[14:15], -1
                                        ; implicit-def: $vgpr60
	s_and_saveexec_b64 s[18:19], s[16:17]
	s_xor_b64 s[16:17], exec, s[18:19]
	s_cbranch_execz .LBB55_36
; %bb.35:                               ;   in Loop: Header=BB55_2 Depth=1
	ds_read_u8 v60, v59 offset:1
.LBB55_36:                              ;   in Loop: Header=BB55_2 Depth=1
	s_or_saveexec_b64 s[16:17], s[16:17]
	v_mov_b32_e32 v61, v57
	s_xor_b64 exec, exec, s[16:17]
	s_cbranch_execz .LBB55_38
; %bb.37:                               ;   in Loop: Header=BB55_2 Depth=1
	ds_read_u8 v61, v58 offset:1
	s_waitcnt lgkmcnt(1)
	v_mov_b32_e32 v60, v56
.LBB55_38:                              ;   in Loop: Header=BB55_2 Depth=1
	s_or_b64 exec, exec, s[16:17]
	v_add_u32_e32 v62, 1, v59
	v_cndmask_b32_e64 v56, v56, v57, s[14:15]
	v_add_u32_e32 v57, 1, v58
	v_cndmask_b32_e64 v62, v62, v59, s[14:15]
	v_cndmask_b32_e64 v57, v58, v57, s[14:15]
	;; [unrolled: 1-line block ×3, first 2 shown]
	v_cmp_ge_i32_e64 s[14:15], v62, v15
	s_waitcnt lgkmcnt(0)
	v_cmp_lt_i16_sdwa s[16:17], sext(v61), sext(v60) src0_sel:BYTE_0 src1_sel:BYTE_0
	v_cndmask_b32_e64 v54, v54, v55, s[12:13]
	v_cndmask_b32_e64 v52, v52, v53, s[12:13]
	v_cmp_lt_i32_e64 s[12:13], v57, v16
	s_or_b64 s[14:15], s[14:15], s[16:17]
	s_and_b64 s[12:13], s[12:13], s[14:15]
	v_cndmask_b32_e64 v55, v62, v57, s[12:13]
	s_barrier
	ds_write_b8 v2, v50
	ds_write_b8 v2, v51 offset:1
	ds_write_b8 v2, v49 offset:2
	s_waitcnt lgkmcnt(0)
	s_barrier
	ds_read_u8 v49, v55
	ds_read_u8 v50, v52
	;; [unrolled: 1-line block ×3, first 2 shown]
	v_cndmask_b32_e64 v53, v60, v61, s[12:13]
	s_waitcnt lgkmcnt(0)
	s_barrier
	ds_write_b8 v2, v54
	ds_write_b8 v2, v56 offset:1
	ds_write_b8 v2, v53 offset:2
	v_mov_b32_e32 v53, v29
	s_waitcnt lgkmcnt(0)
	s_barrier
	s_and_saveexec_b64 s[14:15], s[4:5]
	s_cbranch_execz .LBB55_42
; %bb.39:                               ;   in Loop: Header=BB55_2 Depth=1
	s_mov_b64 s[16:17], 0
	v_mov_b32_e32 v53, v29
	v_mov_b32_e32 v52, v25
.LBB55_40:                              ;   Parent Loop BB55_2 Depth=1
                                        ; =>  This Inner Loop Header: Depth=2
	v_sub_u32_e32 v54, v52, v53
	v_lshrrev_b32_e32 v55, 31, v54
	v_add_u32_e32 v54, v54, v55
	v_ashrrev_i32_e32 v54, 1, v54
	v_add_u32_e32 v54, v54, v53
	v_not_b32_e32 v56, v54
	v_add_u32_e32 v55, v10, v54
	v_add3_u32 v56, v6, v56, v17
	ds_read_i8 v55, v55
	ds_read_i8 v56, v56
	v_add_u32_e32 v57, 1, v54
	s_waitcnt lgkmcnt(0)
	v_cmp_lt_i16_e64 s[12:13], v56, v55
	s_nop 1
	v_cndmask_b32_e64 v52, v52, v54, s[12:13]
	v_cndmask_b32_e64 v53, v57, v53, s[12:13]
	v_cmp_ge_i32_e64 s[12:13], v53, v52
	s_or_b64 s[16:17], s[12:13], s[16:17]
	s_andn2_b64 exec, exec, s[16:17]
	s_cbranch_execnz .LBB55_40
; %bb.41:                               ;   in Loop: Header=BB55_2 Depth=1
	s_or_b64 exec, exec, s[16:17]
.LBB55_42:                              ;   in Loop: Header=BB55_2 Depth=1
	s_or_b64 exec, exec, s[14:15]
	v_add_u32_e32 v52, v53, v10
	v_sub_u32_e32 v53, v30, v53
	ds_read_u8 v54, v52
	ds_read_u8 v55, v53
	v_cmp_le_i32_e64 s[14:15], v17, v52
	v_cmp_gt_i32_e64 s[12:13], v18, v53
                                        ; implicit-def: $vgpr56
	s_waitcnt lgkmcnt(1)
	v_bfe_i32 v54, v54, 0, 8
	s_waitcnt lgkmcnt(0)
	v_bfe_i32 v55, v55, 0, 8
	v_cmp_lt_i16_e64 s[16:17], v55, v54
	s_or_b64 s[14:15], s[14:15], s[16:17]
	s_and_b64 s[12:13], s[12:13], s[14:15]
	s_xor_b64 s[14:15], s[12:13], -1
	s_and_saveexec_b64 s[16:17], s[14:15]
	s_xor_b64 s[14:15], exec, s[16:17]
	s_cbranch_execz .LBB55_44
; %bb.43:                               ;   in Loop: Header=BB55_2 Depth=1
	ds_read_u8 v56, v52 offset:1
.LBB55_44:                              ;   in Loop: Header=BB55_2 Depth=1
	s_or_saveexec_b64 s[14:15], s[14:15]
	v_mov_b32_e32 v57, v55
	s_xor_b64 exec, exec, s[14:15]
	s_cbranch_execz .LBB55_46
; %bb.45:                               ;   in Loop: Header=BB55_2 Depth=1
	ds_read_u8 v57, v53 offset:1
	s_waitcnt lgkmcnt(1)
	v_mov_b32_e32 v56, v54
.LBB55_46:                              ;   in Loop: Header=BB55_2 Depth=1
	s_or_b64 exec, exec, s[14:15]
	v_add_u32_e32 v59, 1, v52
	v_add_u32_e32 v58, 1, v53
	v_cndmask_b32_e64 v59, v59, v52, s[12:13]
	v_cndmask_b32_e64 v58, v53, v58, s[12:13]
	v_cmp_ge_i32_e64 s[16:17], v59, v17
	s_waitcnt lgkmcnt(0)
	v_cmp_lt_i16_sdwa s[18:19], sext(v57), sext(v56) src0_sel:BYTE_0 src1_sel:BYTE_0
	v_cmp_lt_i32_e64 s[14:15], v58, v18
	s_or_b64 s[16:17], s[16:17], s[18:19]
	s_and_b64 s[14:15], s[14:15], s[16:17]
	s_xor_b64 s[16:17], s[14:15], -1
                                        ; implicit-def: $vgpr60
	s_and_saveexec_b64 s[18:19], s[16:17]
	s_xor_b64 s[16:17], exec, s[18:19]
	s_cbranch_execz .LBB55_48
; %bb.47:                               ;   in Loop: Header=BB55_2 Depth=1
	ds_read_u8 v60, v59 offset:1
.LBB55_48:                              ;   in Loop: Header=BB55_2 Depth=1
	s_or_saveexec_b64 s[16:17], s[16:17]
	v_mov_b32_e32 v61, v57
	s_xor_b64 exec, exec, s[16:17]
	s_cbranch_execz .LBB55_50
; %bb.49:                               ;   in Loop: Header=BB55_2 Depth=1
	ds_read_u8 v61, v58 offset:1
	s_waitcnt lgkmcnt(1)
	v_mov_b32_e32 v60, v56
.LBB55_50:                              ;   in Loop: Header=BB55_2 Depth=1
	s_or_b64 exec, exec, s[16:17]
	v_add_u32_e32 v62, 1, v59
	v_cndmask_b32_e64 v56, v56, v57, s[14:15]
	v_add_u32_e32 v57, 1, v58
	v_cndmask_b32_e64 v62, v62, v59, s[14:15]
	v_cndmask_b32_e64 v57, v58, v57, s[14:15]
	;; [unrolled: 1-line block ×3, first 2 shown]
	v_cmp_ge_i32_e64 s[14:15], v62, v17
	s_waitcnt lgkmcnt(0)
	v_cmp_lt_i16_sdwa s[16:17], sext(v61), sext(v60) src0_sel:BYTE_0 src1_sel:BYTE_0
	v_cndmask_b32_e64 v54, v54, v55, s[12:13]
	v_cndmask_b32_e64 v52, v52, v53, s[12:13]
	v_cmp_lt_i32_e64 s[12:13], v57, v18
	s_or_b64 s[14:15], s[14:15], s[16:17]
	s_and_b64 s[12:13], s[12:13], s[14:15]
	v_cndmask_b32_e64 v55, v62, v57, s[12:13]
	s_barrier
	ds_write_b8 v2, v50
	ds_write_b8 v2, v51 offset:1
	ds_write_b8 v2, v49 offset:2
	s_waitcnt lgkmcnt(0)
	s_barrier
	ds_read_u8 v49, v55
	ds_read_u8 v50, v52
	;; [unrolled: 1-line block ×3, first 2 shown]
	v_cndmask_b32_e64 v53, v60, v61, s[12:13]
	s_waitcnt lgkmcnt(0)
	s_barrier
	ds_write_b8 v2, v54
	ds_write_b8 v2, v56 offset:1
	ds_write_b8 v2, v53 offset:2
	v_mov_b32_e32 v53, v35
	s_waitcnt lgkmcnt(0)
	s_barrier
	s_and_saveexec_b64 s[14:15], s[6:7]
	s_cbranch_execz .LBB55_54
; %bb.51:                               ;   in Loop: Header=BB55_2 Depth=1
	s_mov_b64 s[16:17], 0
	v_mov_b32_e32 v53, v35
	v_mov_b32_e32 v52, v36
.LBB55_52:                              ;   Parent Loop BB55_2 Depth=1
                                        ; =>  This Inner Loop Header: Depth=2
	v_sub_u32_e32 v54, v52, v53
	v_lshrrev_b32_e32 v55, 31, v54
	v_add_u32_e32 v54, v54, v55
	v_ashrrev_i32_e32 v54, 1, v54
	v_add_u32_e32 v54, v54, v53
	v_not_b32_e32 v56, v54
	v_add_u32_e32 v55, v32, v54
	v_add3_u32 v56, v31, v56, v33
	ds_read_i8 v55, v55
	ds_read_i8 v56, v56
	v_add_u32_e32 v57, 1, v54
	s_waitcnt lgkmcnt(0)
	v_cmp_lt_i16_e64 s[12:13], v56, v55
	s_nop 1
	v_cndmask_b32_e64 v52, v52, v54, s[12:13]
	v_cndmask_b32_e64 v53, v57, v53, s[12:13]
	v_cmp_ge_i32_e64 s[12:13], v53, v52
	s_or_b64 s[16:17], s[12:13], s[16:17]
	s_andn2_b64 exec, exec, s[16:17]
	s_cbranch_execnz .LBB55_52
; %bb.53:                               ;   in Loop: Header=BB55_2 Depth=1
	s_or_b64 exec, exec, s[16:17]
.LBB55_54:                              ;   in Loop: Header=BB55_2 Depth=1
	s_or_b64 exec, exec, s[14:15]
	v_add_u32_e32 v52, v53, v32
	v_sub_u32_e32 v53, v37, v53
	ds_read_u8 v54, v52
	ds_read_u8 v55, v53
	v_cmp_le_i32_e64 s[14:15], v33, v52
	v_cmp_gt_i32_e64 s[12:13], v34, v53
                                        ; implicit-def: $vgpr56
	s_waitcnt lgkmcnt(1)
	v_bfe_i32 v54, v54, 0, 8
	s_waitcnt lgkmcnt(0)
	v_bfe_i32 v55, v55, 0, 8
	v_cmp_lt_i16_e64 s[16:17], v55, v54
	s_or_b64 s[14:15], s[14:15], s[16:17]
	s_and_b64 s[12:13], s[12:13], s[14:15]
	s_xor_b64 s[14:15], s[12:13], -1
	s_and_saveexec_b64 s[16:17], s[14:15]
	s_xor_b64 s[14:15], exec, s[16:17]
	s_cbranch_execz .LBB55_56
; %bb.55:                               ;   in Loop: Header=BB55_2 Depth=1
	ds_read_u8 v56, v52 offset:1
.LBB55_56:                              ;   in Loop: Header=BB55_2 Depth=1
	s_or_saveexec_b64 s[14:15], s[14:15]
	v_mov_b32_e32 v57, v55
	s_xor_b64 exec, exec, s[14:15]
	s_cbranch_execz .LBB55_58
; %bb.57:                               ;   in Loop: Header=BB55_2 Depth=1
	ds_read_u8 v57, v53 offset:1
	s_waitcnt lgkmcnt(1)
	v_mov_b32_e32 v56, v54
.LBB55_58:                              ;   in Loop: Header=BB55_2 Depth=1
	s_or_b64 exec, exec, s[14:15]
	v_add_u32_e32 v59, 1, v52
	v_add_u32_e32 v58, 1, v53
	v_cndmask_b32_e64 v59, v59, v52, s[12:13]
	v_cndmask_b32_e64 v58, v53, v58, s[12:13]
	v_cmp_ge_i32_e64 s[16:17], v59, v33
	s_waitcnt lgkmcnt(0)
	v_cmp_lt_i16_sdwa s[18:19], sext(v57), sext(v56) src0_sel:BYTE_0 src1_sel:BYTE_0
	v_cmp_lt_i32_e64 s[14:15], v58, v34
	s_or_b64 s[16:17], s[16:17], s[18:19]
	s_and_b64 s[14:15], s[14:15], s[16:17]
	s_xor_b64 s[16:17], s[14:15], -1
                                        ; implicit-def: $vgpr60
	s_and_saveexec_b64 s[18:19], s[16:17]
	s_xor_b64 s[16:17], exec, s[18:19]
	s_cbranch_execz .LBB55_60
; %bb.59:                               ;   in Loop: Header=BB55_2 Depth=1
	ds_read_u8 v60, v59 offset:1
.LBB55_60:                              ;   in Loop: Header=BB55_2 Depth=1
	s_or_saveexec_b64 s[16:17], s[16:17]
	v_mov_b32_e32 v61, v57
	s_xor_b64 exec, exec, s[16:17]
	s_cbranch_execz .LBB55_62
; %bb.61:                               ;   in Loop: Header=BB55_2 Depth=1
	ds_read_u8 v61, v58 offset:1
	s_waitcnt lgkmcnt(1)
	v_mov_b32_e32 v60, v56
.LBB55_62:                              ;   in Loop: Header=BB55_2 Depth=1
	s_or_b64 exec, exec, s[16:17]
	v_add_u32_e32 v62, 1, v59
	v_cndmask_b32_e64 v56, v56, v57, s[14:15]
	v_add_u32_e32 v57, 1, v58
	v_cndmask_b32_e64 v62, v62, v59, s[14:15]
	v_cndmask_b32_e64 v57, v58, v57, s[14:15]
	;; [unrolled: 1-line block ×3, first 2 shown]
	v_cmp_ge_i32_e64 s[14:15], v62, v33
	s_waitcnt lgkmcnt(0)
	v_cmp_lt_i16_sdwa s[16:17], sext(v61), sext(v60) src0_sel:BYTE_0 src1_sel:BYTE_0
	v_cndmask_b32_e64 v54, v54, v55, s[12:13]
	v_cndmask_b32_e64 v52, v52, v53, s[12:13]
	v_cmp_lt_i32_e64 s[12:13], v57, v34
	s_or_b64 s[14:15], s[14:15], s[16:17]
	s_and_b64 s[12:13], s[12:13], s[14:15]
	v_cndmask_b32_e64 v55, v62, v57, s[12:13]
	s_barrier
	ds_write_b8 v2, v50
	ds_write_b8 v2, v51 offset:1
	ds_write_b8 v2, v49 offset:2
	s_waitcnt lgkmcnt(0)
	s_barrier
	ds_read_u8 v49, v55
	ds_read_u8 v50, v52
	;; [unrolled: 1-line block ×3, first 2 shown]
	v_cndmask_b32_e64 v53, v60, v61, s[12:13]
	s_waitcnt lgkmcnt(0)
	s_barrier
	ds_write_b8 v2, v54
	ds_write_b8 v2, v56 offset:1
	ds_write_b8 v2, v53 offset:2
	v_mov_b32_e32 v53, v43
	s_waitcnt lgkmcnt(0)
	s_barrier
	s_and_saveexec_b64 s[14:15], s[8:9]
	s_cbranch_execz .LBB55_66
; %bb.63:                               ;   in Loop: Header=BB55_2 Depth=1
	s_mov_b64 s[16:17], 0
	v_mov_b32_e32 v53, v43
	v_mov_b32_e32 v52, v44
.LBB55_64:                              ;   Parent Loop BB55_2 Depth=1
                                        ; =>  This Inner Loop Header: Depth=2
	v_sub_u32_e32 v54, v52, v53
	v_lshrrev_b32_e32 v55, 31, v54
	v_add_u32_e32 v54, v54, v55
	v_ashrrev_i32_e32 v54, 1, v54
	v_add_u32_e32 v54, v54, v53
	v_not_b32_e32 v56, v54
	v_add_u32_e32 v55, v39, v54
	v_add3_u32 v56, v38, v56, v40
	ds_read_i8 v55, v55
	ds_read_i8 v56, v56
	v_add_u32_e32 v57, 1, v54
	s_waitcnt lgkmcnt(0)
	v_cmp_lt_i16_e64 s[12:13], v56, v55
	s_nop 1
	v_cndmask_b32_e64 v52, v52, v54, s[12:13]
	v_cndmask_b32_e64 v53, v57, v53, s[12:13]
	v_cmp_ge_i32_e64 s[12:13], v53, v52
	s_or_b64 s[16:17], s[12:13], s[16:17]
	s_andn2_b64 exec, exec, s[16:17]
	s_cbranch_execnz .LBB55_64
; %bb.65:                               ;   in Loop: Header=BB55_2 Depth=1
	s_or_b64 exec, exec, s[16:17]
.LBB55_66:                              ;   in Loop: Header=BB55_2 Depth=1
	s_or_b64 exec, exec, s[14:15]
	v_add_u32_e32 v52, v53, v39
	v_sub_u32_e32 v53, v45, v53
	ds_read_u8 v54, v52
	ds_read_u8 v55, v53
	v_cmp_le_i32_e64 s[14:15], v40, v52
	v_cmp_gt_i32_e64 s[12:13], v42, v53
                                        ; implicit-def: $vgpr56
	s_waitcnt lgkmcnt(1)
	v_bfe_i32 v54, v54, 0, 8
	s_waitcnt lgkmcnt(0)
	v_bfe_i32 v55, v55, 0, 8
	v_cmp_lt_i16_e64 s[16:17], v55, v54
	s_or_b64 s[14:15], s[14:15], s[16:17]
	s_and_b64 s[12:13], s[12:13], s[14:15]
	s_xor_b64 s[14:15], s[12:13], -1
	s_and_saveexec_b64 s[16:17], s[14:15]
	s_xor_b64 s[14:15], exec, s[16:17]
	s_cbranch_execz .LBB55_68
; %bb.67:                               ;   in Loop: Header=BB55_2 Depth=1
	ds_read_u8 v56, v52 offset:1
.LBB55_68:                              ;   in Loop: Header=BB55_2 Depth=1
	s_or_saveexec_b64 s[14:15], s[14:15]
	v_mov_b32_e32 v57, v55
	s_xor_b64 exec, exec, s[14:15]
	s_cbranch_execz .LBB55_70
; %bb.69:                               ;   in Loop: Header=BB55_2 Depth=1
	ds_read_u8 v57, v53 offset:1
	s_waitcnt lgkmcnt(1)
	v_mov_b32_e32 v56, v54
.LBB55_70:                              ;   in Loop: Header=BB55_2 Depth=1
	s_or_b64 exec, exec, s[14:15]
	v_add_u32_e32 v59, 1, v52
	v_add_u32_e32 v58, 1, v53
	v_cndmask_b32_e64 v59, v59, v52, s[12:13]
	v_cndmask_b32_e64 v58, v53, v58, s[12:13]
	v_cmp_ge_i32_e64 s[16:17], v59, v40
	s_waitcnt lgkmcnt(0)
	v_cmp_lt_i16_sdwa s[18:19], sext(v57), sext(v56) src0_sel:BYTE_0 src1_sel:BYTE_0
	v_cmp_lt_i32_e64 s[14:15], v58, v42
	s_or_b64 s[16:17], s[16:17], s[18:19]
	s_and_b64 s[14:15], s[14:15], s[16:17]
	s_xor_b64 s[16:17], s[14:15], -1
                                        ; implicit-def: $vgpr60
	s_and_saveexec_b64 s[18:19], s[16:17]
	s_xor_b64 s[16:17], exec, s[18:19]
	s_cbranch_execz .LBB55_72
; %bb.71:                               ;   in Loop: Header=BB55_2 Depth=1
	ds_read_u8 v60, v59 offset:1
.LBB55_72:                              ;   in Loop: Header=BB55_2 Depth=1
	s_or_saveexec_b64 s[16:17], s[16:17]
	v_mov_b32_e32 v61, v57
	s_xor_b64 exec, exec, s[16:17]
	s_cbranch_execz .LBB55_74
; %bb.73:                               ;   in Loop: Header=BB55_2 Depth=1
	ds_read_u8 v61, v58 offset:1
	s_waitcnt lgkmcnt(1)
	v_mov_b32_e32 v60, v56
.LBB55_74:                              ;   in Loop: Header=BB55_2 Depth=1
	s_or_b64 exec, exec, s[16:17]
	v_add_u32_e32 v62, 1, v59
	v_cndmask_b32_e64 v56, v56, v57, s[14:15]
	v_add_u32_e32 v57, 1, v58
	v_cndmask_b32_e64 v62, v62, v59, s[14:15]
	v_cndmask_b32_e64 v57, v58, v57, s[14:15]
	;; [unrolled: 1-line block ×3, first 2 shown]
	v_cmp_ge_i32_e64 s[14:15], v62, v40
	s_waitcnt lgkmcnt(0)
	v_cmp_lt_i16_sdwa s[16:17], sext(v61), sext(v60) src0_sel:BYTE_0 src1_sel:BYTE_0
	v_cndmask_b32_e64 v54, v54, v55, s[12:13]
	v_cndmask_b32_e64 v52, v52, v53, s[12:13]
	v_cmp_lt_i32_e64 s[12:13], v57, v42
	s_or_b64 s[14:15], s[14:15], s[16:17]
	s_and_b64 s[12:13], s[12:13], s[14:15]
	v_cndmask_b32_e64 v55, v62, v57, s[12:13]
	s_barrier
	ds_write_b8 v2, v50
	ds_write_b8 v2, v51 offset:1
	ds_write_b8 v2, v49 offset:2
	s_waitcnt lgkmcnt(0)
	s_barrier
	ds_read_u8 v49, v55
	ds_read_u8 v50, v52
	;; [unrolled: 1-line block ×3, first 2 shown]
	v_mov_b32_e32 v52, v46
	v_cndmask_b32_e64 v53, v60, v61, s[12:13]
	s_waitcnt lgkmcnt(0)
	s_barrier
	ds_write_b8 v2, v54
	ds_write_b8 v2, v56 offset:1
	ds_write_b8 v2, v53 offset:2
	s_waitcnt lgkmcnt(0)
	s_barrier
	s_and_saveexec_b64 s[14:15], s[10:11]
	s_cbranch_execz .LBB55_78
; %bb.75:                               ;   in Loop: Header=BB55_2 Depth=1
	s_mov_b64 s[16:17], 0
	v_mov_b32_e32 v52, v46
	v_mov_b32_e32 v53, v47
.LBB55_76:                              ;   Parent Loop BB55_2 Depth=1
                                        ; =>  This Inner Loop Header: Depth=2
	v_sub_u32_e32 v54, v53, v52
	v_lshrrev_b32_e32 v55, 31, v54
	v_add_u32_e32 v54, v54, v55
	v_ashrrev_i32_e32 v54, 1, v54
	v_add_u32_e32 v54, v54, v52
	v_not_b32_e32 v55, v54
	v_add3_u32 v55, v2, v55, v41
	ds_read_i8 v56, v54
	ds_read_i8 v55, v55
	v_add_u32_e32 v57, 1, v54
	s_waitcnt lgkmcnt(0)
	v_cmp_lt_i16_e64 s[12:13], v55, v56
	s_nop 1
	v_cndmask_b32_e64 v53, v53, v54, s[12:13]
	v_cndmask_b32_e64 v52, v57, v52, s[12:13]
	v_cmp_ge_i32_e64 s[12:13], v52, v53
	s_or_b64 s[16:17], s[12:13], s[16:17]
	s_andn2_b64 exec, exec, s[16:17]
	s_cbranch_execnz .LBB55_76
; %bb.77:                               ;   in Loop: Header=BB55_2 Depth=1
	s_or_b64 exec, exec, s[16:17]
.LBB55_78:                              ;   in Loop: Header=BB55_2 Depth=1
	s_or_b64 exec, exec, s[14:15]
	v_sub_u32_e32 v53, v48, v52
	ds_read_u8 v54, v52
	ds_read_u8 v55, v53
	v_cmp_le_i32_e64 s[14:15], v41, v52
	v_cmp_gt_i32_e64 s[12:13], s24, v53
                                        ; implicit-def: $vgpr56
	s_waitcnt lgkmcnt(1)
	v_bfe_i32 v54, v54, 0, 8
	s_waitcnt lgkmcnt(0)
	v_bfe_i32 v55, v55, 0, 8
	v_cmp_lt_i16_e64 s[16:17], v55, v54
	s_or_b64 s[14:15], s[14:15], s[16:17]
	s_and_b64 s[12:13], s[12:13], s[14:15]
	s_xor_b64 s[14:15], s[12:13], -1
	s_and_saveexec_b64 s[16:17], s[14:15]
	s_xor_b64 s[14:15], exec, s[16:17]
	s_cbranch_execz .LBB55_80
; %bb.79:                               ;   in Loop: Header=BB55_2 Depth=1
	ds_read_u8 v56, v52 offset:1
.LBB55_80:                              ;   in Loop: Header=BB55_2 Depth=1
	s_or_saveexec_b64 s[14:15], s[14:15]
	v_mov_b32_e32 v57, v55
	s_xor_b64 exec, exec, s[14:15]
	s_cbranch_execz .LBB55_82
; %bb.81:                               ;   in Loop: Header=BB55_2 Depth=1
	ds_read_u8 v57, v53 offset:1
	s_waitcnt lgkmcnt(1)
	v_mov_b32_e32 v56, v54
.LBB55_82:                              ;   in Loop: Header=BB55_2 Depth=1
	s_or_b64 exec, exec, s[14:15]
	v_add_u32_e32 v59, 1, v52
	v_add_u32_e32 v58, 1, v53
	v_cndmask_b32_e64 v61, v59, v52, s[12:13]
	v_cndmask_b32_e64 v58, v53, v58, s[12:13]
	v_cmp_ge_i32_e64 s[16:17], v61, v41
	s_waitcnt lgkmcnt(0)
	v_cmp_lt_i16_sdwa s[18:19], sext(v57), sext(v56) src0_sel:BYTE_0 src1_sel:BYTE_0
	v_cmp_gt_i32_e64 s[14:15], s24, v58
	s_or_b64 s[16:17], s[16:17], s[18:19]
	s_and_b64 s[14:15], s[14:15], s[16:17]
	s_xor_b64 s[16:17], s[14:15], -1
                                        ; implicit-def: $vgpr60
                                        ; implicit-def: $vgpr59
	s_and_saveexec_b64 s[18:19], s[16:17]
	s_xor_b64 s[16:17], exec, s[18:19]
	s_cbranch_execz .LBB55_84
; %bb.83:                               ;   in Loop: Header=BB55_2 Depth=1
	ds_read_u8 v60, v61 offset:1
	v_add_u32_e32 v59, 1, v61
.LBB55_84:                              ;   in Loop: Header=BB55_2 Depth=1
	s_or_saveexec_b64 s[16:17], s[16:17]
	v_mov_b32_e32 v62, v61
	v_mov_b32_e32 v63, v57
	s_xor_b64 exec, exec, s[16:17]
	s_cbranch_execz .LBB55_1
; %bb.85:                               ;   in Loop: Header=BB55_2 Depth=1
	ds_read_u8 v63, v58 offset:1
	s_waitcnt lgkmcnt(1)
	v_add_u32_e32 v60, 1, v58
	v_mov_b32_e32 v62, v58
	v_mov_b32_e32 v59, v61
	;; [unrolled: 1-line block ×4, first 2 shown]
	s_branch .LBB55_1
.LBB55_86:
	s_add_u32 s0, s26, s28
	s_addc_u32 s1, s27, 0
	v_add_u16_e32 v2, v54, v56
	v_lshl_add_u64 v[0:1], s[0:1], 0, v[0:1]
	v_add_u16_e32 v3, v55, v51
	v_add_u16_e32 v4, v52, v53
	global_store_byte v[0:1], v2, off
	global_store_byte v[0:1], v3, off offset:128
	global_store_byte v[0:1], v4, off offset:256
	s_endpgm
	.section	.rodata,"a",@progbits
	.p2align	6, 0x0
	.amdhsa_kernel _Z17sort_pairs_kernelIaLj128ELj3EN10test_utils4lessELj10EEvPKT_PS2_T2_
		.amdhsa_group_segment_fixed_size 385
		.amdhsa_private_segment_fixed_size 0
		.amdhsa_kernarg_size 20
		.amdhsa_user_sgpr_count 2
		.amdhsa_user_sgpr_dispatch_ptr 0
		.amdhsa_user_sgpr_queue_ptr 0
		.amdhsa_user_sgpr_kernarg_segment_ptr 1
		.amdhsa_user_sgpr_dispatch_id 0
		.amdhsa_user_sgpr_kernarg_preload_length 0
		.amdhsa_user_sgpr_kernarg_preload_offset 0
		.amdhsa_user_sgpr_private_segment_size 0
		.amdhsa_uses_dynamic_stack 0
		.amdhsa_enable_private_segment 0
		.amdhsa_system_sgpr_workgroup_id_x 1
		.amdhsa_system_sgpr_workgroup_id_y 0
		.amdhsa_system_sgpr_workgroup_id_z 0
		.amdhsa_system_sgpr_workgroup_info 0
		.amdhsa_system_vgpr_workitem_id 0
		.amdhsa_next_free_vgpr 64
		.amdhsa_next_free_sgpr 36
		.amdhsa_accum_offset 64
		.amdhsa_reserve_vcc 1
		.amdhsa_float_round_mode_32 0
		.amdhsa_float_round_mode_16_64 0
		.amdhsa_float_denorm_mode_32 3
		.amdhsa_float_denorm_mode_16_64 3
		.amdhsa_dx10_clamp 1
		.amdhsa_ieee_mode 1
		.amdhsa_fp16_overflow 0
		.amdhsa_tg_split 0
		.amdhsa_exception_fp_ieee_invalid_op 0
		.amdhsa_exception_fp_denorm_src 0
		.amdhsa_exception_fp_ieee_div_zero 0
		.amdhsa_exception_fp_ieee_overflow 0
		.amdhsa_exception_fp_ieee_underflow 0
		.amdhsa_exception_fp_ieee_inexact 0
		.amdhsa_exception_int_div_zero 0
	.end_amdhsa_kernel
	.section	.text._Z17sort_pairs_kernelIaLj128ELj3EN10test_utils4lessELj10EEvPKT_PS2_T2_,"axG",@progbits,_Z17sort_pairs_kernelIaLj128ELj3EN10test_utils4lessELj10EEvPKT_PS2_T2_,comdat
.Lfunc_end55:
	.size	_Z17sort_pairs_kernelIaLj128ELj3EN10test_utils4lessELj10EEvPKT_PS2_T2_, .Lfunc_end55-_Z17sort_pairs_kernelIaLj128ELj3EN10test_utils4lessELj10EEvPKT_PS2_T2_
                                        ; -- End function
	.section	.AMDGPU.csdata,"",@progbits
; Kernel info:
; codeLenInByte = 5380
; NumSgprs: 42
; NumVgprs: 64
; NumAgprs: 0
; TotalNumVgprs: 64
; ScratchSize: 0
; MemoryBound: 0
; FloatMode: 240
; IeeeMode: 1
; LDSByteSize: 385 bytes/workgroup (compile time only)
; SGPRBlocks: 5
; VGPRBlocks: 7
; NumSGPRsForWavesPerEU: 42
; NumVGPRsForWavesPerEU: 64
; AccumOffset: 64
; Occupancy: 8
; WaveLimiterHint : 1
; COMPUTE_PGM_RSRC2:SCRATCH_EN: 0
; COMPUTE_PGM_RSRC2:USER_SGPR: 2
; COMPUTE_PGM_RSRC2:TRAP_HANDLER: 0
; COMPUTE_PGM_RSRC2:TGID_X_EN: 1
; COMPUTE_PGM_RSRC2:TGID_Y_EN: 0
; COMPUTE_PGM_RSRC2:TGID_Z_EN: 0
; COMPUTE_PGM_RSRC2:TIDIG_COMP_CNT: 0
; COMPUTE_PGM_RSRC3_GFX90A:ACCUM_OFFSET: 15
; COMPUTE_PGM_RSRC3_GFX90A:TG_SPLIT: 0
	.section	.text._Z16sort_keys_kernelIaLj128ELj4EN10test_utils4lessELj10EEvPKT_PS2_T2_,"axG",@progbits,_Z16sort_keys_kernelIaLj128ELj4EN10test_utils4lessELj10EEvPKT_PS2_T2_,comdat
	.protected	_Z16sort_keys_kernelIaLj128ELj4EN10test_utils4lessELj10EEvPKT_PS2_T2_ ; -- Begin function _Z16sort_keys_kernelIaLj128ELj4EN10test_utils4lessELj10EEvPKT_PS2_T2_
	.globl	_Z16sort_keys_kernelIaLj128ELj4EN10test_utils4lessELj10EEvPKT_PS2_T2_
	.p2align	8
	.type	_Z16sort_keys_kernelIaLj128ELj4EN10test_utils4lessELj10EEvPKT_PS2_T2_,@function
_Z16sort_keys_kernelIaLj128ELj4EN10test_utils4lessELj10EEvPKT_PS2_T2_: ; @_Z16sort_keys_kernelIaLj128ELj4EN10test_utils4lessELj10EEvPKT_PS2_T2_
; %bb.0:
	s_load_dwordx4 s[20:23], s[0:1], 0x0
	s_lshl_b32 s24, s2, 9
	v_lshlrev_b32_e32 v3, 2, v0
	v_and_b32_e32 v4, 0x1f8, v3
	v_and_b32_e32 v6, 0x1f0, v3
	s_waitcnt lgkmcnt(0)
	s_add_u32 s0, s20, s24
	s_addc_u32 s1, s21, 0
	global_load_ubyte v45, v0, s[0:1] offset:128
	global_load_ubyte v46, v0, s[0:1] offset:384
	global_load_ubyte v47, v0, s[0:1]
	global_load_ubyte v48, v0, s[0:1] offset:256
	v_or_b32_e32 v16, 4, v4
	v_add_u32_e32 v17, 8, v4
	v_and_b32_e32 v5, 4, v3
	v_and_b32_e32 v8, 0x1e0, v3
	v_or_b32_e32 v18, 8, v6
	v_add_u32_e32 v19, 16, v6
	v_sub_u32_e32 v39, v17, v16
	v_and_b32_e32 v7, 12, v3
	v_and_b32_e32 v10, 0x1c0, v3
	v_or_b32_e32 v20, 16, v8
	v_add_u32_e32 v21, 32, v8
	v_sub_u32_e32 v40, v19, v18
	v_sub_u32_e32 v49, v5, v39
	v_cmp_ge_i32_e32 vcc, v5, v39
	v_and_b32_e32 v9, 28, v3
	v_and_b32_e32 v12, 0x180, v3
	v_or_b32_e32 v22, 32, v10
	v_add_u32_e32 v23, 64, v10
	v_sub_u32_e32 v41, v21, v20
	v_sub_u32_e32 v50, v7, v40
	v_cndmask_b32_e32 v39, 0, v49, vcc
	v_cmp_ge_i32_e32 vcc, v7, v40
	v_and_b32_e32 v11, 60, v3
	v_and_b32_e32 v14, 0x100, v3
	v_or_b32_e32 v24, 64, v12
	v_add_u32_e32 v25, 0x80, v12
	v_sub_u32_e32 v42, v23, v22
	v_sub_u32_e32 v51, v9, v41
	v_cndmask_b32_e32 v40, 0, v50, vcc
	v_cmp_ge_i32_e32 vcc, v9, v41
	v_and_b32_e32 v13, 0x7c, v3
	v_or_b32_e32 v26, 0x80, v14
	v_add_u32_e32 v27, 0x100, v14
	v_sub_u32_e32 v43, v25, v24
	v_sub_u32_e32 v52, v11, v42
	v_cndmask_b32_e32 v41, 0, v51, vcc
	v_cmp_ge_i32_e32 vcc, v11, v42
	v_and_b32_e32 v15, 0xfc, v3
	v_sub_u32_e32 v44, v27, v26
	v_sub_u32_e32 v53, v13, v43
	v_cndmask_b32_e32 v42, 0, v52, vcc
	v_cmp_ge_i32_e32 vcc, v13, v43
	v_mov_b32_e32 v2, 0x100
	v_sub_u32_e32 v33, v16, v4
	v_sub_u32_e32 v34, v18, v6
	v_sub_u32_e32 v35, v20, v8
	v_sub_u32_e32 v36, v22, v10
	v_sub_u32_e32 v37, v24, v12
	v_sub_u32_e32 v38, v26, v14
	v_sub_u32_e32 v54, v15, v44
	v_cndmask_b32_e32 v43, 0, v53, vcc
	v_cmp_ge_i32_e32 vcc, v15, v44
	v_min_i32_e32 v33, v5, v33
	v_min_i32_e32 v34, v7, v34
	;; [unrolled: 1-line block ×6, first 2 shown]
	v_cndmask_b32_e32 v44, 0, v54, vcc
	s_mov_b32 s20, 0
	v_mov_b32_e32 v1, 0
	s_mov_b32 s21, 0xffff
	v_add_u32_e32 v28, v16, v5
	v_add_u32_e32 v29, v18, v7
	;; [unrolled: 1-line block ×5, first 2 shown]
	v_cmp_lt_i32_e32 vcc, v39, v33
	v_cmp_lt_i32_e64 s[0:1], v40, v34
	v_cmp_lt_i32_e64 s[2:3], v41, v35
	;; [unrolled: 1-line block ×5, first 2 shown]
	s_mov_b32 s25, 0x7060405
	s_mov_b32 s26, 0xc0c0001
	s_movk_i32 s27, 0xff00
	s_waitcnt vmcnt(3)
	v_lshlrev_b16_e32 v45, 8, v45
	s_waitcnt vmcnt(2)
	v_lshlrev_b16_e32 v46, 8, v46
	s_waitcnt vmcnt(1)
	v_or_b32_e32 v45, v47, v45
	s_waitcnt vmcnt(0)
	v_or_b32_sdwa v46, v48, v46 dst_sel:WORD_1 dst_unused:UNUSED_PAD src0_sel:DWORD src1_sel:DWORD
	v_min_i32_e32 v47, 0x100, v3
	v_or_b32_sdwa v49, v45, v46 dst_sel:DWORD dst_unused:UNUSED_PAD src0_sel:WORD_0 src1_sel:DWORD
	v_sub_u32_e64 v46, v3, v2 clamp
	v_add_u32_e32 v45, v26, v15
	v_cmp_lt_i32_e64 s[10:11], v46, v47
	v_add_u32_e32 v48, 0x100, v3
	s_mov_b32 s28, 0xffff0000
	s_movk_i32 s29, 0x200
	s_branch .LBB56_2
.LBB56_1:                               ;   in Loop: Header=BB56_2 Depth=1
	s_or_b64 exec, exec, s[18:19]
	v_cndmask_b32_e64 v51, v51, v52, s[14:15]
	v_cndmask_b32_e64 v52, v53, v54, s[16:17]
	v_cmp_ge_i32_e64 s[14:15], v57, v2
	s_waitcnt lgkmcnt(0)
	v_cmp_lt_i16_sdwa s[16:17], sext(v59), sext(v56) src0_sel:BYTE_0 src1_sel:BYTE_0
	v_cndmask_b32_e64 v50, v49, v50, s[12:13]
	v_cmp_gt_i32_e64 s[12:13], s29, v55
	s_or_b64 s[14:15], s[14:15], s[16:17]
	s_and_b64 s[12:13], s[12:13], s[14:15]
	v_cndmask_b32_e64 v53, v56, v59, s[12:13]
	v_lshlrev_b16_e32 v49, 8, v51
	v_lshlrev_b16_e32 v54, 8, v53
	v_or_b32_sdwa v49, v50, v49 dst_sel:DWORD dst_unused:UNUSED_PAD src0_sel:BYTE_0 src1_sel:DWORD
	v_or_b32_sdwa v54, v52, v54 dst_sel:WORD_1 dst_unused:UNUSED_PAD src0_sel:BYTE_0 src1_sel:DWORD
	s_add_i32 s20, s20, 1
	s_cmp_eq_u32 s20, 10
	v_or_b32_sdwa v49, v49, v54 dst_sel:DWORD dst_unused:UNUSED_PAD src0_sel:WORD_0 src1_sel:DWORD
	s_cbranch_scc1 .LBB56_114
.LBB56_2:                               ; =>This Loop Header: Depth=1
                                        ;     Child Loop BB56_4 Depth 2
                                        ;     Child Loop BB56_20 Depth 2
	;; [unrolled: 1-line block ×7, first 2 shown]
	v_lshrrev_b32_e32 v51, 8, v49
	v_perm_b32 v50, v49, v49, s25
	v_cmp_lt_i16_sdwa s[12:13], sext(v51), sext(v49) src0_sel:BYTE_0 src1_sel:BYTE_0
	v_min_i16_sdwa v54, sext(v51), sext(v49) dst_sel:DWORD dst_unused:UNUSED_PAD src0_sel:BYTE_0 src1_sel:BYTE_0
	s_nop 0
	v_cndmask_b32_e64 v50, v49, v50, s[12:13]
	v_lshrrev_b32_e32 v52, 16, v50
	v_perm_b32 v53, 0, v52, s26
	v_max_i16_sdwa v49, sext(v51), sext(v49) dst_sel:DWORD dst_unused:UNUSED_PAD src0_sel:BYTE_0 src1_sel:BYTE_0
	v_lshrrev_b32_e32 v51, 24, v50
	v_lshlrev_b32_e32 v53, 16, v53
	v_and_or_b32 v53, v50, s21, v53
	v_cmp_lt_i16_sdwa s[12:13], sext(v51), sext(v52) src0_sel:BYTE_0 src1_sel:BYTE_0
	v_max_i16_sdwa v55, sext(v51), sext(v52) dst_sel:DWORD dst_unused:UNUSED_PAD src0_sel:BYTE_0 src1_sel:BYTE_0
	v_min_i16_sdwa v51, sext(v51), sext(v52) dst_sel:DWORD dst_unused:UNUSED_PAD src0_sel:BYTE_0 src1_sel:BYTE_0
	v_cndmask_b32_e64 v50, v50, v53, s[12:13]
	v_and_b32_sdwa v53, v50, s27 dst_sel:DWORD dst_unused:UNUSED_PAD src0_sel:WORD_1 src1_sel:DWORD
	v_lshlrev_b16_e32 v52, 8, v51
	v_or_b32_sdwa v53, v49, v53 dst_sel:WORD_1 dst_unused:UNUSED_PAD src0_sel:BYTE_0 src1_sel:DWORD
	v_or_b32_sdwa v52, v50, v52 dst_sel:DWORD dst_unused:UNUSED_PAD src0_sel:BYTE_0 src1_sel:DWORD
	v_or_b32_sdwa v52, v52, v53 dst_sel:DWORD dst_unused:UNUSED_PAD src0_sel:WORD_0 src1_sel:DWORD
	v_cmp_lt_i16_e64 s[12:13], v51, v49
	v_lshlrev_b16_e32 v53, 8, v54
	v_max_i16_e32 v56, v51, v49
	v_cndmask_b32_e64 v50, v50, v52, s[12:13]
	v_min_i16_e32 v52, v51, v49
	v_or_b32_sdwa v53, v52, v53 dst_sel:DWORD dst_unused:UNUSED_PAD src0_sel:BYTE_0 src1_sel:DWORD
	v_and_b32_e32 v53, 0xffff, v53
	v_cmp_lt_i16_e64 s[12:13], v51, v54
	v_and_or_b32 v53, v50, s28, v53
	s_barrier
	v_cndmask_b32_e64 v51, v52, v54, s[12:13]
	v_lshlrev_b16_e32 v52, 8, v56
	v_cndmask_b32_e64 v50, v50, v53, s[12:13]
	v_or_b32_sdwa v52, v55, v52 dst_sel:WORD_1 dst_unused:UNUSED_PAD src0_sel:BYTE_0 src1_sel:DWORD
	v_cmp_gt_i16_e64 s[12:13], v49, v55
	v_and_or_b32 v52, v50, s21, v52
	s_nop 0
	v_cndmask_b32_e64 v49, v50, v52, s[12:13]
	v_cndmask_b32_e64 v52, v56, v55, s[12:13]
	v_and_b32_sdwa v50, v49, s27 dst_sel:DWORD dst_unused:UNUSED_PAD src0_sel:WORD_1 src1_sel:DWORD
	v_lshlrev_b16_e32 v53, 8, v52
	v_or_b32_sdwa v50, v51, v50 dst_sel:WORD_1 dst_unused:UNUSED_PAD src0_sel:BYTE_0 src1_sel:DWORD
	v_or_b32_sdwa v53, v49, v53 dst_sel:DWORD dst_unused:UNUSED_PAD src0_sel:BYTE_0 src1_sel:DWORD
	v_or_b32_sdwa v50, v53, v50 dst_sel:DWORD dst_unused:UNUSED_PAD src0_sel:WORD_0 src1_sel:DWORD
	v_cmp_lt_i16_e64 s[12:13], v52, v51
	s_nop 1
	v_cndmask_b32_e64 v49, v49, v50, s[12:13]
	ds_write_b32 v3, v49
	v_mov_b32_e32 v49, v39
	s_waitcnt lgkmcnt(0)
	s_barrier
	s_and_saveexec_b64 s[14:15], vcc
	s_cbranch_execz .LBB56_6
; %bb.3:                                ;   in Loop: Header=BB56_2 Depth=1
	s_mov_b64 s[16:17], 0
	v_mov_b32_e32 v49, v39
	v_mov_b32_e32 v50, v33
.LBB56_4:                               ;   Parent Loop BB56_2 Depth=1
                                        ; =>  This Inner Loop Header: Depth=2
	v_sub_u32_e32 v51, v50, v49
	v_lshrrev_b32_e32 v52, 31, v51
	v_add_u32_e32 v51, v51, v52
	v_ashrrev_i32_e32 v51, 1, v51
	v_add_u32_e32 v51, v51, v49
	v_not_b32_e32 v53, v51
	v_add_u32_e32 v52, v4, v51
	v_add3_u32 v53, v5, v53, v16
	ds_read_i8 v52, v52
	ds_read_i8 v53, v53
	v_add_u32_e32 v54, 1, v51
	s_waitcnt lgkmcnt(0)
	v_cmp_lt_i16_e64 s[12:13], v53, v52
	s_nop 1
	v_cndmask_b32_e64 v50, v50, v51, s[12:13]
	v_cndmask_b32_e64 v49, v54, v49, s[12:13]
	v_cmp_ge_i32_e64 s[12:13], v49, v50
	s_or_b64 s[16:17], s[12:13], s[16:17]
	s_andn2_b64 exec, exec, s[16:17]
	s_cbranch_execnz .LBB56_4
; %bb.5:                                ;   in Loop: Header=BB56_2 Depth=1
	s_or_b64 exec, exec, s[16:17]
.LBB56_6:                               ;   in Loop: Header=BB56_2 Depth=1
	s_or_b64 exec, exec, s[14:15]
	v_add_u32_e32 v53, v49, v4
	v_sub_u32_e32 v54, v28, v49
	ds_read_u8 v49, v53
	ds_read_u8 v50, v54
	v_cmp_le_i32_e64 s[14:15], v16, v53
	v_cmp_gt_i32_e64 s[12:13], v17, v54
                                        ; implicit-def: $vgpr51
	s_waitcnt lgkmcnt(1)
	v_bfe_i32 v49, v49, 0, 8
	s_waitcnt lgkmcnt(0)
	v_bfe_i32 v50, v50, 0, 8
	v_cmp_lt_i16_e64 s[16:17], v50, v49
	s_or_b64 s[14:15], s[14:15], s[16:17]
	s_and_b64 s[12:13], s[12:13], s[14:15]
	s_xor_b64 s[14:15], s[12:13], -1
	s_and_saveexec_b64 s[16:17], s[14:15]
	s_xor_b64 s[14:15], exec, s[16:17]
	s_cbranch_execz .LBB56_8
; %bb.7:                                ;   in Loop: Header=BB56_2 Depth=1
	ds_read_u8 v51, v53 offset:1
.LBB56_8:                               ;   in Loop: Header=BB56_2 Depth=1
	s_or_saveexec_b64 s[14:15], s[14:15]
	v_mov_b32_e32 v52, v50
	s_xor_b64 exec, exec, s[14:15]
	s_cbranch_execz .LBB56_10
; %bb.9:                                ;   in Loop: Header=BB56_2 Depth=1
	ds_read_u8 v52, v54 offset:1
	s_waitcnt lgkmcnt(1)
	v_mov_b32_e32 v51, v49
.LBB56_10:                              ;   in Loop: Header=BB56_2 Depth=1
	s_or_b64 exec, exec, s[14:15]
	v_add_u32_e32 v56, 1, v53
	v_add_u32_e32 v55, 1, v54
	v_cndmask_b32_e64 v56, v56, v53, s[12:13]
	v_cndmask_b32_e64 v55, v54, v55, s[12:13]
	v_cmp_ge_i32_e64 s[16:17], v56, v16
	s_waitcnt lgkmcnt(0)
	v_cmp_lt_i16_sdwa s[18:19], sext(v52), sext(v51) src0_sel:BYTE_0 src1_sel:BYTE_0
	v_cmp_lt_i32_e64 s[14:15], v55, v17
	s_or_b64 s[16:17], s[16:17], s[18:19]
	s_and_b64 s[14:15], s[14:15], s[16:17]
	s_xor_b64 s[16:17], s[14:15], -1
                                        ; implicit-def: $vgpr53
	s_and_saveexec_b64 s[18:19], s[16:17]
	s_xor_b64 s[16:17], exec, s[18:19]
	s_cbranch_execz .LBB56_12
; %bb.11:                               ;   in Loop: Header=BB56_2 Depth=1
	ds_read_u8 v53, v56 offset:1
.LBB56_12:                              ;   in Loop: Header=BB56_2 Depth=1
	s_or_saveexec_b64 s[16:17], s[16:17]
	v_mov_b32_e32 v54, v52
	s_xor_b64 exec, exec, s[16:17]
	s_cbranch_execz .LBB56_14
; %bb.13:                               ;   in Loop: Header=BB56_2 Depth=1
	ds_read_u8 v54, v55 offset:1
	s_waitcnt lgkmcnt(1)
	v_mov_b32_e32 v53, v51
.LBB56_14:                              ;   in Loop: Header=BB56_2 Depth=1
	s_or_b64 exec, exec, s[16:17]
	v_add_u32_e32 v58, 1, v56
	v_add_u32_e32 v57, 1, v55
	v_cndmask_b32_e64 v56, v58, v56, s[14:15]
	v_cndmask_b32_e64 v55, v55, v57, s[14:15]
	v_cmp_ge_i32_e64 s[18:19], v56, v16
	s_waitcnt lgkmcnt(0)
	v_cmp_lt_i16_sdwa s[30:31], sext(v54), sext(v53) src0_sel:BYTE_0 src1_sel:BYTE_0
	v_cmp_lt_i32_e64 s[16:17], v55, v17
	s_or_b64 s[18:19], s[18:19], s[30:31]
	s_and_b64 s[16:17], s[16:17], s[18:19]
	s_xor_b64 s[18:19], s[16:17], -1
                                        ; implicit-def: $vgpr57
	s_and_saveexec_b64 s[30:31], s[18:19]
	s_xor_b64 s[18:19], exec, s[30:31]
	s_cbranch_execz .LBB56_16
; %bb.15:                               ;   in Loop: Header=BB56_2 Depth=1
	ds_read_u8 v57, v56 offset:1
.LBB56_16:                              ;   in Loop: Header=BB56_2 Depth=1
	s_or_saveexec_b64 s[18:19], s[18:19]
	v_mov_b32_e32 v58, v54
	s_xor_b64 exec, exec, s[18:19]
	s_cbranch_execz .LBB56_18
; %bb.17:                               ;   in Loop: Header=BB56_2 Depth=1
	ds_read_u8 v58, v55 offset:1
	s_waitcnt lgkmcnt(1)
	v_mov_b32_e32 v57, v53
.LBB56_18:                              ;   in Loop: Header=BB56_2 Depth=1
	s_or_b64 exec, exec, s[18:19]
	v_cndmask_b32_e64 v53, v53, v54, s[16:17]
	v_add_u32_e32 v54, 1, v55
	v_add_u32_e32 v59, 1, v56
	v_cndmask_b32_e64 v54, v55, v54, s[16:17]
	v_cndmask_b32_e64 v55, v59, v56, s[16:17]
	;; [unrolled: 1-line block ×3, first 2 shown]
	v_cmp_ge_i32_e64 s[14:15], v55, v16
	s_waitcnt lgkmcnt(0)
	v_cmp_lt_i16_sdwa s[16:17], sext(v58), sext(v57) src0_sel:BYTE_0 src1_sel:BYTE_0
	v_cndmask_b32_e64 v49, v49, v50, s[12:13]
	v_cmp_lt_i32_e64 s[12:13], v54, v17
	s_or_b64 s[14:15], s[14:15], s[16:17]
	s_and_b64 s[12:13], s[12:13], s[14:15]
	v_cndmask_b32_e64 v50, v57, v58, s[12:13]
	s_barrier
	ds_write_b8 v3, v49
	ds_write_b8 v3, v51 offset:1
	ds_write_b8 v3, v53 offset:2
	;; [unrolled: 1-line block ×3, first 2 shown]
	v_mov_b32_e32 v49, v40
	s_waitcnt lgkmcnt(0)
	s_barrier
	s_and_saveexec_b64 s[14:15], s[0:1]
	s_cbranch_execz .LBB56_22
; %bb.19:                               ;   in Loop: Header=BB56_2 Depth=1
	s_mov_b64 s[16:17], 0
	v_mov_b32_e32 v49, v40
	v_mov_b32_e32 v50, v34
.LBB56_20:                              ;   Parent Loop BB56_2 Depth=1
                                        ; =>  This Inner Loop Header: Depth=2
	v_sub_u32_e32 v51, v50, v49
	v_lshrrev_b32_e32 v52, 31, v51
	v_add_u32_e32 v51, v51, v52
	v_ashrrev_i32_e32 v51, 1, v51
	v_add_u32_e32 v51, v51, v49
	v_not_b32_e32 v53, v51
	v_add_u32_e32 v52, v6, v51
	v_add3_u32 v53, v7, v53, v18
	ds_read_i8 v52, v52
	ds_read_i8 v53, v53
	v_add_u32_e32 v54, 1, v51
	s_waitcnt lgkmcnt(0)
	v_cmp_lt_i16_e64 s[12:13], v53, v52
	s_nop 1
	v_cndmask_b32_e64 v50, v50, v51, s[12:13]
	v_cndmask_b32_e64 v49, v54, v49, s[12:13]
	v_cmp_ge_i32_e64 s[12:13], v49, v50
	s_or_b64 s[16:17], s[12:13], s[16:17]
	s_andn2_b64 exec, exec, s[16:17]
	s_cbranch_execnz .LBB56_20
; %bb.21:                               ;   in Loop: Header=BB56_2 Depth=1
	s_or_b64 exec, exec, s[16:17]
.LBB56_22:                              ;   in Loop: Header=BB56_2 Depth=1
	s_or_b64 exec, exec, s[14:15]
	v_add_u32_e32 v53, v49, v6
	v_sub_u32_e32 v54, v29, v49
	ds_read_u8 v49, v53
	ds_read_u8 v50, v54
	v_cmp_le_i32_e64 s[14:15], v18, v53
	v_cmp_gt_i32_e64 s[12:13], v19, v54
                                        ; implicit-def: $vgpr51
	s_waitcnt lgkmcnt(1)
	v_bfe_i32 v49, v49, 0, 8
	s_waitcnt lgkmcnt(0)
	v_bfe_i32 v50, v50, 0, 8
	v_cmp_lt_i16_e64 s[16:17], v50, v49
	s_or_b64 s[14:15], s[14:15], s[16:17]
	s_and_b64 s[12:13], s[12:13], s[14:15]
	s_xor_b64 s[14:15], s[12:13], -1
	s_and_saveexec_b64 s[16:17], s[14:15]
	s_xor_b64 s[14:15], exec, s[16:17]
	s_cbranch_execz .LBB56_24
; %bb.23:                               ;   in Loop: Header=BB56_2 Depth=1
	ds_read_u8 v51, v53 offset:1
.LBB56_24:                              ;   in Loop: Header=BB56_2 Depth=1
	s_or_saveexec_b64 s[14:15], s[14:15]
	v_mov_b32_e32 v52, v50
	s_xor_b64 exec, exec, s[14:15]
	s_cbranch_execz .LBB56_26
; %bb.25:                               ;   in Loop: Header=BB56_2 Depth=1
	ds_read_u8 v52, v54 offset:1
	s_waitcnt lgkmcnt(1)
	v_mov_b32_e32 v51, v49
.LBB56_26:                              ;   in Loop: Header=BB56_2 Depth=1
	s_or_b64 exec, exec, s[14:15]
	v_add_u32_e32 v56, 1, v53
	v_add_u32_e32 v55, 1, v54
	v_cndmask_b32_e64 v56, v56, v53, s[12:13]
	v_cndmask_b32_e64 v55, v54, v55, s[12:13]
	v_cmp_ge_i32_e64 s[16:17], v56, v18
	s_waitcnt lgkmcnt(0)
	v_cmp_lt_i16_sdwa s[18:19], sext(v52), sext(v51) src0_sel:BYTE_0 src1_sel:BYTE_0
	v_cmp_lt_i32_e64 s[14:15], v55, v19
	s_or_b64 s[16:17], s[16:17], s[18:19]
	s_and_b64 s[14:15], s[14:15], s[16:17]
	s_xor_b64 s[16:17], s[14:15], -1
                                        ; implicit-def: $vgpr53
	s_and_saveexec_b64 s[18:19], s[16:17]
	s_xor_b64 s[16:17], exec, s[18:19]
	s_cbranch_execz .LBB56_28
; %bb.27:                               ;   in Loop: Header=BB56_2 Depth=1
	ds_read_u8 v53, v56 offset:1
.LBB56_28:                              ;   in Loop: Header=BB56_2 Depth=1
	s_or_saveexec_b64 s[16:17], s[16:17]
	v_mov_b32_e32 v54, v52
	s_xor_b64 exec, exec, s[16:17]
	s_cbranch_execz .LBB56_30
; %bb.29:                               ;   in Loop: Header=BB56_2 Depth=1
	ds_read_u8 v54, v55 offset:1
	s_waitcnt lgkmcnt(1)
	v_mov_b32_e32 v53, v51
.LBB56_30:                              ;   in Loop: Header=BB56_2 Depth=1
	s_or_b64 exec, exec, s[16:17]
	v_add_u32_e32 v58, 1, v56
	v_add_u32_e32 v57, 1, v55
	v_cndmask_b32_e64 v56, v58, v56, s[14:15]
	v_cndmask_b32_e64 v55, v55, v57, s[14:15]
	v_cmp_ge_i32_e64 s[18:19], v56, v18
	s_waitcnt lgkmcnt(0)
	v_cmp_lt_i16_sdwa s[30:31], sext(v54), sext(v53) src0_sel:BYTE_0 src1_sel:BYTE_0
	v_cmp_lt_i32_e64 s[16:17], v55, v19
	s_or_b64 s[18:19], s[18:19], s[30:31]
	s_and_b64 s[16:17], s[16:17], s[18:19]
	s_xor_b64 s[18:19], s[16:17], -1
                                        ; implicit-def: $vgpr57
	s_and_saveexec_b64 s[30:31], s[18:19]
	s_xor_b64 s[18:19], exec, s[30:31]
	s_cbranch_execz .LBB56_32
; %bb.31:                               ;   in Loop: Header=BB56_2 Depth=1
	ds_read_u8 v57, v56 offset:1
.LBB56_32:                              ;   in Loop: Header=BB56_2 Depth=1
	s_or_saveexec_b64 s[18:19], s[18:19]
	v_mov_b32_e32 v58, v54
	s_xor_b64 exec, exec, s[18:19]
	s_cbranch_execz .LBB56_34
; %bb.33:                               ;   in Loop: Header=BB56_2 Depth=1
	ds_read_u8 v58, v55 offset:1
	s_waitcnt lgkmcnt(1)
	v_mov_b32_e32 v57, v53
.LBB56_34:                              ;   in Loop: Header=BB56_2 Depth=1
	s_or_b64 exec, exec, s[18:19]
	v_cndmask_b32_e64 v53, v53, v54, s[16:17]
	v_add_u32_e32 v54, 1, v55
	v_add_u32_e32 v59, 1, v56
	v_cndmask_b32_e64 v54, v55, v54, s[16:17]
	v_cndmask_b32_e64 v55, v59, v56, s[16:17]
	;; [unrolled: 1-line block ×3, first 2 shown]
	v_cmp_ge_i32_e64 s[14:15], v55, v18
	s_waitcnt lgkmcnt(0)
	v_cmp_lt_i16_sdwa s[16:17], sext(v58), sext(v57) src0_sel:BYTE_0 src1_sel:BYTE_0
	v_cndmask_b32_e64 v49, v49, v50, s[12:13]
	v_cmp_lt_i32_e64 s[12:13], v54, v19
	s_or_b64 s[14:15], s[14:15], s[16:17]
	s_and_b64 s[12:13], s[12:13], s[14:15]
	v_cndmask_b32_e64 v50, v57, v58, s[12:13]
	s_barrier
	ds_write_b8 v3, v49
	ds_write_b8 v3, v51 offset:1
	ds_write_b8 v3, v53 offset:2
	;; [unrolled: 1-line block ×3, first 2 shown]
	v_mov_b32_e32 v49, v41
	s_waitcnt lgkmcnt(0)
	s_barrier
	s_and_saveexec_b64 s[14:15], s[2:3]
	s_cbranch_execz .LBB56_38
; %bb.35:                               ;   in Loop: Header=BB56_2 Depth=1
	s_mov_b64 s[16:17], 0
	v_mov_b32_e32 v49, v41
	v_mov_b32_e32 v50, v35
.LBB56_36:                              ;   Parent Loop BB56_2 Depth=1
                                        ; =>  This Inner Loop Header: Depth=2
	v_sub_u32_e32 v51, v50, v49
	v_lshrrev_b32_e32 v52, 31, v51
	v_add_u32_e32 v51, v51, v52
	v_ashrrev_i32_e32 v51, 1, v51
	v_add_u32_e32 v51, v51, v49
	v_not_b32_e32 v53, v51
	v_add_u32_e32 v52, v8, v51
	v_add3_u32 v53, v9, v53, v20
	ds_read_i8 v52, v52
	ds_read_i8 v53, v53
	v_add_u32_e32 v54, 1, v51
	s_waitcnt lgkmcnt(0)
	v_cmp_lt_i16_e64 s[12:13], v53, v52
	s_nop 1
	v_cndmask_b32_e64 v50, v50, v51, s[12:13]
	v_cndmask_b32_e64 v49, v54, v49, s[12:13]
	v_cmp_ge_i32_e64 s[12:13], v49, v50
	s_or_b64 s[16:17], s[12:13], s[16:17]
	s_andn2_b64 exec, exec, s[16:17]
	s_cbranch_execnz .LBB56_36
; %bb.37:                               ;   in Loop: Header=BB56_2 Depth=1
	s_or_b64 exec, exec, s[16:17]
.LBB56_38:                              ;   in Loop: Header=BB56_2 Depth=1
	s_or_b64 exec, exec, s[14:15]
	v_add_u32_e32 v53, v49, v8
	v_sub_u32_e32 v54, v30, v49
	ds_read_u8 v49, v53
	ds_read_u8 v50, v54
	v_cmp_le_i32_e64 s[14:15], v20, v53
	v_cmp_gt_i32_e64 s[12:13], v21, v54
                                        ; implicit-def: $vgpr51
	s_waitcnt lgkmcnt(1)
	v_bfe_i32 v49, v49, 0, 8
	s_waitcnt lgkmcnt(0)
	v_bfe_i32 v50, v50, 0, 8
	v_cmp_lt_i16_e64 s[16:17], v50, v49
	s_or_b64 s[14:15], s[14:15], s[16:17]
	s_and_b64 s[12:13], s[12:13], s[14:15]
	s_xor_b64 s[14:15], s[12:13], -1
	s_and_saveexec_b64 s[16:17], s[14:15]
	s_xor_b64 s[14:15], exec, s[16:17]
	s_cbranch_execz .LBB56_40
; %bb.39:                               ;   in Loop: Header=BB56_2 Depth=1
	ds_read_u8 v51, v53 offset:1
.LBB56_40:                              ;   in Loop: Header=BB56_2 Depth=1
	s_or_saveexec_b64 s[14:15], s[14:15]
	v_mov_b32_e32 v52, v50
	s_xor_b64 exec, exec, s[14:15]
	s_cbranch_execz .LBB56_42
; %bb.41:                               ;   in Loop: Header=BB56_2 Depth=1
	ds_read_u8 v52, v54 offset:1
	s_waitcnt lgkmcnt(1)
	v_mov_b32_e32 v51, v49
.LBB56_42:                              ;   in Loop: Header=BB56_2 Depth=1
	s_or_b64 exec, exec, s[14:15]
	v_add_u32_e32 v56, 1, v53
	v_add_u32_e32 v55, 1, v54
	v_cndmask_b32_e64 v56, v56, v53, s[12:13]
	v_cndmask_b32_e64 v55, v54, v55, s[12:13]
	v_cmp_ge_i32_e64 s[16:17], v56, v20
	s_waitcnt lgkmcnt(0)
	v_cmp_lt_i16_sdwa s[18:19], sext(v52), sext(v51) src0_sel:BYTE_0 src1_sel:BYTE_0
	v_cmp_lt_i32_e64 s[14:15], v55, v21
	s_or_b64 s[16:17], s[16:17], s[18:19]
	s_and_b64 s[14:15], s[14:15], s[16:17]
	s_xor_b64 s[16:17], s[14:15], -1
                                        ; implicit-def: $vgpr53
	s_and_saveexec_b64 s[18:19], s[16:17]
	s_xor_b64 s[16:17], exec, s[18:19]
	s_cbranch_execz .LBB56_44
; %bb.43:                               ;   in Loop: Header=BB56_2 Depth=1
	ds_read_u8 v53, v56 offset:1
.LBB56_44:                              ;   in Loop: Header=BB56_2 Depth=1
	s_or_saveexec_b64 s[16:17], s[16:17]
	v_mov_b32_e32 v54, v52
	s_xor_b64 exec, exec, s[16:17]
	s_cbranch_execz .LBB56_46
; %bb.45:                               ;   in Loop: Header=BB56_2 Depth=1
	ds_read_u8 v54, v55 offset:1
	s_waitcnt lgkmcnt(1)
	v_mov_b32_e32 v53, v51
.LBB56_46:                              ;   in Loop: Header=BB56_2 Depth=1
	s_or_b64 exec, exec, s[16:17]
	v_add_u32_e32 v58, 1, v56
	v_add_u32_e32 v57, 1, v55
	v_cndmask_b32_e64 v56, v58, v56, s[14:15]
	v_cndmask_b32_e64 v55, v55, v57, s[14:15]
	v_cmp_ge_i32_e64 s[18:19], v56, v20
	s_waitcnt lgkmcnt(0)
	v_cmp_lt_i16_sdwa s[30:31], sext(v54), sext(v53) src0_sel:BYTE_0 src1_sel:BYTE_0
	v_cmp_lt_i32_e64 s[16:17], v55, v21
	s_or_b64 s[18:19], s[18:19], s[30:31]
	s_and_b64 s[16:17], s[16:17], s[18:19]
	s_xor_b64 s[18:19], s[16:17], -1
                                        ; implicit-def: $vgpr57
	s_and_saveexec_b64 s[30:31], s[18:19]
	s_xor_b64 s[18:19], exec, s[30:31]
	s_cbranch_execz .LBB56_48
; %bb.47:                               ;   in Loop: Header=BB56_2 Depth=1
	ds_read_u8 v57, v56 offset:1
.LBB56_48:                              ;   in Loop: Header=BB56_2 Depth=1
	s_or_saveexec_b64 s[18:19], s[18:19]
	v_mov_b32_e32 v58, v54
	s_xor_b64 exec, exec, s[18:19]
	s_cbranch_execz .LBB56_50
; %bb.49:                               ;   in Loop: Header=BB56_2 Depth=1
	ds_read_u8 v58, v55 offset:1
	s_waitcnt lgkmcnt(1)
	v_mov_b32_e32 v57, v53
.LBB56_50:                              ;   in Loop: Header=BB56_2 Depth=1
	s_or_b64 exec, exec, s[18:19]
	v_cndmask_b32_e64 v53, v53, v54, s[16:17]
	v_add_u32_e32 v54, 1, v55
	v_add_u32_e32 v59, 1, v56
	v_cndmask_b32_e64 v54, v55, v54, s[16:17]
	v_cndmask_b32_e64 v55, v59, v56, s[16:17]
	;; [unrolled: 1-line block ×3, first 2 shown]
	v_cmp_ge_i32_e64 s[14:15], v55, v20
	s_waitcnt lgkmcnt(0)
	v_cmp_lt_i16_sdwa s[16:17], sext(v58), sext(v57) src0_sel:BYTE_0 src1_sel:BYTE_0
	v_cndmask_b32_e64 v49, v49, v50, s[12:13]
	v_cmp_lt_i32_e64 s[12:13], v54, v21
	s_or_b64 s[14:15], s[14:15], s[16:17]
	s_and_b64 s[12:13], s[12:13], s[14:15]
	v_cndmask_b32_e64 v50, v57, v58, s[12:13]
	s_barrier
	ds_write_b8 v3, v49
	ds_write_b8 v3, v51 offset:1
	ds_write_b8 v3, v53 offset:2
	ds_write_b8 v3, v50 offset:3
	v_mov_b32_e32 v49, v42
	s_waitcnt lgkmcnt(0)
	s_barrier
	s_and_saveexec_b64 s[14:15], s[4:5]
	s_cbranch_execz .LBB56_54
; %bb.51:                               ;   in Loop: Header=BB56_2 Depth=1
	s_mov_b64 s[16:17], 0
	v_mov_b32_e32 v49, v42
	v_mov_b32_e32 v50, v36
.LBB56_52:                              ;   Parent Loop BB56_2 Depth=1
                                        ; =>  This Inner Loop Header: Depth=2
	v_sub_u32_e32 v51, v50, v49
	v_lshrrev_b32_e32 v52, 31, v51
	v_add_u32_e32 v51, v51, v52
	v_ashrrev_i32_e32 v51, 1, v51
	v_add_u32_e32 v51, v51, v49
	v_not_b32_e32 v53, v51
	v_add_u32_e32 v52, v10, v51
	v_add3_u32 v53, v11, v53, v22
	ds_read_i8 v52, v52
	ds_read_i8 v53, v53
	v_add_u32_e32 v54, 1, v51
	s_waitcnt lgkmcnt(0)
	v_cmp_lt_i16_e64 s[12:13], v53, v52
	s_nop 1
	v_cndmask_b32_e64 v50, v50, v51, s[12:13]
	v_cndmask_b32_e64 v49, v54, v49, s[12:13]
	v_cmp_ge_i32_e64 s[12:13], v49, v50
	s_or_b64 s[16:17], s[12:13], s[16:17]
	s_andn2_b64 exec, exec, s[16:17]
	s_cbranch_execnz .LBB56_52
; %bb.53:                               ;   in Loop: Header=BB56_2 Depth=1
	s_or_b64 exec, exec, s[16:17]
.LBB56_54:                              ;   in Loop: Header=BB56_2 Depth=1
	s_or_b64 exec, exec, s[14:15]
	v_add_u32_e32 v53, v49, v10
	v_sub_u32_e32 v54, v31, v49
	ds_read_u8 v49, v53
	ds_read_u8 v50, v54
	v_cmp_le_i32_e64 s[14:15], v22, v53
	v_cmp_gt_i32_e64 s[12:13], v23, v54
                                        ; implicit-def: $vgpr51
	s_waitcnt lgkmcnt(1)
	v_bfe_i32 v49, v49, 0, 8
	s_waitcnt lgkmcnt(0)
	v_bfe_i32 v50, v50, 0, 8
	v_cmp_lt_i16_e64 s[16:17], v50, v49
	s_or_b64 s[14:15], s[14:15], s[16:17]
	s_and_b64 s[12:13], s[12:13], s[14:15]
	s_xor_b64 s[14:15], s[12:13], -1
	s_and_saveexec_b64 s[16:17], s[14:15]
	s_xor_b64 s[14:15], exec, s[16:17]
	s_cbranch_execz .LBB56_56
; %bb.55:                               ;   in Loop: Header=BB56_2 Depth=1
	ds_read_u8 v51, v53 offset:1
.LBB56_56:                              ;   in Loop: Header=BB56_2 Depth=1
	s_or_saveexec_b64 s[14:15], s[14:15]
	v_mov_b32_e32 v52, v50
	s_xor_b64 exec, exec, s[14:15]
	s_cbranch_execz .LBB56_58
; %bb.57:                               ;   in Loop: Header=BB56_2 Depth=1
	ds_read_u8 v52, v54 offset:1
	s_waitcnt lgkmcnt(1)
	v_mov_b32_e32 v51, v49
.LBB56_58:                              ;   in Loop: Header=BB56_2 Depth=1
	s_or_b64 exec, exec, s[14:15]
	v_add_u32_e32 v56, 1, v53
	v_add_u32_e32 v55, 1, v54
	v_cndmask_b32_e64 v56, v56, v53, s[12:13]
	v_cndmask_b32_e64 v55, v54, v55, s[12:13]
	v_cmp_ge_i32_e64 s[16:17], v56, v22
	s_waitcnt lgkmcnt(0)
	v_cmp_lt_i16_sdwa s[18:19], sext(v52), sext(v51) src0_sel:BYTE_0 src1_sel:BYTE_0
	v_cmp_lt_i32_e64 s[14:15], v55, v23
	s_or_b64 s[16:17], s[16:17], s[18:19]
	s_and_b64 s[14:15], s[14:15], s[16:17]
	s_xor_b64 s[16:17], s[14:15], -1
                                        ; implicit-def: $vgpr53
	s_and_saveexec_b64 s[18:19], s[16:17]
	s_xor_b64 s[16:17], exec, s[18:19]
	s_cbranch_execz .LBB56_60
; %bb.59:                               ;   in Loop: Header=BB56_2 Depth=1
	ds_read_u8 v53, v56 offset:1
.LBB56_60:                              ;   in Loop: Header=BB56_2 Depth=1
	s_or_saveexec_b64 s[16:17], s[16:17]
	v_mov_b32_e32 v54, v52
	s_xor_b64 exec, exec, s[16:17]
	s_cbranch_execz .LBB56_62
; %bb.61:                               ;   in Loop: Header=BB56_2 Depth=1
	ds_read_u8 v54, v55 offset:1
	s_waitcnt lgkmcnt(1)
	v_mov_b32_e32 v53, v51
.LBB56_62:                              ;   in Loop: Header=BB56_2 Depth=1
	s_or_b64 exec, exec, s[16:17]
	v_add_u32_e32 v58, 1, v56
	v_add_u32_e32 v57, 1, v55
	v_cndmask_b32_e64 v56, v58, v56, s[14:15]
	v_cndmask_b32_e64 v55, v55, v57, s[14:15]
	v_cmp_ge_i32_e64 s[18:19], v56, v22
	s_waitcnt lgkmcnt(0)
	v_cmp_lt_i16_sdwa s[30:31], sext(v54), sext(v53) src0_sel:BYTE_0 src1_sel:BYTE_0
	v_cmp_lt_i32_e64 s[16:17], v55, v23
	s_or_b64 s[18:19], s[18:19], s[30:31]
	s_and_b64 s[16:17], s[16:17], s[18:19]
	s_xor_b64 s[18:19], s[16:17], -1
                                        ; implicit-def: $vgpr57
	s_and_saveexec_b64 s[30:31], s[18:19]
	s_xor_b64 s[18:19], exec, s[30:31]
	s_cbranch_execz .LBB56_64
; %bb.63:                               ;   in Loop: Header=BB56_2 Depth=1
	ds_read_u8 v57, v56 offset:1
.LBB56_64:                              ;   in Loop: Header=BB56_2 Depth=1
	s_or_saveexec_b64 s[18:19], s[18:19]
	v_mov_b32_e32 v58, v54
	s_xor_b64 exec, exec, s[18:19]
	s_cbranch_execz .LBB56_66
; %bb.65:                               ;   in Loop: Header=BB56_2 Depth=1
	ds_read_u8 v58, v55 offset:1
	s_waitcnt lgkmcnt(1)
	v_mov_b32_e32 v57, v53
.LBB56_66:                              ;   in Loop: Header=BB56_2 Depth=1
	s_or_b64 exec, exec, s[18:19]
	v_cndmask_b32_e64 v53, v53, v54, s[16:17]
	v_add_u32_e32 v54, 1, v55
	v_add_u32_e32 v59, 1, v56
	v_cndmask_b32_e64 v54, v55, v54, s[16:17]
	v_cndmask_b32_e64 v55, v59, v56, s[16:17]
	;; [unrolled: 1-line block ×3, first 2 shown]
	v_cmp_ge_i32_e64 s[14:15], v55, v22
	s_waitcnt lgkmcnt(0)
	v_cmp_lt_i16_sdwa s[16:17], sext(v58), sext(v57) src0_sel:BYTE_0 src1_sel:BYTE_0
	v_cndmask_b32_e64 v49, v49, v50, s[12:13]
	v_cmp_lt_i32_e64 s[12:13], v54, v23
	s_or_b64 s[14:15], s[14:15], s[16:17]
	s_and_b64 s[12:13], s[12:13], s[14:15]
	v_cndmask_b32_e64 v50, v57, v58, s[12:13]
	s_barrier
	ds_write_b8 v3, v49
	ds_write_b8 v3, v51 offset:1
	ds_write_b8 v3, v53 offset:2
	;; [unrolled: 1-line block ×3, first 2 shown]
	v_mov_b32_e32 v49, v43
	s_waitcnt lgkmcnt(0)
	s_barrier
	s_and_saveexec_b64 s[14:15], s[6:7]
	s_cbranch_execz .LBB56_70
; %bb.67:                               ;   in Loop: Header=BB56_2 Depth=1
	s_mov_b64 s[16:17], 0
	v_mov_b32_e32 v49, v43
	v_mov_b32_e32 v50, v37
.LBB56_68:                              ;   Parent Loop BB56_2 Depth=1
                                        ; =>  This Inner Loop Header: Depth=2
	v_sub_u32_e32 v51, v50, v49
	v_lshrrev_b32_e32 v52, 31, v51
	v_add_u32_e32 v51, v51, v52
	v_ashrrev_i32_e32 v51, 1, v51
	v_add_u32_e32 v51, v51, v49
	v_not_b32_e32 v53, v51
	v_add_u32_e32 v52, v12, v51
	v_add3_u32 v53, v13, v53, v24
	ds_read_i8 v52, v52
	ds_read_i8 v53, v53
	v_add_u32_e32 v54, 1, v51
	s_waitcnt lgkmcnt(0)
	v_cmp_lt_i16_e64 s[12:13], v53, v52
	s_nop 1
	v_cndmask_b32_e64 v50, v50, v51, s[12:13]
	v_cndmask_b32_e64 v49, v54, v49, s[12:13]
	v_cmp_ge_i32_e64 s[12:13], v49, v50
	s_or_b64 s[16:17], s[12:13], s[16:17]
	s_andn2_b64 exec, exec, s[16:17]
	s_cbranch_execnz .LBB56_68
; %bb.69:                               ;   in Loop: Header=BB56_2 Depth=1
	s_or_b64 exec, exec, s[16:17]
.LBB56_70:                              ;   in Loop: Header=BB56_2 Depth=1
	s_or_b64 exec, exec, s[14:15]
	v_add_u32_e32 v53, v49, v12
	v_sub_u32_e32 v54, v32, v49
	ds_read_u8 v49, v53
	ds_read_u8 v50, v54
	v_cmp_le_i32_e64 s[14:15], v24, v53
	v_cmp_gt_i32_e64 s[12:13], v25, v54
                                        ; implicit-def: $vgpr51
	s_waitcnt lgkmcnt(1)
	v_bfe_i32 v49, v49, 0, 8
	s_waitcnt lgkmcnt(0)
	v_bfe_i32 v50, v50, 0, 8
	v_cmp_lt_i16_e64 s[16:17], v50, v49
	s_or_b64 s[14:15], s[14:15], s[16:17]
	s_and_b64 s[12:13], s[12:13], s[14:15]
	s_xor_b64 s[14:15], s[12:13], -1
	s_and_saveexec_b64 s[16:17], s[14:15]
	s_xor_b64 s[14:15], exec, s[16:17]
	s_cbranch_execz .LBB56_72
; %bb.71:                               ;   in Loop: Header=BB56_2 Depth=1
	ds_read_u8 v51, v53 offset:1
.LBB56_72:                              ;   in Loop: Header=BB56_2 Depth=1
	s_or_saveexec_b64 s[14:15], s[14:15]
	v_mov_b32_e32 v52, v50
	s_xor_b64 exec, exec, s[14:15]
	s_cbranch_execz .LBB56_74
; %bb.73:                               ;   in Loop: Header=BB56_2 Depth=1
	ds_read_u8 v52, v54 offset:1
	s_waitcnt lgkmcnt(1)
	v_mov_b32_e32 v51, v49
.LBB56_74:                              ;   in Loop: Header=BB56_2 Depth=1
	s_or_b64 exec, exec, s[14:15]
	v_add_u32_e32 v56, 1, v53
	v_add_u32_e32 v55, 1, v54
	v_cndmask_b32_e64 v56, v56, v53, s[12:13]
	v_cndmask_b32_e64 v55, v54, v55, s[12:13]
	v_cmp_ge_i32_e64 s[16:17], v56, v24
	s_waitcnt lgkmcnt(0)
	v_cmp_lt_i16_sdwa s[18:19], sext(v52), sext(v51) src0_sel:BYTE_0 src1_sel:BYTE_0
	v_cmp_lt_i32_e64 s[14:15], v55, v25
	s_or_b64 s[16:17], s[16:17], s[18:19]
	s_and_b64 s[14:15], s[14:15], s[16:17]
	s_xor_b64 s[16:17], s[14:15], -1
                                        ; implicit-def: $vgpr53
	s_and_saveexec_b64 s[18:19], s[16:17]
	s_xor_b64 s[16:17], exec, s[18:19]
	s_cbranch_execz .LBB56_76
; %bb.75:                               ;   in Loop: Header=BB56_2 Depth=1
	ds_read_u8 v53, v56 offset:1
.LBB56_76:                              ;   in Loop: Header=BB56_2 Depth=1
	s_or_saveexec_b64 s[16:17], s[16:17]
	v_mov_b32_e32 v54, v52
	s_xor_b64 exec, exec, s[16:17]
	s_cbranch_execz .LBB56_78
; %bb.77:                               ;   in Loop: Header=BB56_2 Depth=1
	ds_read_u8 v54, v55 offset:1
	s_waitcnt lgkmcnt(1)
	v_mov_b32_e32 v53, v51
.LBB56_78:                              ;   in Loop: Header=BB56_2 Depth=1
	s_or_b64 exec, exec, s[16:17]
	v_add_u32_e32 v58, 1, v56
	v_add_u32_e32 v57, 1, v55
	v_cndmask_b32_e64 v56, v58, v56, s[14:15]
	v_cndmask_b32_e64 v55, v55, v57, s[14:15]
	v_cmp_ge_i32_e64 s[18:19], v56, v24
	s_waitcnt lgkmcnt(0)
	v_cmp_lt_i16_sdwa s[30:31], sext(v54), sext(v53) src0_sel:BYTE_0 src1_sel:BYTE_0
	v_cmp_lt_i32_e64 s[16:17], v55, v25
	s_or_b64 s[18:19], s[18:19], s[30:31]
	s_and_b64 s[16:17], s[16:17], s[18:19]
	s_xor_b64 s[18:19], s[16:17], -1
                                        ; implicit-def: $vgpr57
	s_and_saveexec_b64 s[30:31], s[18:19]
	s_xor_b64 s[18:19], exec, s[30:31]
	s_cbranch_execz .LBB56_80
; %bb.79:                               ;   in Loop: Header=BB56_2 Depth=1
	ds_read_u8 v57, v56 offset:1
.LBB56_80:                              ;   in Loop: Header=BB56_2 Depth=1
	s_or_saveexec_b64 s[18:19], s[18:19]
	v_mov_b32_e32 v58, v54
	s_xor_b64 exec, exec, s[18:19]
	s_cbranch_execz .LBB56_82
; %bb.81:                               ;   in Loop: Header=BB56_2 Depth=1
	ds_read_u8 v58, v55 offset:1
	s_waitcnt lgkmcnt(1)
	v_mov_b32_e32 v57, v53
.LBB56_82:                              ;   in Loop: Header=BB56_2 Depth=1
	s_or_b64 exec, exec, s[18:19]
	v_cndmask_b32_e64 v53, v53, v54, s[16:17]
	v_add_u32_e32 v54, 1, v55
	v_add_u32_e32 v59, 1, v56
	v_cndmask_b32_e64 v54, v55, v54, s[16:17]
	v_cndmask_b32_e64 v55, v59, v56, s[16:17]
	;; [unrolled: 1-line block ×3, first 2 shown]
	v_cmp_ge_i32_e64 s[14:15], v55, v24
	s_waitcnt lgkmcnt(0)
	v_cmp_lt_i16_sdwa s[16:17], sext(v58), sext(v57) src0_sel:BYTE_0 src1_sel:BYTE_0
	v_cndmask_b32_e64 v49, v49, v50, s[12:13]
	v_cmp_lt_i32_e64 s[12:13], v54, v25
	s_or_b64 s[14:15], s[14:15], s[16:17]
	s_and_b64 s[12:13], s[12:13], s[14:15]
	v_cndmask_b32_e64 v50, v57, v58, s[12:13]
	s_barrier
	ds_write_b8 v3, v49
	ds_write_b8 v3, v51 offset:1
	ds_write_b8 v3, v53 offset:2
	;; [unrolled: 1-line block ×3, first 2 shown]
	v_mov_b32_e32 v49, v44
	s_waitcnt lgkmcnt(0)
	s_barrier
	s_and_saveexec_b64 s[14:15], s[8:9]
	s_cbranch_execz .LBB56_86
; %bb.83:                               ;   in Loop: Header=BB56_2 Depth=1
	s_mov_b64 s[16:17], 0
	v_mov_b32_e32 v49, v44
	v_mov_b32_e32 v50, v38
.LBB56_84:                              ;   Parent Loop BB56_2 Depth=1
                                        ; =>  This Inner Loop Header: Depth=2
	v_sub_u32_e32 v51, v50, v49
	v_lshrrev_b32_e32 v52, 31, v51
	v_add_u32_e32 v51, v51, v52
	v_ashrrev_i32_e32 v51, 1, v51
	v_add_u32_e32 v51, v51, v49
	v_not_b32_e32 v53, v51
	v_add_u32_e32 v52, v14, v51
	v_add3_u32 v53, v15, v53, v26
	ds_read_i8 v52, v52
	ds_read_i8 v53, v53
	v_add_u32_e32 v54, 1, v51
	s_waitcnt lgkmcnt(0)
	v_cmp_lt_i16_e64 s[12:13], v53, v52
	s_nop 1
	v_cndmask_b32_e64 v50, v50, v51, s[12:13]
	v_cndmask_b32_e64 v49, v54, v49, s[12:13]
	v_cmp_ge_i32_e64 s[12:13], v49, v50
	s_or_b64 s[16:17], s[12:13], s[16:17]
	s_andn2_b64 exec, exec, s[16:17]
	s_cbranch_execnz .LBB56_84
; %bb.85:                               ;   in Loop: Header=BB56_2 Depth=1
	s_or_b64 exec, exec, s[16:17]
.LBB56_86:                              ;   in Loop: Header=BB56_2 Depth=1
	s_or_b64 exec, exec, s[14:15]
	v_add_u32_e32 v53, v49, v14
	v_sub_u32_e32 v54, v45, v49
	ds_read_u8 v49, v53
	ds_read_u8 v50, v54
	v_cmp_le_i32_e64 s[14:15], v26, v53
	v_cmp_gt_i32_e64 s[12:13], v27, v54
                                        ; implicit-def: $vgpr51
	s_waitcnt lgkmcnt(1)
	v_bfe_i32 v49, v49, 0, 8
	s_waitcnt lgkmcnt(0)
	v_bfe_i32 v50, v50, 0, 8
	v_cmp_lt_i16_e64 s[16:17], v50, v49
	s_or_b64 s[14:15], s[14:15], s[16:17]
	s_and_b64 s[12:13], s[12:13], s[14:15]
	s_xor_b64 s[14:15], s[12:13], -1
	s_and_saveexec_b64 s[16:17], s[14:15]
	s_xor_b64 s[14:15], exec, s[16:17]
	s_cbranch_execz .LBB56_88
; %bb.87:                               ;   in Loop: Header=BB56_2 Depth=1
	ds_read_u8 v51, v53 offset:1
.LBB56_88:                              ;   in Loop: Header=BB56_2 Depth=1
	s_or_saveexec_b64 s[14:15], s[14:15]
	v_mov_b32_e32 v52, v50
	s_xor_b64 exec, exec, s[14:15]
	s_cbranch_execz .LBB56_90
; %bb.89:                               ;   in Loop: Header=BB56_2 Depth=1
	ds_read_u8 v52, v54 offset:1
	s_waitcnt lgkmcnt(1)
	v_mov_b32_e32 v51, v49
.LBB56_90:                              ;   in Loop: Header=BB56_2 Depth=1
	s_or_b64 exec, exec, s[14:15]
	v_add_u32_e32 v56, 1, v53
	v_add_u32_e32 v55, 1, v54
	v_cndmask_b32_e64 v56, v56, v53, s[12:13]
	v_cndmask_b32_e64 v55, v54, v55, s[12:13]
	v_cmp_ge_i32_e64 s[16:17], v56, v26
	s_waitcnt lgkmcnt(0)
	v_cmp_lt_i16_sdwa s[18:19], sext(v52), sext(v51) src0_sel:BYTE_0 src1_sel:BYTE_0
	v_cmp_lt_i32_e64 s[14:15], v55, v27
	s_or_b64 s[16:17], s[16:17], s[18:19]
	s_and_b64 s[14:15], s[14:15], s[16:17]
	s_xor_b64 s[16:17], s[14:15], -1
                                        ; implicit-def: $vgpr53
	s_and_saveexec_b64 s[18:19], s[16:17]
	s_xor_b64 s[16:17], exec, s[18:19]
	s_cbranch_execz .LBB56_92
; %bb.91:                               ;   in Loop: Header=BB56_2 Depth=1
	ds_read_u8 v53, v56 offset:1
.LBB56_92:                              ;   in Loop: Header=BB56_2 Depth=1
	s_or_saveexec_b64 s[16:17], s[16:17]
	v_mov_b32_e32 v54, v52
	s_xor_b64 exec, exec, s[16:17]
	s_cbranch_execz .LBB56_94
; %bb.93:                               ;   in Loop: Header=BB56_2 Depth=1
	ds_read_u8 v54, v55 offset:1
	s_waitcnt lgkmcnt(1)
	v_mov_b32_e32 v53, v51
.LBB56_94:                              ;   in Loop: Header=BB56_2 Depth=1
	s_or_b64 exec, exec, s[16:17]
	v_add_u32_e32 v58, 1, v56
	v_add_u32_e32 v57, 1, v55
	v_cndmask_b32_e64 v56, v58, v56, s[14:15]
	v_cndmask_b32_e64 v55, v55, v57, s[14:15]
	v_cmp_ge_i32_e64 s[18:19], v56, v26
	s_waitcnt lgkmcnt(0)
	v_cmp_lt_i16_sdwa s[30:31], sext(v54), sext(v53) src0_sel:BYTE_0 src1_sel:BYTE_0
	v_cmp_lt_i32_e64 s[16:17], v55, v27
	s_or_b64 s[18:19], s[18:19], s[30:31]
	s_and_b64 s[16:17], s[16:17], s[18:19]
	s_xor_b64 s[18:19], s[16:17], -1
                                        ; implicit-def: $vgpr57
	s_and_saveexec_b64 s[30:31], s[18:19]
	s_xor_b64 s[18:19], exec, s[30:31]
	s_cbranch_execz .LBB56_96
; %bb.95:                               ;   in Loop: Header=BB56_2 Depth=1
	ds_read_u8 v57, v56 offset:1
.LBB56_96:                              ;   in Loop: Header=BB56_2 Depth=1
	s_or_saveexec_b64 s[18:19], s[18:19]
	v_mov_b32_e32 v58, v54
	s_xor_b64 exec, exec, s[18:19]
	s_cbranch_execz .LBB56_98
; %bb.97:                               ;   in Loop: Header=BB56_2 Depth=1
	ds_read_u8 v58, v55 offset:1
	s_waitcnt lgkmcnt(1)
	v_mov_b32_e32 v57, v53
.LBB56_98:                              ;   in Loop: Header=BB56_2 Depth=1
	s_or_b64 exec, exec, s[18:19]
	v_cndmask_b32_e64 v53, v53, v54, s[16:17]
	v_add_u32_e32 v54, 1, v55
	v_add_u32_e32 v59, 1, v56
	v_cndmask_b32_e64 v54, v55, v54, s[16:17]
	v_cndmask_b32_e64 v55, v59, v56, s[16:17]
	;; [unrolled: 1-line block ×3, first 2 shown]
	v_cmp_ge_i32_e64 s[14:15], v55, v26
	s_waitcnt lgkmcnt(0)
	v_cmp_lt_i16_sdwa s[16:17], sext(v58), sext(v57) src0_sel:BYTE_0 src1_sel:BYTE_0
	v_cndmask_b32_e64 v49, v49, v50, s[12:13]
	v_cmp_lt_i32_e64 s[12:13], v54, v27
	s_or_b64 s[14:15], s[14:15], s[16:17]
	s_and_b64 s[12:13], s[12:13], s[14:15]
	v_cndmask_b32_e64 v50, v57, v58, s[12:13]
	s_barrier
	ds_write_b8 v3, v49
	ds_write_b8 v3, v51 offset:1
	ds_write_b8 v3, v53 offset:2
	;; [unrolled: 1-line block ×3, first 2 shown]
	v_mov_b32_e32 v53, v46
	s_waitcnt lgkmcnt(0)
	s_barrier
	s_and_saveexec_b64 s[14:15], s[10:11]
	s_cbranch_execz .LBB56_102
; %bb.99:                               ;   in Loop: Header=BB56_2 Depth=1
	s_mov_b64 s[16:17], 0
	v_mov_b32_e32 v53, v46
	v_mov_b32_e32 v49, v47
.LBB56_100:                             ;   Parent Loop BB56_2 Depth=1
                                        ; =>  This Inner Loop Header: Depth=2
	v_sub_u32_e32 v50, v49, v53
	v_lshrrev_b32_e32 v51, 31, v50
	v_add_u32_e32 v50, v50, v51
	v_ashrrev_i32_e32 v50, 1, v50
	v_add_u32_e32 v50, v50, v53
	v_not_b32_e32 v51, v50
	v_add3_u32 v51, v3, v51, v2
	ds_read_i8 v52, v50
	ds_read_i8 v51, v51
	v_add_u32_e32 v54, 1, v50
	s_waitcnt lgkmcnt(0)
	v_cmp_lt_i16_e64 s[12:13], v51, v52
	s_nop 1
	v_cndmask_b32_e64 v49, v49, v50, s[12:13]
	v_cndmask_b32_e64 v53, v54, v53, s[12:13]
	v_cmp_ge_i32_e64 s[12:13], v53, v49
	s_or_b64 s[16:17], s[12:13], s[16:17]
	s_andn2_b64 exec, exec, s[16:17]
	s_cbranch_execnz .LBB56_100
; %bb.101:                              ;   in Loop: Header=BB56_2 Depth=1
	s_or_b64 exec, exec, s[16:17]
.LBB56_102:                             ;   in Loop: Header=BB56_2 Depth=1
	s_or_b64 exec, exec, s[14:15]
	v_sub_u32_e32 v54, v48, v53
	ds_read_u8 v49, v53
	ds_read_u8 v50, v54
	v_cmp_le_i32_e64 s[14:15], v2, v53
	v_cmp_gt_i32_e64 s[12:13], s29, v54
                                        ; implicit-def: $vgpr51
	s_waitcnt lgkmcnt(1)
	v_bfe_i32 v49, v49, 0, 8
	s_waitcnt lgkmcnt(0)
	v_bfe_i32 v50, v50, 0, 8
	v_cmp_lt_i16_e64 s[16:17], v50, v49
	s_or_b64 s[14:15], s[14:15], s[16:17]
	s_and_b64 s[12:13], s[12:13], s[14:15]
	s_xor_b64 s[14:15], s[12:13], -1
	s_and_saveexec_b64 s[16:17], s[14:15]
	s_xor_b64 s[14:15], exec, s[16:17]
	s_cbranch_execz .LBB56_104
; %bb.103:                              ;   in Loop: Header=BB56_2 Depth=1
	ds_read_u8 v51, v53 offset:1
.LBB56_104:                             ;   in Loop: Header=BB56_2 Depth=1
	s_or_saveexec_b64 s[14:15], s[14:15]
	v_mov_b32_e32 v52, v50
	s_xor_b64 exec, exec, s[14:15]
	s_cbranch_execz .LBB56_106
; %bb.105:                              ;   in Loop: Header=BB56_2 Depth=1
	ds_read_u8 v52, v54 offset:1
	s_waitcnt lgkmcnt(1)
	v_mov_b32_e32 v51, v49
.LBB56_106:                             ;   in Loop: Header=BB56_2 Depth=1
	s_or_b64 exec, exec, s[14:15]
	v_add_u32_e32 v56, 1, v53
	v_add_u32_e32 v55, 1, v54
	v_cndmask_b32_e64 v56, v56, v53, s[12:13]
	v_cndmask_b32_e64 v55, v54, v55, s[12:13]
	v_cmp_ge_i32_e64 s[16:17], v56, v2
	s_waitcnt lgkmcnt(0)
	v_cmp_lt_i16_sdwa s[18:19], sext(v52), sext(v51) src0_sel:BYTE_0 src1_sel:BYTE_0
	v_cmp_gt_i32_e64 s[14:15], s29, v55
	s_or_b64 s[16:17], s[16:17], s[18:19]
	s_and_b64 s[14:15], s[14:15], s[16:17]
	s_xor_b64 s[16:17], s[14:15], -1
                                        ; implicit-def: $vgpr53
	s_and_saveexec_b64 s[18:19], s[16:17]
	s_xor_b64 s[16:17], exec, s[18:19]
	s_cbranch_execz .LBB56_108
; %bb.107:                              ;   in Loop: Header=BB56_2 Depth=1
	ds_read_u8 v53, v56 offset:1
.LBB56_108:                             ;   in Loop: Header=BB56_2 Depth=1
	s_or_saveexec_b64 s[16:17], s[16:17]
	v_mov_b32_e32 v54, v52
	s_xor_b64 exec, exec, s[16:17]
	s_cbranch_execz .LBB56_110
; %bb.109:                              ;   in Loop: Header=BB56_2 Depth=1
	ds_read_u8 v54, v55 offset:1
	s_waitcnt lgkmcnt(1)
	v_mov_b32_e32 v53, v51
.LBB56_110:                             ;   in Loop: Header=BB56_2 Depth=1
	s_or_b64 exec, exec, s[16:17]
	v_add_u32_e32 v58, 1, v56
	v_add_u32_e32 v57, 1, v55
	v_cndmask_b32_e64 v58, v58, v56, s[14:15]
	v_cndmask_b32_e64 v55, v55, v57, s[14:15]
	v_cmp_ge_i32_e64 s[18:19], v58, v2
	s_waitcnt lgkmcnt(0)
	v_cmp_lt_i16_sdwa s[30:31], sext(v54), sext(v53) src0_sel:BYTE_0 src1_sel:BYTE_0
	v_cmp_gt_i32_e64 s[16:17], s29, v55
	s_or_b64 s[18:19], s[18:19], s[30:31]
	s_and_b64 s[16:17], s[16:17], s[18:19]
	s_xor_b64 s[18:19], s[16:17], -1
                                        ; implicit-def: $vgpr56
                                        ; implicit-def: $vgpr57
	s_and_saveexec_b64 s[30:31], s[18:19]
	s_xor_b64 s[18:19], exec, s[30:31]
	s_cbranch_execz .LBB56_112
; %bb.111:                              ;   in Loop: Header=BB56_2 Depth=1
	ds_read_u8 v56, v58 offset:1
	v_add_u32_e32 v57, 1, v58
                                        ; implicit-def: $vgpr58
.LBB56_112:                             ;   in Loop: Header=BB56_2 Depth=1
	s_or_saveexec_b64 s[18:19], s[18:19]
	v_mov_b32_e32 v59, v54
	s_xor_b64 exec, exec, s[18:19]
	s_cbranch_execz .LBB56_1
; %bb.113:                              ;   in Loop: Header=BB56_2 Depth=1
	ds_read_u8 v59, v55 offset:1
	v_add_u32_e32 v55, 1, v55
	v_mov_b32_e32 v57, v58
	s_waitcnt lgkmcnt(1)
	v_mov_b32_e32 v56, v53
	s_branch .LBB56_1
.LBB56_114:
	s_add_u32 s0, s22, s24
	s_addc_u32 s1, s23, 0
	v_lshl_add_u64 v[0:1], s[0:1], 0, v[0:1]
	global_store_byte v[0:1], v50, off
	global_store_byte v[0:1], v51, off offset:128
	global_store_byte v[0:1], v52, off offset:256
	;; [unrolled: 1-line block ×3, first 2 shown]
	s_endpgm
	.section	.rodata,"a",@progbits
	.p2align	6, 0x0
	.amdhsa_kernel _Z16sort_keys_kernelIaLj128ELj4EN10test_utils4lessELj10EEvPKT_PS2_T2_
		.amdhsa_group_segment_fixed_size 513
		.amdhsa_private_segment_fixed_size 0
		.amdhsa_kernarg_size 20
		.amdhsa_user_sgpr_count 2
		.amdhsa_user_sgpr_dispatch_ptr 0
		.amdhsa_user_sgpr_queue_ptr 0
		.amdhsa_user_sgpr_kernarg_segment_ptr 1
		.amdhsa_user_sgpr_dispatch_id 0
		.amdhsa_user_sgpr_kernarg_preload_length 0
		.amdhsa_user_sgpr_kernarg_preload_offset 0
		.amdhsa_user_sgpr_private_segment_size 0
		.amdhsa_uses_dynamic_stack 0
		.amdhsa_enable_private_segment 0
		.amdhsa_system_sgpr_workgroup_id_x 1
		.amdhsa_system_sgpr_workgroup_id_y 0
		.amdhsa_system_sgpr_workgroup_id_z 0
		.amdhsa_system_sgpr_workgroup_info 0
		.amdhsa_system_vgpr_workitem_id 0
		.amdhsa_next_free_vgpr 60
		.amdhsa_next_free_sgpr 32
		.amdhsa_accum_offset 60
		.amdhsa_reserve_vcc 1
		.amdhsa_float_round_mode_32 0
		.amdhsa_float_round_mode_16_64 0
		.amdhsa_float_denorm_mode_32 3
		.amdhsa_float_denorm_mode_16_64 3
		.amdhsa_dx10_clamp 1
		.amdhsa_ieee_mode 1
		.amdhsa_fp16_overflow 0
		.amdhsa_tg_split 0
		.amdhsa_exception_fp_ieee_invalid_op 0
		.amdhsa_exception_fp_denorm_src 0
		.amdhsa_exception_fp_ieee_div_zero 0
		.amdhsa_exception_fp_ieee_overflow 0
		.amdhsa_exception_fp_ieee_underflow 0
		.amdhsa_exception_fp_ieee_inexact 0
		.amdhsa_exception_int_div_zero 0
	.end_amdhsa_kernel
	.section	.text._Z16sort_keys_kernelIaLj128ELj4EN10test_utils4lessELj10EEvPKT_PS2_T2_,"axG",@progbits,_Z16sort_keys_kernelIaLj128ELj4EN10test_utils4lessELj10EEvPKT_PS2_T2_,comdat
.Lfunc_end56:
	.size	_Z16sort_keys_kernelIaLj128ELj4EN10test_utils4lessELj10EEvPKT_PS2_T2_, .Lfunc_end56-_Z16sort_keys_kernelIaLj128ELj4EN10test_utils4lessELj10EEvPKT_PS2_T2_
                                        ; -- End function
	.section	.AMDGPU.csdata,"",@progbits
; Kernel info:
; codeLenInByte = 5520
; NumSgprs: 38
; NumVgprs: 60
; NumAgprs: 0
; TotalNumVgprs: 60
; ScratchSize: 0
; MemoryBound: 0
; FloatMode: 240
; IeeeMode: 1
; LDSByteSize: 513 bytes/workgroup (compile time only)
; SGPRBlocks: 4
; VGPRBlocks: 7
; NumSGPRsForWavesPerEU: 38
; NumVGPRsForWavesPerEU: 60
; AccumOffset: 60
; Occupancy: 8
; WaveLimiterHint : 1
; COMPUTE_PGM_RSRC2:SCRATCH_EN: 0
; COMPUTE_PGM_RSRC2:USER_SGPR: 2
; COMPUTE_PGM_RSRC2:TRAP_HANDLER: 0
; COMPUTE_PGM_RSRC2:TGID_X_EN: 1
; COMPUTE_PGM_RSRC2:TGID_Y_EN: 0
; COMPUTE_PGM_RSRC2:TGID_Z_EN: 0
; COMPUTE_PGM_RSRC2:TIDIG_COMP_CNT: 0
; COMPUTE_PGM_RSRC3_GFX90A:ACCUM_OFFSET: 14
; COMPUTE_PGM_RSRC3_GFX90A:TG_SPLIT: 0
	.section	.text._Z17sort_pairs_kernelIaLj128ELj4EN10test_utils4lessELj10EEvPKT_PS2_T2_,"axG",@progbits,_Z17sort_pairs_kernelIaLj128ELj4EN10test_utils4lessELj10EEvPKT_PS2_T2_,comdat
	.protected	_Z17sort_pairs_kernelIaLj128ELj4EN10test_utils4lessELj10EEvPKT_PS2_T2_ ; -- Begin function _Z17sort_pairs_kernelIaLj128ELj4EN10test_utils4lessELj10EEvPKT_PS2_T2_
	.globl	_Z17sort_pairs_kernelIaLj128ELj4EN10test_utils4lessELj10EEvPKT_PS2_T2_
	.p2align	8
	.type	_Z17sort_pairs_kernelIaLj128ELj4EN10test_utils4lessELj10EEvPKT_PS2_T2_,@function
_Z17sort_pairs_kernelIaLj128ELj4EN10test_utils4lessELj10EEvPKT_PS2_T2_: ; @_Z17sort_pairs_kernelIaLj128ELj4EN10test_utils4lessELj10EEvPKT_PS2_T2_
; %bb.0:
	s_load_dwordx4 s[36:39], s[0:1], 0x0
	s_lshl_b32 s33, s2, 9
	v_lshlrev_b32_e32 v3, 2, v0
	v_and_b32_e32 v4, 0x1f8, v3
	v_and_b32_e32 v6, 0x1f0, v3
	s_waitcnt lgkmcnt(0)
	s_add_u32 s0, s36, s33
	s_addc_u32 s1, s37, 0
	global_load_ubyte v42, v0, s[0:1] offset:128
	global_load_ubyte v43, v0, s[0:1] offset:384
	global_load_ubyte v44, v0, s[0:1]
	global_load_ubyte v45, v0, s[0:1] offset:256
	v_or_b32_e32 v16, 4, v4
	v_add_u32_e32 v17, 8, v4
	v_and_b32_e32 v5, 4, v3
	v_or_b32_e32 v18, 8, v6
	v_add_u32_e32 v19, 16, v6
	v_sub_u32_e32 v37, v17, v16
	v_and_b32_e32 v7, 12, v3
	v_and_b32_e32 v8, 0x1e0, v3
	v_sub_u32_e32 v38, v19, v18
	v_sub_u32_e32 v46, v5, v37
	v_cmp_ge_i32_e32 vcc, v5, v37
	v_and_b32_e32 v10, 0x1c0, v3
	v_or_b32_e32 v20, 16, v8
	v_add_u32_e32 v21, 32, v8
	v_sub_u32_e32 v47, v7, v38
	v_cndmask_b32_e32 v37, 0, v46, vcc
	v_cmp_ge_i32_e32 vcc, v7, v38
	v_and_b32_e32 v9, 28, v3
	v_or_b32_e32 v22, 32, v10
	v_add_u32_e32 v23, 64, v10
	v_sub_u32_e32 v39, v21, v20
	v_cndmask_b32_e32 v38, 0, v47, vcc
	s_movk_i32 s8, 0x100
	v_and_b32_e32 v11, 60, v3
	v_and_b32_e32 v12, 0x180, v3
	v_sub_u32_e32 v40, v23, v22
	v_sub_u32_e32 v48, v9, v39
	v_cmp_ge_i32_e32 vcc, v9, v39
	v_and_b32_e32 v14, 0x100, v3
	v_or_b32_e32 v24, 64, v12
	v_add_u32_e32 v25, 0x80, v12
	v_sub_u32_e32 v49, v11, v40
	v_cndmask_b32_e32 v39, 0, v48, vcc
	v_cmp_ge_i32_e32 vcc, v11, v40
	v_and_b32_e32 v13, 0x7c, v3
	v_or_b32_e32 v26, 0x80, v14
	v_sub_u32_e32 v41, v25, v24
	v_cndmask_b32_e32 v40, 0, v49, vcc
	v_and_b32_e32 v15, 0xfc, v3
	v_sub_u32_e32 v50, v13, v41
	v_cmp_ge_i32_e32 vcc, v13, v41
	v_mov_b32_e32 v2, 0x100
	v_sub_u32_e32 v32, v16, v4
	v_sub_u32_e32 v33, v18, v6
	;; [unrolled: 1-line block ×5, first 2 shown]
	v_cndmask_b32_e32 v41, 0, v50, vcc
	v_min_i32_e32 v32, v5, v32
	v_min_i32_e32 v33, v7, v33
	;; [unrolled: 1-line block ×5, first 2 shown]
	s_mov_b32 s34, 0
	v_mov_b32_e32 v1, 0
	s_mov_b32 s35, 0xffff
	v_add_u32_e32 v27, v16, v5
	v_add_u32_e32 v28, v18, v7
	;; [unrolled: 1-line block ×5, first 2 shown]
	v_cmp_lt_i32_e32 vcc, v37, v32
	v_cmp_lt_i32_e64 s[0:1], v38, v33
	v_cmp_lt_i32_e64 s[2:3], v39, v34
	;; [unrolled: 1-line block ×4, first 2 shown]
	v_add_u32_e32 v48, 0x100, v3
	s_mov_b32 s36, 0x7060405
	s_mov_b32 s37, 0xc0c0001
	s_movk_i32 s40, 0xff00
	s_mov_b32 s41, 0xffff0000
	s_mov_b32 s42, 0x7050604
	s_movk_i32 s43, 0x200
	s_waitcnt vmcnt(3)
	v_lshlrev_b16_e32 v42, 8, v42
	s_waitcnt vmcnt(2)
	v_lshlrev_b16_e32 v43, 8, v43
	s_waitcnt vmcnt(1)
	v_add_u16_e32 v46, 1, v44
	s_waitcnt vmcnt(0)
	v_add_u16_e32 v47, 1, v45
	v_or_b32_e32 v44, v44, v42
	v_or_b32_sdwa v45, v45, v43 dst_sel:WORD_1 dst_unused:UNUSED_PAD src0_sel:DWORD src1_sel:DWORD
	v_or_b32_sdwa v42, v42, v46 dst_sel:DWORD dst_unused:UNUSED_PAD src0_sel:DWORD src1_sel:BYTE_0
	v_or_b32_sdwa v43, v43, v47 dst_sel:DWORD dst_unused:UNUSED_PAD src0_sel:DWORD src1_sel:BYTE_0
	v_add_u16_e32 v42, 0x100, v42
	v_add_u16_sdwa v43, v43, s8 dst_sel:WORD_1 dst_unused:UNUSED_PAD src0_sel:DWORD src1_sel:DWORD
	v_or_b32_sdwa v50, v44, v45 dst_sel:DWORD dst_unused:UNUSED_PAD src0_sel:WORD_0 src1_sel:DWORD
	v_or_b32_e32 v49, v42, v43
	v_add_u32_e32 v42, 0x100, v14
	v_sub_u32_e32 v43, v42, v26
	v_sub_u32_e32 v44, v26, v14
	;; [unrolled: 1-line block ×3, first 2 shown]
	v_cmp_ge_i32_e64 s[8:9], v15, v43
	v_min_i32_e32 v44, v15, v44
	v_sub_u32_e64 v46, v3, v2 clamp
	v_cndmask_b32_e64 v43, 0, v45, s[8:9]
	v_min_i32_e32 v47, 0x100, v3
	v_cmp_lt_i32_e64 s[8:9], v43, v44
	v_add_u32_e32 v45, v26, v15
	v_cmp_lt_i32_e64 s[10:11], v46, v47
	s_branch .LBB57_2
.LBB57_1:                               ;   in Loop: Header=BB57_2 Depth=1
	s_or_b64 exec, exec, s[18:19]
	v_cndmask_b32_e64 v55, v55, v56, s[12:13]
	v_cndmask_b32_e64 v56, v57, v58, s[14:15]
	;; [unrolled: 1-line block ×4, first 2 shown]
	v_cmp_ge_i32_e64 s[14:15], v64, v2
	s_waitcnt lgkmcnt(0)
	v_cmp_lt_i16_sdwa s[16:17], sext(v68), sext(v65) src0_sel:BYTE_0 src1_sel:BYTE_0
	v_cndmask_b32_e64 v54, v53, v54, s[12:13]
	v_cmp_gt_i32_e64 s[12:13], s43, v63
	s_or_b64 s[14:15], s[14:15], s[16:17]
	s_and_b64 s[12:13], s[12:13], s[14:15]
	v_cndmask_b32_e64 v60, v64, v63, s[12:13]
	s_barrier
	ds_write_b8 v3, v50
	ds_write_b8 v3, v51 offset:1
	ds_write_b8 v3, v52 offset:2
	;; [unrolled: 1-line block ×3, first 2 shown]
	s_waitcnt lgkmcnt(0)
	s_barrier
	ds_read_u8 v51, v66
	ds_read_u8 v52, v60
	;; [unrolled: 1-line block ×4, first 2 shown]
	v_cndmask_b32_e64 v53, v65, v68, s[12:13]
	v_lshlrev_b16_e32 v59, 8, v56
	v_lshlrev_b16_e32 v50, 8, v53
	v_or_b32_sdwa v49, v55, v59 dst_sel:DWORD dst_unused:UNUSED_PAD src0_sel:BYTE_0 src1_sel:DWORD
	v_or_b32_sdwa v50, v57, v50 dst_sel:WORD_1 dst_unused:UNUSED_PAD src0_sel:BYTE_0 src1_sel:DWORD
	s_waitcnt lgkmcnt(2)
	v_lshlrev_b16_e32 v59, 8, v52
	v_or_b32_sdwa v50, v49, v50 dst_sel:DWORD dst_unused:UNUSED_PAD src0_sel:WORD_0 src1_sel:DWORD
	s_waitcnt lgkmcnt(0)
	v_lshlrev_b16_e32 v49, 8, v58
	v_or_b32_e32 v49, v54, v49
	v_or_b32_sdwa v59, v51, v59 dst_sel:WORD_1 dst_unused:UNUSED_PAD src0_sel:DWORD src1_sel:DWORD
	s_add_i32 s34, s34, 1
	s_cmp_eq_u32 s34, 10
	v_or_b32_sdwa v49, v49, v59 dst_sel:DWORD dst_unused:UNUSED_PAD src0_sel:WORD_0 src1_sel:DWORD
	s_cbranch_scc1 .LBB57_114
.LBB57_2:                               ; =>This Loop Header: Depth=1
                                        ;     Child Loop BB57_4 Depth 2
                                        ;     Child Loop BB57_20 Depth 2
	;; [unrolled: 1-line block ×7, first 2 shown]
	v_lshrrev_b32_e32 v52, 8, v50
	v_perm_b32 v51, v50, v50, s36
	v_cmp_lt_i16_sdwa s[12:13], sext(v52), sext(v50) src0_sel:BYTE_0 src1_sel:BYTE_0
	s_barrier
	s_nop 0
	v_cndmask_b32_e64 v50, v50, v51, s[12:13]
	v_lshrrev_b32_e32 v51, 16, v50
	v_perm_b32 v52, 0, v51, s37
	v_lshrrev_b32_e32 v53, 24, v50
	v_lshlrev_b32_e32 v52, 16, v52
	v_and_or_b32 v52, v50, s35, v52
	v_cmp_lt_i16_sdwa s[14:15], sext(v53), sext(v51) src0_sel:BYTE_0 src1_sel:BYTE_0
	v_min_i16_sdwa v51, sext(v53), sext(v51) dst_sel:DWORD dst_unused:UNUSED_PAD src0_sel:BYTE_0 src1_sel:BYTE_0
	v_lshlrev_b16_e32 v54, 8, v51
	v_cndmask_b32_e64 v50, v50, v52, s[14:15]
	v_and_b32_sdwa v52, v50, s40 dst_sel:DWORD dst_unused:UNUSED_PAD src0_sel:WORD_1 src1_sel:DWORD
	v_or_b32_sdwa v52, v50, v52 dst_sel:WORD_1 dst_unused:UNUSED_PAD src0_sel:BYTE_1 src1_sel:DWORD
	v_lshrrev_b32_e32 v53, 8, v50
	v_or_b32_sdwa v54, v50, v54 dst_sel:DWORD dst_unused:UNUSED_PAD src0_sel:BYTE_0 src1_sel:DWORD
	v_or_b32_sdwa v52, v54, v52 dst_sel:DWORD dst_unused:UNUSED_PAD src0_sel:WORD_0 src1_sel:DWORD
	v_cmp_lt_i16_sdwa s[16:17], v51, sext(v53) src0_sel:DWORD src1_sel:BYTE_0
	v_min_i16_sdwa v51, v51, sext(v53) dst_sel:DWORD dst_unused:UNUSED_PAD src0_sel:DWORD src1_sel:BYTE_0
	s_nop 0
	v_cndmask_b32_e64 v50, v50, v52, s[16:17]
	v_lshlrev_b16_e32 v52, 8, v50
	v_or_b32_sdwa v52, v51, v52 dst_sel:DWORD dst_unused:UNUSED_PAD src0_sel:BYTE_0 src1_sel:DWORD
	v_and_b32_e32 v52, 0xffff, v52
	v_and_or_b32 v52, v50, s41, v52
	v_cmp_lt_i16_sdwa s[18:19], v51, sext(v50) src0_sel:DWORD src1_sel:BYTE_0
	s_nop 1
	v_cndmask_b32_e64 v50, v50, v52, s[18:19]
	v_lshrrev_b32_e32 v51, 16, v50
	v_perm_b32 v52, 0, v51, s37
	v_lshrrev_b32_e32 v53, 24, v50
	v_lshlrev_b32_e32 v52, 16, v52
	v_and_or_b32 v52, v50, s35, v52
	v_cmp_lt_i16_sdwa s[20:21], sext(v53), sext(v51) src0_sel:BYTE_0 src1_sel:BYTE_0
	v_min_i16_sdwa v51, sext(v53), sext(v51) dst_sel:DWORD dst_unused:UNUSED_PAD src0_sel:BYTE_0 src1_sel:BYTE_0
	v_lshlrev_b16_e32 v54, 8, v51
	v_cndmask_b32_e64 v50, v50, v52, s[20:21]
	v_and_b32_sdwa v52, v50, s40 dst_sel:DWORD dst_unused:UNUSED_PAD src0_sel:WORD_1 src1_sel:DWORD
	v_or_b32_sdwa v52, v50, v52 dst_sel:WORD_1 dst_unused:UNUSED_PAD src0_sel:BYTE_1 src1_sel:DWORD
	v_lshrrev_b32_e32 v53, 8, v50
	v_or_b32_sdwa v54, v50, v54 dst_sel:DWORD dst_unused:UNUSED_PAD src0_sel:BYTE_0 src1_sel:DWORD
	v_or_b32_sdwa v52, v54, v52 dst_sel:DWORD dst_unused:UNUSED_PAD src0_sel:WORD_0 src1_sel:DWORD
	v_cmp_lt_i16_sdwa s[22:23], v51, sext(v53) src0_sel:DWORD src1_sel:BYTE_0
	v_mov_b32_e32 v51, v37
	s_nop 0
	v_cndmask_b32_e64 v50, v50, v52, s[22:23]
	ds_write_b32 v3, v50
	s_waitcnt lgkmcnt(0)
	s_barrier
	s_and_saveexec_b64 s[26:27], vcc
	s_cbranch_execz .LBB57_6
; %bb.3:                                ;   in Loop: Header=BB57_2 Depth=1
	s_mov_b64 s[28:29], 0
	v_mov_b32_e32 v51, v37
	v_mov_b32_e32 v50, v32
.LBB57_4:                               ;   Parent Loop BB57_2 Depth=1
                                        ; =>  This Inner Loop Header: Depth=2
	v_sub_u32_e32 v52, v50, v51
	v_lshrrev_b32_e32 v53, 31, v52
	v_add_u32_e32 v52, v52, v53
	v_ashrrev_i32_e32 v52, 1, v52
	v_add_u32_e32 v52, v52, v51
	v_not_b32_e32 v54, v52
	v_add_u32_e32 v53, v4, v52
	v_add3_u32 v54, v5, v54, v16
	ds_read_i8 v53, v53
	ds_read_i8 v54, v54
	v_add_u32_e32 v55, 1, v52
	s_waitcnt lgkmcnt(0)
	v_cmp_lt_i16_e64 s[24:25], v54, v53
	s_nop 1
	v_cndmask_b32_e64 v50, v50, v52, s[24:25]
	v_cndmask_b32_e64 v51, v55, v51, s[24:25]
	v_cmp_ge_i32_e64 s[24:25], v51, v50
	s_or_b64 s[28:29], s[24:25], s[28:29]
	s_andn2_b64 exec, exec, s[28:29]
	s_cbranch_execnz .LBB57_4
; %bb.5:                                ;   in Loop: Header=BB57_2 Depth=1
	s_or_b64 exec, exec, s[28:29]
.LBB57_6:                               ;   in Loop: Header=BB57_2 Depth=1
	s_or_b64 exec, exec, s[26:27]
	v_add_u32_e32 v50, v51, v4
	v_sub_u32_e32 v51, v27, v51
	ds_read_u8 v52, v50
	ds_read_u8 v53, v51
	v_cmp_le_i32_e64 s[26:27], v16, v50
	v_cmp_gt_i32_e64 s[24:25], v17, v51
                                        ; implicit-def: $vgpr54
	s_waitcnt lgkmcnt(1)
	v_bfe_i32 v52, v52, 0, 8
	s_waitcnt lgkmcnt(0)
	v_bfe_i32 v53, v53, 0, 8
	v_cmp_lt_i16_e64 s[28:29], v53, v52
	s_or_b64 s[26:27], s[26:27], s[28:29]
	s_and_b64 s[24:25], s[24:25], s[26:27]
	s_xor_b64 s[26:27], s[24:25], -1
	s_and_saveexec_b64 s[28:29], s[26:27]
	s_xor_b64 s[26:27], exec, s[28:29]
	s_cbranch_execz .LBB57_8
; %bb.7:                                ;   in Loop: Header=BB57_2 Depth=1
	ds_read_u8 v54, v50 offset:1
.LBB57_8:                               ;   in Loop: Header=BB57_2 Depth=1
	s_or_saveexec_b64 s[26:27], s[26:27]
	v_mov_b32_e32 v55, v53
	s_xor_b64 exec, exec, s[26:27]
	s_cbranch_execz .LBB57_10
; %bb.9:                                ;   in Loop: Header=BB57_2 Depth=1
	ds_read_u8 v55, v51 offset:1
	s_waitcnt lgkmcnt(1)
	v_mov_b32_e32 v54, v52
.LBB57_10:                              ;   in Loop: Header=BB57_2 Depth=1
	s_or_b64 exec, exec, s[26:27]
	v_add_u32_e32 v57, 1, v50
	v_add_u32_e32 v56, 1, v51
	v_cndmask_b32_e64 v57, v57, v50, s[24:25]
	v_cndmask_b32_e64 v56, v51, v56, s[24:25]
	v_cmp_ge_i32_e64 s[28:29], v57, v16
	s_waitcnt lgkmcnt(0)
	v_cmp_lt_i16_sdwa s[30:31], sext(v55), sext(v54) src0_sel:BYTE_0 src1_sel:BYTE_0
	v_cmp_lt_i32_e64 s[26:27], v56, v17
	s_or_b64 s[28:29], s[28:29], s[30:31]
	s_and_b64 s[26:27], s[26:27], s[28:29]
	s_xor_b64 s[28:29], s[26:27], -1
                                        ; implicit-def: $vgpr58
	s_and_saveexec_b64 s[30:31], s[28:29]
	s_xor_b64 s[28:29], exec, s[30:31]
	s_cbranch_execz .LBB57_12
; %bb.11:                               ;   in Loop: Header=BB57_2 Depth=1
	ds_read_u8 v58, v57 offset:1
.LBB57_12:                              ;   in Loop: Header=BB57_2 Depth=1
	s_or_saveexec_b64 s[28:29], s[28:29]
	v_mov_b32_e32 v60, v55
	s_xor_b64 exec, exec, s[28:29]
	s_cbranch_execz .LBB57_14
; %bb.13:                               ;   in Loop: Header=BB57_2 Depth=1
	ds_read_u8 v60, v56 offset:1
	s_waitcnt lgkmcnt(1)
	v_mov_b32_e32 v58, v54
.LBB57_14:                              ;   in Loop: Header=BB57_2 Depth=1
	s_or_b64 exec, exec, s[28:29]
	v_add_u32_e32 v62, 1, v57
	v_add_u32_e32 v59, 1, v56
	v_cndmask_b32_e64 v63, v62, v57, s[26:27]
	v_cndmask_b32_e64 v61, v56, v59, s[26:27]
	v_cmp_ge_i32_e64 s[30:31], v63, v16
	s_waitcnt lgkmcnt(0)
	v_cmp_lt_i16_sdwa s[44:45], sext(v60), sext(v58) src0_sel:BYTE_0 src1_sel:BYTE_0
	v_cmp_lt_i32_e64 s[28:29], v61, v17
	s_or_b64 s[30:31], s[30:31], s[44:45]
	s_and_b64 s[28:29], s[28:29], s[30:31]
	s_xor_b64 s[30:31], s[28:29], -1
                                        ; implicit-def: $vgpr59
	s_and_saveexec_b64 s[44:45], s[30:31]
	s_xor_b64 s[30:31], exec, s[44:45]
	s_cbranch_execz .LBB57_16
; %bb.15:                               ;   in Loop: Header=BB57_2 Depth=1
	ds_read_u8 v59, v63 offset:1
.LBB57_16:                              ;   in Loop: Header=BB57_2 Depth=1
	s_or_saveexec_b64 s[30:31], s[30:31]
	v_mov_b32_e32 v62, v60
	s_xor_b64 exec, exec, s[30:31]
	s_cbranch_execz .LBB57_18
; %bb.17:                               ;   in Loop: Header=BB57_2 Depth=1
	ds_read_u8 v62, v61 offset:1
	s_waitcnt lgkmcnt(1)
	v_mov_b32_e32 v59, v58
.LBB57_18:                              ;   in Loop: Header=BB57_2 Depth=1
	s_or_b64 exec, exec, s[30:31]
	v_perm_b32 v64, v49, v49, s36
	v_cndmask_b32_e64 v49, v49, v64, s[12:13]
	v_cndmask_b32_e64 v50, v50, v51, s[24:25]
	v_lshrrev_b32_e32 v51, 16, v49
	v_perm_b32 v51, 0, v51, s37
	v_lshlrev_b32_e32 v51, 16, v51
	v_and_or_b32 v51, v49, s35, v51
	v_cndmask_b32_e64 v49, v49, v51, s[14:15]
	v_perm_b32 v51, v49, v49, s42
	v_cndmask_b32_e64 v49, v49, v51, s[16:17]
	v_perm_b32 v51, 0, v49, s37
	v_and_or_b32 v51, v49, s41, v51
	v_cndmask_b32_e64 v49, v49, v51, s[18:19]
	v_lshrrev_b32_e32 v51, 16, v49
	v_add_u32_e32 v65, 1, v63
	v_perm_b32 v51, 0, v51, s37
	v_cndmask_b32_e64 v58, v58, v60, s[28:29]
	v_add_u32_e32 v60, 1, v61
	v_cndmask_b32_e64 v65, v65, v63, s[28:29]
	v_lshlrev_b32_e32 v51, 16, v51
	v_cndmask_b32_e64 v60, v61, v60, s[28:29]
	v_and_or_b32 v51, v49, s35, v51
	v_cmp_ge_i32_e64 s[14:15], v65, v16
	s_waitcnt lgkmcnt(0)
	v_cmp_lt_i16_sdwa s[16:17], sext(v62), sext(v59) src0_sel:BYTE_0 src1_sel:BYTE_0
	v_cndmask_b32_e64 v49, v49, v51, s[20:21]
	v_cmp_lt_i32_e64 s[12:13], v60, v17
	s_or_b64 s[14:15], s[14:15], s[16:17]
	v_perm_b32 v51, v49, v49, s42
	s_and_b64 s[12:13], s[12:13], s[14:15]
	v_cndmask_b32_e64 v49, v49, v51, s[22:23]
	v_cndmask_b32_e64 v51, v65, v60, s[12:13]
	;; [unrolled: 1-line block ×6, first 2 shown]
	s_barrier
	ds_write_b32 v3, v49
	s_waitcnt lgkmcnt(0)
	s_barrier
	ds_read_u8 v49, v51
	ds_read_u8 v50, v50
	;; [unrolled: 1-line block ×4, first 2 shown]
	v_cndmask_b32_e64 v56, v59, v62, s[12:13]
	s_waitcnt lgkmcnt(0)
	s_barrier
	ds_write_b8 v3, v53
	ds_write_b8 v3, v54 offset:1
	ds_write_b8 v3, v58 offset:2
	;; [unrolled: 1-line block ×3, first 2 shown]
	v_mov_b32_e32 v54, v38
	s_waitcnt lgkmcnt(0)
	s_barrier
	s_and_saveexec_b64 s[14:15], s[0:1]
	s_cbranch_execz .LBB57_22
; %bb.19:                               ;   in Loop: Header=BB57_2 Depth=1
	s_mov_b64 s[16:17], 0
	v_mov_b32_e32 v54, v38
	v_mov_b32_e32 v53, v33
.LBB57_20:                              ;   Parent Loop BB57_2 Depth=1
                                        ; =>  This Inner Loop Header: Depth=2
	v_sub_u32_e32 v55, v53, v54
	v_lshrrev_b32_e32 v56, 31, v55
	v_add_u32_e32 v55, v55, v56
	v_ashrrev_i32_e32 v55, 1, v55
	v_add_u32_e32 v55, v55, v54
	v_not_b32_e32 v57, v55
	v_add_u32_e32 v56, v6, v55
	v_add3_u32 v57, v7, v57, v18
	ds_read_i8 v56, v56
	ds_read_i8 v57, v57
	v_add_u32_e32 v58, 1, v55
	s_waitcnt lgkmcnt(0)
	v_cmp_lt_i16_e64 s[12:13], v57, v56
	s_nop 1
	v_cndmask_b32_e64 v53, v53, v55, s[12:13]
	v_cndmask_b32_e64 v54, v58, v54, s[12:13]
	v_cmp_ge_i32_e64 s[12:13], v54, v53
	s_or_b64 s[16:17], s[12:13], s[16:17]
	s_andn2_b64 exec, exec, s[16:17]
	s_cbranch_execnz .LBB57_20
; %bb.21:                               ;   in Loop: Header=BB57_2 Depth=1
	s_or_b64 exec, exec, s[16:17]
.LBB57_22:                              ;   in Loop: Header=BB57_2 Depth=1
	s_or_b64 exec, exec, s[14:15]
	v_add_u32_e32 v53, v54, v6
	v_sub_u32_e32 v54, v28, v54
	ds_read_u8 v55, v53
	ds_read_u8 v56, v54
	v_cmp_le_i32_e64 s[14:15], v18, v53
	v_cmp_gt_i32_e64 s[12:13], v19, v54
                                        ; implicit-def: $vgpr57
	s_waitcnt lgkmcnt(1)
	v_bfe_i32 v55, v55, 0, 8
	s_waitcnt lgkmcnt(0)
	v_bfe_i32 v56, v56, 0, 8
	v_cmp_lt_i16_e64 s[16:17], v56, v55
	s_or_b64 s[14:15], s[14:15], s[16:17]
	s_and_b64 s[12:13], s[12:13], s[14:15]
	s_xor_b64 s[14:15], s[12:13], -1
	s_and_saveexec_b64 s[16:17], s[14:15]
	s_xor_b64 s[14:15], exec, s[16:17]
	s_cbranch_execz .LBB57_24
; %bb.23:                               ;   in Loop: Header=BB57_2 Depth=1
	ds_read_u8 v57, v53 offset:1
.LBB57_24:                              ;   in Loop: Header=BB57_2 Depth=1
	s_or_saveexec_b64 s[14:15], s[14:15]
	v_mov_b32_e32 v58, v56
	s_xor_b64 exec, exec, s[14:15]
	s_cbranch_execz .LBB57_26
; %bb.25:                               ;   in Loop: Header=BB57_2 Depth=1
	ds_read_u8 v58, v54 offset:1
	s_waitcnt lgkmcnt(1)
	v_mov_b32_e32 v57, v55
.LBB57_26:                              ;   in Loop: Header=BB57_2 Depth=1
	s_or_b64 exec, exec, s[14:15]
	v_add_u32_e32 v60, 1, v53
	v_add_u32_e32 v59, 1, v54
	v_cndmask_b32_e64 v60, v60, v53, s[12:13]
	v_cndmask_b32_e64 v59, v54, v59, s[12:13]
	v_cmp_ge_i32_e64 s[16:17], v60, v18
	s_waitcnt lgkmcnt(0)
	v_cmp_lt_i16_sdwa s[18:19], sext(v58), sext(v57) src0_sel:BYTE_0 src1_sel:BYTE_0
	v_cmp_lt_i32_e64 s[14:15], v59, v19
	s_or_b64 s[16:17], s[16:17], s[18:19]
	s_and_b64 s[14:15], s[14:15], s[16:17]
	s_xor_b64 s[16:17], s[14:15], -1
                                        ; implicit-def: $vgpr61
	s_and_saveexec_b64 s[18:19], s[16:17]
	s_xor_b64 s[16:17], exec, s[18:19]
	s_cbranch_execz .LBB57_28
; %bb.27:                               ;   in Loop: Header=BB57_2 Depth=1
	ds_read_u8 v61, v60 offset:1
.LBB57_28:                              ;   in Loop: Header=BB57_2 Depth=1
	s_or_saveexec_b64 s[16:17], s[16:17]
	v_mov_b32_e32 v62, v58
	s_xor_b64 exec, exec, s[16:17]
	s_cbranch_execz .LBB57_30
; %bb.29:                               ;   in Loop: Header=BB57_2 Depth=1
	ds_read_u8 v62, v59 offset:1
	s_waitcnt lgkmcnt(1)
	v_mov_b32_e32 v61, v57
.LBB57_30:                              ;   in Loop: Header=BB57_2 Depth=1
	s_or_b64 exec, exec, s[16:17]
	v_add_u32_e32 v64, 1, v60
	v_add_u32_e32 v63, 1, v59
	v_cndmask_b32_e64 v64, v64, v60, s[14:15]
	v_cndmask_b32_e64 v63, v59, v63, s[14:15]
	v_cmp_ge_i32_e64 s[18:19], v64, v18
	s_waitcnt lgkmcnt(0)
	v_cmp_lt_i16_sdwa s[20:21], sext(v62), sext(v61) src0_sel:BYTE_0 src1_sel:BYTE_0
	v_cmp_lt_i32_e64 s[16:17], v63, v19
	s_or_b64 s[18:19], s[18:19], s[20:21]
	s_and_b64 s[16:17], s[16:17], s[18:19]
	s_xor_b64 s[18:19], s[16:17], -1
                                        ; implicit-def: $vgpr65
	s_and_saveexec_b64 s[20:21], s[18:19]
	s_xor_b64 s[18:19], exec, s[20:21]
	s_cbranch_execz .LBB57_32
; %bb.31:                               ;   in Loop: Header=BB57_2 Depth=1
	ds_read_u8 v65, v64 offset:1
.LBB57_32:                              ;   in Loop: Header=BB57_2 Depth=1
	s_or_saveexec_b64 s[18:19], s[18:19]
	v_mov_b32_e32 v66, v62
	s_xor_b64 exec, exec, s[18:19]
	s_cbranch_execz .LBB57_34
; %bb.33:                               ;   in Loop: Header=BB57_2 Depth=1
	ds_read_u8 v66, v63 offset:1
	s_waitcnt lgkmcnt(1)
	v_mov_b32_e32 v65, v61
.LBB57_34:                              ;   in Loop: Header=BB57_2 Depth=1
	s_or_b64 exec, exec, s[18:19]
	v_add_u32_e32 v67, 1, v64
	v_cndmask_b32_e64 v61, v61, v62, s[16:17]
	v_add_u32_e32 v62, 1, v63
	v_cndmask_b32_e64 v67, v67, v64, s[16:17]
	v_cndmask_b32_e64 v62, v63, v62, s[16:17]
	;; [unrolled: 1-line block ×5, first 2 shown]
	v_cmp_ge_i32_e64 s[14:15], v67, v18
	s_waitcnt lgkmcnt(0)
	v_cmp_lt_i16_sdwa s[16:17], sext(v66), sext(v65) src0_sel:BYTE_0 src1_sel:BYTE_0
	v_cndmask_b32_e64 v55, v55, v56, s[12:13]
	v_cndmask_b32_e64 v53, v53, v54, s[12:13]
	v_cmp_lt_i32_e64 s[12:13], v62, v19
	s_or_b64 s[14:15], s[14:15], s[16:17]
	s_and_b64 s[12:13], s[12:13], s[14:15]
	v_cndmask_b32_e64 v56, v67, v62, s[12:13]
	s_barrier
	ds_write_b8 v3, v50
	ds_write_b8 v3, v51 offset:1
	ds_write_b8 v3, v52 offset:2
	;; [unrolled: 1-line block ×3, first 2 shown]
	s_waitcnt lgkmcnt(0)
	s_barrier
	ds_read_u8 v49, v56
	ds_read_u8 v50, v53
	;; [unrolled: 1-line block ×4, first 2 shown]
	v_cndmask_b32_e64 v54, v65, v66, s[12:13]
	s_waitcnt lgkmcnt(0)
	s_barrier
	ds_write_b8 v3, v55
	ds_write_b8 v3, v57 offset:1
	ds_write_b8 v3, v61 offset:2
	;; [unrolled: 1-line block ×3, first 2 shown]
	v_mov_b32_e32 v54, v39
	s_waitcnt lgkmcnt(0)
	s_barrier
	s_and_saveexec_b64 s[14:15], s[2:3]
	s_cbranch_execz .LBB57_38
; %bb.35:                               ;   in Loop: Header=BB57_2 Depth=1
	s_mov_b64 s[16:17], 0
	v_mov_b32_e32 v54, v39
	v_mov_b32_e32 v53, v34
.LBB57_36:                              ;   Parent Loop BB57_2 Depth=1
                                        ; =>  This Inner Loop Header: Depth=2
	v_sub_u32_e32 v55, v53, v54
	v_lshrrev_b32_e32 v56, 31, v55
	v_add_u32_e32 v55, v55, v56
	v_ashrrev_i32_e32 v55, 1, v55
	v_add_u32_e32 v55, v55, v54
	v_not_b32_e32 v57, v55
	v_add_u32_e32 v56, v8, v55
	v_add3_u32 v57, v9, v57, v20
	ds_read_i8 v56, v56
	ds_read_i8 v57, v57
	v_add_u32_e32 v58, 1, v55
	s_waitcnt lgkmcnt(0)
	v_cmp_lt_i16_e64 s[12:13], v57, v56
	s_nop 1
	v_cndmask_b32_e64 v53, v53, v55, s[12:13]
	v_cndmask_b32_e64 v54, v58, v54, s[12:13]
	v_cmp_ge_i32_e64 s[12:13], v54, v53
	s_or_b64 s[16:17], s[12:13], s[16:17]
	s_andn2_b64 exec, exec, s[16:17]
	s_cbranch_execnz .LBB57_36
; %bb.37:                               ;   in Loop: Header=BB57_2 Depth=1
	s_or_b64 exec, exec, s[16:17]
.LBB57_38:                              ;   in Loop: Header=BB57_2 Depth=1
	s_or_b64 exec, exec, s[14:15]
	v_add_u32_e32 v53, v54, v8
	v_sub_u32_e32 v54, v29, v54
	ds_read_u8 v55, v53
	ds_read_u8 v56, v54
	v_cmp_le_i32_e64 s[14:15], v20, v53
	v_cmp_gt_i32_e64 s[12:13], v21, v54
                                        ; implicit-def: $vgpr57
	s_waitcnt lgkmcnt(1)
	v_bfe_i32 v55, v55, 0, 8
	s_waitcnt lgkmcnt(0)
	v_bfe_i32 v56, v56, 0, 8
	v_cmp_lt_i16_e64 s[16:17], v56, v55
	s_or_b64 s[14:15], s[14:15], s[16:17]
	s_and_b64 s[12:13], s[12:13], s[14:15]
	s_xor_b64 s[14:15], s[12:13], -1
	s_and_saveexec_b64 s[16:17], s[14:15]
	s_xor_b64 s[14:15], exec, s[16:17]
	s_cbranch_execz .LBB57_40
; %bb.39:                               ;   in Loop: Header=BB57_2 Depth=1
	ds_read_u8 v57, v53 offset:1
.LBB57_40:                              ;   in Loop: Header=BB57_2 Depth=1
	s_or_saveexec_b64 s[14:15], s[14:15]
	v_mov_b32_e32 v58, v56
	s_xor_b64 exec, exec, s[14:15]
	s_cbranch_execz .LBB57_42
; %bb.41:                               ;   in Loop: Header=BB57_2 Depth=1
	ds_read_u8 v58, v54 offset:1
	s_waitcnt lgkmcnt(1)
	v_mov_b32_e32 v57, v55
.LBB57_42:                              ;   in Loop: Header=BB57_2 Depth=1
	s_or_b64 exec, exec, s[14:15]
	v_add_u32_e32 v60, 1, v53
	v_add_u32_e32 v59, 1, v54
	v_cndmask_b32_e64 v60, v60, v53, s[12:13]
	v_cndmask_b32_e64 v59, v54, v59, s[12:13]
	v_cmp_ge_i32_e64 s[16:17], v60, v20
	s_waitcnt lgkmcnt(0)
	v_cmp_lt_i16_sdwa s[18:19], sext(v58), sext(v57) src0_sel:BYTE_0 src1_sel:BYTE_0
	v_cmp_lt_i32_e64 s[14:15], v59, v21
	s_or_b64 s[16:17], s[16:17], s[18:19]
	s_and_b64 s[14:15], s[14:15], s[16:17]
	s_xor_b64 s[16:17], s[14:15], -1
                                        ; implicit-def: $vgpr61
	s_and_saveexec_b64 s[18:19], s[16:17]
	s_xor_b64 s[16:17], exec, s[18:19]
	s_cbranch_execz .LBB57_44
; %bb.43:                               ;   in Loop: Header=BB57_2 Depth=1
	ds_read_u8 v61, v60 offset:1
.LBB57_44:                              ;   in Loop: Header=BB57_2 Depth=1
	s_or_saveexec_b64 s[16:17], s[16:17]
	v_mov_b32_e32 v62, v58
	s_xor_b64 exec, exec, s[16:17]
	s_cbranch_execz .LBB57_46
; %bb.45:                               ;   in Loop: Header=BB57_2 Depth=1
	ds_read_u8 v62, v59 offset:1
	s_waitcnt lgkmcnt(1)
	v_mov_b32_e32 v61, v57
.LBB57_46:                              ;   in Loop: Header=BB57_2 Depth=1
	s_or_b64 exec, exec, s[16:17]
	v_add_u32_e32 v64, 1, v60
	v_add_u32_e32 v63, 1, v59
	v_cndmask_b32_e64 v64, v64, v60, s[14:15]
	v_cndmask_b32_e64 v63, v59, v63, s[14:15]
	v_cmp_ge_i32_e64 s[18:19], v64, v20
	s_waitcnt lgkmcnt(0)
	v_cmp_lt_i16_sdwa s[20:21], sext(v62), sext(v61) src0_sel:BYTE_0 src1_sel:BYTE_0
	v_cmp_lt_i32_e64 s[16:17], v63, v21
	s_or_b64 s[18:19], s[18:19], s[20:21]
	s_and_b64 s[16:17], s[16:17], s[18:19]
	s_xor_b64 s[18:19], s[16:17], -1
                                        ; implicit-def: $vgpr65
	s_and_saveexec_b64 s[20:21], s[18:19]
	s_xor_b64 s[18:19], exec, s[20:21]
	s_cbranch_execz .LBB57_48
; %bb.47:                               ;   in Loop: Header=BB57_2 Depth=1
	ds_read_u8 v65, v64 offset:1
.LBB57_48:                              ;   in Loop: Header=BB57_2 Depth=1
	s_or_saveexec_b64 s[18:19], s[18:19]
	v_mov_b32_e32 v66, v62
	s_xor_b64 exec, exec, s[18:19]
	s_cbranch_execz .LBB57_50
; %bb.49:                               ;   in Loop: Header=BB57_2 Depth=1
	ds_read_u8 v66, v63 offset:1
	s_waitcnt lgkmcnt(1)
	v_mov_b32_e32 v65, v61
.LBB57_50:                              ;   in Loop: Header=BB57_2 Depth=1
	s_or_b64 exec, exec, s[18:19]
	v_add_u32_e32 v67, 1, v64
	v_cndmask_b32_e64 v61, v61, v62, s[16:17]
	v_add_u32_e32 v62, 1, v63
	v_cndmask_b32_e64 v67, v67, v64, s[16:17]
	v_cndmask_b32_e64 v62, v63, v62, s[16:17]
	;; [unrolled: 1-line block ×5, first 2 shown]
	v_cmp_ge_i32_e64 s[14:15], v67, v20
	s_waitcnt lgkmcnt(0)
	v_cmp_lt_i16_sdwa s[16:17], sext(v66), sext(v65) src0_sel:BYTE_0 src1_sel:BYTE_0
	v_cndmask_b32_e64 v55, v55, v56, s[12:13]
	v_cndmask_b32_e64 v53, v53, v54, s[12:13]
	v_cmp_lt_i32_e64 s[12:13], v62, v21
	s_or_b64 s[14:15], s[14:15], s[16:17]
	s_and_b64 s[12:13], s[12:13], s[14:15]
	v_cndmask_b32_e64 v56, v67, v62, s[12:13]
	s_barrier
	ds_write_b8 v3, v50
	ds_write_b8 v3, v51 offset:1
	ds_write_b8 v3, v52 offset:2
	ds_write_b8 v3, v49 offset:3
	s_waitcnt lgkmcnt(0)
	s_barrier
	ds_read_u8 v49, v56
	ds_read_u8 v50, v53
	;; [unrolled: 1-line block ×4, first 2 shown]
	v_cndmask_b32_e64 v54, v65, v66, s[12:13]
	s_waitcnt lgkmcnt(0)
	s_barrier
	ds_write_b8 v3, v55
	ds_write_b8 v3, v57 offset:1
	ds_write_b8 v3, v61 offset:2
	;; [unrolled: 1-line block ×3, first 2 shown]
	v_mov_b32_e32 v54, v40
	s_waitcnt lgkmcnt(0)
	s_barrier
	s_and_saveexec_b64 s[14:15], s[4:5]
	s_cbranch_execz .LBB57_54
; %bb.51:                               ;   in Loop: Header=BB57_2 Depth=1
	s_mov_b64 s[16:17], 0
	v_mov_b32_e32 v54, v40
	v_mov_b32_e32 v53, v35
.LBB57_52:                              ;   Parent Loop BB57_2 Depth=1
                                        ; =>  This Inner Loop Header: Depth=2
	v_sub_u32_e32 v55, v53, v54
	v_lshrrev_b32_e32 v56, 31, v55
	v_add_u32_e32 v55, v55, v56
	v_ashrrev_i32_e32 v55, 1, v55
	v_add_u32_e32 v55, v55, v54
	v_not_b32_e32 v57, v55
	v_add_u32_e32 v56, v10, v55
	v_add3_u32 v57, v11, v57, v22
	ds_read_i8 v56, v56
	ds_read_i8 v57, v57
	v_add_u32_e32 v58, 1, v55
	s_waitcnt lgkmcnt(0)
	v_cmp_lt_i16_e64 s[12:13], v57, v56
	s_nop 1
	v_cndmask_b32_e64 v53, v53, v55, s[12:13]
	v_cndmask_b32_e64 v54, v58, v54, s[12:13]
	v_cmp_ge_i32_e64 s[12:13], v54, v53
	s_or_b64 s[16:17], s[12:13], s[16:17]
	s_andn2_b64 exec, exec, s[16:17]
	s_cbranch_execnz .LBB57_52
; %bb.53:                               ;   in Loop: Header=BB57_2 Depth=1
	s_or_b64 exec, exec, s[16:17]
.LBB57_54:                              ;   in Loop: Header=BB57_2 Depth=1
	s_or_b64 exec, exec, s[14:15]
	v_add_u32_e32 v53, v54, v10
	v_sub_u32_e32 v54, v30, v54
	ds_read_u8 v55, v53
	ds_read_u8 v56, v54
	v_cmp_le_i32_e64 s[14:15], v22, v53
	v_cmp_gt_i32_e64 s[12:13], v23, v54
                                        ; implicit-def: $vgpr57
	s_waitcnt lgkmcnt(1)
	v_bfe_i32 v55, v55, 0, 8
	s_waitcnt lgkmcnt(0)
	v_bfe_i32 v56, v56, 0, 8
	v_cmp_lt_i16_e64 s[16:17], v56, v55
	s_or_b64 s[14:15], s[14:15], s[16:17]
	s_and_b64 s[12:13], s[12:13], s[14:15]
	s_xor_b64 s[14:15], s[12:13], -1
	s_and_saveexec_b64 s[16:17], s[14:15]
	s_xor_b64 s[14:15], exec, s[16:17]
	s_cbranch_execz .LBB57_56
; %bb.55:                               ;   in Loop: Header=BB57_2 Depth=1
	ds_read_u8 v57, v53 offset:1
.LBB57_56:                              ;   in Loop: Header=BB57_2 Depth=1
	s_or_saveexec_b64 s[14:15], s[14:15]
	v_mov_b32_e32 v58, v56
	s_xor_b64 exec, exec, s[14:15]
	s_cbranch_execz .LBB57_58
; %bb.57:                               ;   in Loop: Header=BB57_2 Depth=1
	ds_read_u8 v58, v54 offset:1
	s_waitcnt lgkmcnt(1)
	v_mov_b32_e32 v57, v55
.LBB57_58:                              ;   in Loop: Header=BB57_2 Depth=1
	s_or_b64 exec, exec, s[14:15]
	v_add_u32_e32 v60, 1, v53
	v_add_u32_e32 v59, 1, v54
	v_cndmask_b32_e64 v60, v60, v53, s[12:13]
	v_cndmask_b32_e64 v59, v54, v59, s[12:13]
	v_cmp_ge_i32_e64 s[16:17], v60, v22
	s_waitcnt lgkmcnt(0)
	v_cmp_lt_i16_sdwa s[18:19], sext(v58), sext(v57) src0_sel:BYTE_0 src1_sel:BYTE_0
	v_cmp_lt_i32_e64 s[14:15], v59, v23
	s_or_b64 s[16:17], s[16:17], s[18:19]
	s_and_b64 s[14:15], s[14:15], s[16:17]
	s_xor_b64 s[16:17], s[14:15], -1
                                        ; implicit-def: $vgpr61
	s_and_saveexec_b64 s[18:19], s[16:17]
	s_xor_b64 s[16:17], exec, s[18:19]
	s_cbranch_execz .LBB57_60
; %bb.59:                               ;   in Loop: Header=BB57_2 Depth=1
	ds_read_u8 v61, v60 offset:1
.LBB57_60:                              ;   in Loop: Header=BB57_2 Depth=1
	s_or_saveexec_b64 s[16:17], s[16:17]
	v_mov_b32_e32 v62, v58
	s_xor_b64 exec, exec, s[16:17]
	s_cbranch_execz .LBB57_62
; %bb.61:                               ;   in Loop: Header=BB57_2 Depth=1
	ds_read_u8 v62, v59 offset:1
	s_waitcnt lgkmcnt(1)
	v_mov_b32_e32 v61, v57
.LBB57_62:                              ;   in Loop: Header=BB57_2 Depth=1
	s_or_b64 exec, exec, s[16:17]
	v_add_u32_e32 v64, 1, v60
	v_add_u32_e32 v63, 1, v59
	v_cndmask_b32_e64 v64, v64, v60, s[14:15]
	v_cndmask_b32_e64 v63, v59, v63, s[14:15]
	v_cmp_ge_i32_e64 s[18:19], v64, v22
	s_waitcnt lgkmcnt(0)
	v_cmp_lt_i16_sdwa s[20:21], sext(v62), sext(v61) src0_sel:BYTE_0 src1_sel:BYTE_0
	v_cmp_lt_i32_e64 s[16:17], v63, v23
	s_or_b64 s[18:19], s[18:19], s[20:21]
	s_and_b64 s[16:17], s[16:17], s[18:19]
	s_xor_b64 s[18:19], s[16:17], -1
                                        ; implicit-def: $vgpr65
	s_and_saveexec_b64 s[20:21], s[18:19]
	s_xor_b64 s[18:19], exec, s[20:21]
	s_cbranch_execz .LBB57_64
; %bb.63:                               ;   in Loop: Header=BB57_2 Depth=1
	ds_read_u8 v65, v64 offset:1
.LBB57_64:                              ;   in Loop: Header=BB57_2 Depth=1
	s_or_saveexec_b64 s[18:19], s[18:19]
	v_mov_b32_e32 v66, v62
	s_xor_b64 exec, exec, s[18:19]
	s_cbranch_execz .LBB57_66
; %bb.65:                               ;   in Loop: Header=BB57_2 Depth=1
	ds_read_u8 v66, v63 offset:1
	s_waitcnt lgkmcnt(1)
	v_mov_b32_e32 v65, v61
.LBB57_66:                              ;   in Loop: Header=BB57_2 Depth=1
	s_or_b64 exec, exec, s[18:19]
	v_add_u32_e32 v67, 1, v64
	v_cndmask_b32_e64 v61, v61, v62, s[16:17]
	v_add_u32_e32 v62, 1, v63
	v_cndmask_b32_e64 v67, v67, v64, s[16:17]
	v_cndmask_b32_e64 v62, v63, v62, s[16:17]
	;; [unrolled: 1-line block ×5, first 2 shown]
	v_cmp_ge_i32_e64 s[14:15], v67, v22
	s_waitcnt lgkmcnt(0)
	v_cmp_lt_i16_sdwa s[16:17], sext(v66), sext(v65) src0_sel:BYTE_0 src1_sel:BYTE_0
	v_cndmask_b32_e64 v55, v55, v56, s[12:13]
	v_cndmask_b32_e64 v53, v53, v54, s[12:13]
	v_cmp_lt_i32_e64 s[12:13], v62, v23
	s_or_b64 s[14:15], s[14:15], s[16:17]
	s_and_b64 s[12:13], s[12:13], s[14:15]
	v_cndmask_b32_e64 v56, v67, v62, s[12:13]
	s_barrier
	ds_write_b8 v3, v50
	ds_write_b8 v3, v51 offset:1
	ds_write_b8 v3, v52 offset:2
	;; [unrolled: 1-line block ×3, first 2 shown]
	s_waitcnt lgkmcnt(0)
	s_barrier
	ds_read_u8 v49, v56
	ds_read_u8 v50, v53
	;; [unrolled: 1-line block ×4, first 2 shown]
	v_cndmask_b32_e64 v54, v65, v66, s[12:13]
	s_waitcnt lgkmcnt(0)
	s_barrier
	ds_write_b8 v3, v55
	ds_write_b8 v3, v57 offset:1
	ds_write_b8 v3, v61 offset:2
	ds_write_b8 v3, v54 offset:3
	v_mov_b32_e32 v54, v41
	s_waitcnt lgkmcnt(0)
	s_barrier
	s_and_saveexec_b64 s[14:15], s[6:7]
	s_cbranch_execz .LBB57_70
; %bb.67:                               ;   in Loop: Header=BB57_2 Depth=1
	s_mov_b64 s[16:17], 0
	v_mov_b32_e32 v54, v41
	v_mov_b32_e32 v53, v36
.LBB57_68:                              ;   Parent Loop BB57_2 Depth=1
                                        ; =>  This Inner Loop Header: Depth=2
	v_sub_u32_e32 v55, v53, v54
	v_lshrrev_b32_e32 v56, 31, v55
	v_add_u32_e32 v55, v55, v56
	v_ashrrev_i32_e32 v55, 1, v55
	v_add_u32_e32 v55, v55, v54
	v_not_b32_e32 v57, v55
	v_add_u32_e32 v56, v12, v55
	v_add3_u32 v57, v13, v57, v24
	ds_read_i8 v56, v56
	ds_read_i8 v57, v57
	v_add_u32_e32 v58, 1, v55
	s_waitcnt lgkmcnt(0)
	v_cmp_lt_i16_e64 s[12:13], v57, v56
	s_nop 1
	v_cndmask_b32_e64 v53, v53, v55, s[12:13]
	v_cndmask_b32_e64 v54, v58, v54, s[12:13]
	v_cmp_ge_i32_e64 s[12:13], v54, v53
	s_or_b64 s[16:17], s[12:13], s[16:17]
	s_andn2_b64 exec, exec, s[16:17]
	s_cbranch_execnz .LBB57_68
; %bb.69:                               ;   in Loop: Header=BB57_2 Depth=1
	s_or_b64 exec, exec, s[16:17]
.LBB57_70:                              ;   in Loop: Header=BB57_2 Depth=1
	s_or_b64 exec, exec, s[14:15]
	v_add_u32_e32 v53, v54, v12
	v_sub_u32_e32 v54, v31, v54
	ds_read_u8 v55, v53
	ds_read_u8 v56, v54
	v_cmp_le_i32_e64 s[14:15], v24, v53
	v_cmp_gt_i32_e64 s[12:13], v25, v54
                                        ; implicit-def: $vgpr57
	s_waitcnt lgkmcnt(1)
	v_bfe_i32 v55, v55, 0, 8
	s_waitcnt lgkmcnt(0)
	v_bfe_i32 v56, v56, 0, 8
	v_cmp_lt_i16_e64 s[16:17], v56, v55
	s_or_b64 s[14:15], s[14:15], s[16:17]
	s_and_b64 s[12:13], s[12:13], s[14:15]
	s_xor_b64 s[14:15], s[12:13], -1
	s_and_saveexec_b64 s[16:17], s[14:15]
	s_xor_b64 s[14:15], exec, s[16:17]
	s_cbranch_execz .LBB57_72
; %bb.71:                               ;   in Loop: Header=BB57_2 Depth=1
	ds_read_u8 v57, v53 offset:1
.LBB57_72:                              ;   in Loop: Header=BB57_2 Depth=1
	s_or_saveexec_b64 s[14:15], s[14:15]
	v_mov_b32_e32 v58, v56
	s_xor_b64 exec, exec, s[14:15]
	s_cbranch_execz .LBB57_74
; %bb.73:                               ;   in Loop: Header=BB57_2 Depth=1
	ds_read_u8 v58, v54 offset:1
	s_waitcnt lgkmcnt(1)
	v_mov_b32_e32 v57, v55
.LBB57_74:                              ;   in Loop: Header=BB57_2 Depth=1
	s_or_b64 exec, exec, s[14:15]
	v_add_u32_e32 v60, 1, v53
	v_add_u32_e32 v59, 1, v54
	v_cndmask_b32_e64 v60, v60, v53, s[12:13]
	v_cndmask_b32_e64 v59, v54, v59, s[12:13]
	v_cmp_ge_i32_e64 s[16:17], v60, v24
	s_waitcnt lgkmcnt(0)
	v_cmp_lt_i16_sdwa s[18:19], sext(v58), sext(v57) src0_sel:BYTE_0 src1_sel:BYTE_0
	v_cmp_lt_i32_e64 s[14:15], v59, v25
	s_or_b64 s[16:17], s[16:17], s[18:19]
	s_and_b64 s[14:15], s[14:15], s[16:17]
	s_xor_b64 s[16:17], s[14:15], -1
                                        ; implicit-def: $vgpr61
	s_and_saveexec_b64 s[18:19], s[16:17]
	s_xor_b64 s[16:17], exec, s[18:19]
	s_cbranch_execz .LBB57_76
; %bb.75:                               ;   in Loop: Header=BB57_2 Depth=1
	ds_read_u8 v61, v60 offset:1
.LBB57_76:                              ;   in Loop: Header=BB57_2 Depth=1
	s_or_saveexec_b64 s[16:17], s[16:17]
	v_mov_b32_e32 v62, v58
	s_xor_b64 exec, exec, s[16:17]
	s_cbranch_execz .LBB57_78
; %bb.77:                               ;   in Loop: Header=BB57_2 Depth=1
	ds_read_u8 v62, v59 offset:1
	s_waitcnt lgkmcnt(1)
	v_mov_b32_e32 v61, v57
.LBB57_78:                              ;   in Loop: Header=BB57_2 Depth=1
	s_or_b64 exec, exec, s[16:17]
	v_add_u32_e32 v64, 1, v60
	v_add_u32_e32 v63, 1, v59
	v_cndmask_b32_e64 v64, v64, v60, s[14:15]
	v_cndmask_b32_e64 v63, v59, v63, s[14:15]
	v_cmp_ge_i32_e64 s[18:19], v64, v24
	s_waitcnt lgkmcnt(0)
	v_cmp_lt_i16_sdwa s[20:21], sext(v62), sext(v61) src0_sel:BYTE_0 src1_sel:BYTE_0
	v_cmp_lt_i32_e64 s[16:17], v63, v25
	s_or_b64 s[18:19], s[18:19], s[20:21]
	s_and_b64 s[16:17], s[16:17], s[18:19]
	s_xor_b64 s[18:19], s[16:17], -1
                                        ; implicit-def: $vgpr65
	s_and_saveexec_b64 s[20:21], s[18:19]
	s_xor_b64 s[18:19], exec, s[20:21]
	s_cbranch_execz .LBB57_80
; %bb.79:                               ;   in Loop: Header=BB57_2 Depth=1
	ds_read_u8 v65, v64 offset:1
.LBB57_80:                              ;   in Loop: Header=BB57_2 Depth=1
	s_or_saveexec_b64 s[18:19], s[18:19]
	v_mov_b32_e32 v66, v62
	s_xor_b64 exec, exec, s[18:19]
	s_cbranch_execz .LBB57_82
; %bb.81:                               ;   in Loop: Header=BB57_2 Depth=1
	ds_read_u8 v66, v63 offset:1
	s_waitcnt lgkmcnt(1)
	v_mov_b32_e32 v65, v61
.LBB57_82:                              ;   in Loop: Header=BB57_2 Depth=1
	s_or_b64 exec, exec, s[18:19]
	v_add_u32_e32 v67, 1, v64
	v_cndmask_b32_e64 v61, v61, v62, s[16:17]
	v_add_u32_e32 v62, 1, v63
	v_cndmask_b32_e64 v67, v67, v64, s[16:17]
	v_cndmask_b32_e64 v62, v63, v62, s[16:17]
	;; [unrolled: 1-line block ×5, first 2 shown]
	v_cmp_ge_i32_e64 s[14:15], v67, v24
	s_waitcnt lgkmcnt(0)
	v_cmp_lt_i16_sdwa s[16:17], sext(v66), sext(v65) src0_sel:BYTE_0 src1_sel:BYTE_0
	v_cndmask_b32_e64 v55, v55, v56, s[12:13]
	v_cndmask_b32_e64 v53, v53, v54, s[12:13]
	v_cmp_lt_i32_e64 s[12:13], v62, v25
	s_or_b64 s[14:15], s[14:15], s[16:17]
	s_and_b64 s[12:13], s[12:13], s[14:15]
	v_cndmask_b32_e64 v56, v67, v62, s[12:13]
	s_barrier
	ds_write_b8 v3, v50
	ds_write_b8 v3, v51 offset:1
	ds_write_b8 v3, v52 offset:2
	;; [unrolled: 1-line block ×3, first 2 shown]
	s_waitcnt lgkmcnt(0)
	s_barrier
	ds_read_u8 v49, v56
	ds_read_u8 v50, v53
	ds_read_u8 v51, v58
	ds_read_u8 v52, v63
	v_cndmask_b32_e64 v54, v65, v66, s[12:13]
	s_waitcnt lgkmcnt(0)
	s_barrier
	ds_write_b8 v3, v55
	ds_write_b8 v3, v57 offset:1
	ds_write_b8 v3, v61 offset:2
	;; [unrolled: 1-line block ×3, first 2 shown]
	v_mov_b32_e32 v54, v43
	s_waitcnt lgkmcnt(0)
	s_barrier
	s_and_saveexec_b64 s[14:15], s[8:9]
	s_cbranch_execz .LBB57_86
; %bb.83:                               ;   in Loop: Header=BB57_2 Depth=1
	s_mov_b64 s[16:17], 0
	v_mov_b32_e32 v54, v43
	v_mov_b32_e32 v53, v44
.LBB57_84:                              ;   Parent Loop BB57_2 Depth=1
                                        ; =>  This Inner Loop Header: Depth=2
	v_sub_u32_e32 v55, v53, v54
	v_lshrrev_b32_e32 v56, 31, v55
	v_add_u32_e32 v55, v55, v56
	v_ashrrev_i32_e32 v55, 1, v55
	v_add_u32_e32 v55, v55, v54
	v_not_b32_e32 v57, v55
	v_add_u32_e32 v56, v14, v55
	v_add3_u32 v57, v15, v57, v26
	ds_read_i8 v56, v56
	ds_read_i8 v57, v57
	v_add_u32_e32 v58, 1, v55
	s_waitcnt lgkmcnt(0)
	v_cmp_lt_i16_e64 s[12:13], v57, v56
	s_nop 1
	v_cndmask_b32_e64 v53, v53, v55, s[12:13]
	v_cndmask_b32_e64 v54, v58, v54, s[12:13]
	v_cmp_ge_i32_e64 s[12:13], v54, v53
	s_or_b64 s[16:17], s[12:13], s[16:17]
	s_andn2_b64 exec, exec, s[16:17]
	s_cbranch_execnz .LBB57_84
; %bb.85:                               ;   in Loop: Header=BB57_2 Depth=1
	s_or_b64 exec, exec, s[16:17]
.LBB57_86:                              ;   in Loop: Header=BB57_2 Depth=1
	s_or_b64 exec, exec, s[14:15]
	v_add_u32_e32 v53, v54, v14
	v_sub_u32_e32 v54, v45, v54
	ds_read_u8 v55, v53
	ds_read_u8 v56, v54
	v_cmp_le_i32_e64 s[14:15], v26, v53
	v_cmp_gt_i32_e64 s[12:13], v42, v54
                                        ; implicit-def: $vgpr57
	s_waitcnt lgkmcnt(1)
	v_bfe_i32 v55, v55, 0, 8
	s_waitcnt lgkmcnt(0)
	v_bfe_i32 v56, v56, 0, 8
	v_cmp_lt_i16_e64 s[16:17], v56, v55
	s_or_b64 s[14:15], s[14:15], s[16:17]
	s_and_b64 s[12:13], s[12:13], s[14:15]
	s_xor_b64 s[14:15], s[12:13], -1
	s_and_saveexec_b64 s[16:17], s[14:15]
	s_xor_b64 s[14:15], exec, s[16:17]
	s_cbranch_execz .LBB57_88
; %bb.87:                               ;   in Loop: Header=BB57_2 Depth=1
	ds_read_u8 v57, v53 offset:1
.LBB57_88:                              ;   in Loop: Header=BB57_2 Depth=1
	s_or_saveexec_b64 s[14:15], s[14:15]
	v_mov_b32_e32 v58, v56
	s_xor_b64 exec, exec, s[14:15]
	s_cbranch_execz .LBB57_90
; %bb.89:                               ;   in Loop: Header=BB57_2 Depth=1
	ds_read_u8 v58, v54 offset:1
	s_waitcnt lgkmcnt(1)
	v_mov_b32_e32 v57, v55
.LBB57_90:                              ;   in Loop: Header=BB57_2 Depth=1
	s_or_b64 exec, exec, s[14:15]
	v_add_u32_e32 v60, 1, v53
	v_add_u32_e32 v59, 1, v54
	v_cndmask_b32_e64 v60, v60, v53, s[12:13]
	v_cndmask_b32_e64 v59, v54, v59, s[12:13]
	v_cmp_ge_i32_e64 s[16:17], v60, v26
	s_waitcnt lgkmcnt(0)
	v_cmp_lt_i16_sdwa s[18:19], sext(v58), sext(v57) src0_sel:BYTE_0 src1_sel:BYTE_0
	v_cmp_lt_i32_e64 s[14:15], v59, v42
	s_or_b64 s[16:17], s[16:17], s[18:19]
	s_and_b64 s[14:15], s[14:15], s[16:17]
	s_xor_b64 s[16:17], s[14:15], -1
                                        ; implicit-def: $vgpr61
	s_and_saveexec_b64 s[18:19], s[16:17]
	s_xor_b64 s[16:17], exec, s[18:19]
	s_cbranch_execz .LBB57_92
; %bb.91:                               ;   in Loop: Header=BB57_2 Depth=1
	ds_read_u8 v61, v60 offset:1
.LBB57_92:                              ;   in Loop: Header=BB57_2 Depth=1
	s_or_saveexec_b64 s[16:17], s[16:17]
	v_mov_b32_e32 v62, v58
	s_xor_b64 exec, exec, s[16:17]
	s_cbranch_execz .LBB57_94
; %bb.93:                               ;   in Loop: Header=BB57_2 Depth=1
	ds_read_u8 v62, v59 offset:1
	s_waitcnt lgkmcnt(1)
	v_mov_b32_e32 v61, v57
.LBB57_94:                              ;   in Loop: Header=BB57_2 Depth=1
	s_or_b64 exec, exec, s[16:17]
	v_add_u32_e32 v64, 1, v60
	v_add_u32_e32 v63, 1, v59
	v_cndmask_b32_e64 v64, v64, v60, s[14:15]
	v_cndmask_b32_e64 v63, v59, v63, s[14:15]
	v_cmp_ge_i32_e64 s[18:19], v64, v26
	s_waitcnt lgkmcnt(0)
	v_cmp_lt_i16_sdwa s[20:21], sext(v62), sext(v61) src0_sel:BYTE_0 src1_sel:BYTE_0
	v_cmp_lt_i32_e64 s[16:17], v63, v42
	s_or_b64 s[18:19], s[18:19], s[20:21]
	s_and_b64 s[16:17], s[16:17], s[18:19]
	s_xor_b64 s[18:19], s[16:17], -1
                                        ; implicit-def: $vgpr65
	s_and_saveexec_b64 s[20:21], s[18:19]
	s_xor_b64 s[18:19], exec, s[20:21]
	s_cbranch_execz .LBB57_96
; %bb.95:                               ;   in Loop: Header=BB57_2 Depth=1
	ds_read_u8 v65, v64 offset:1
.LBB57_96:                              ;   in Loop: Header=BB57_2 Depth=1
	s_or_saveexec_b64 s[18:19], s[18:19]
	v_mov_b32_e32 v66, v62
	s_xor_b64 exec, exec, s[18:19]
	s_cbranch_execz .LBB57_98
; %bb.97:                               ;   in Loop: Header=BB57_2 Depth=1
	ds_read_u8 v66, v63 offset:1
	s_waitcnt lgkmcnt(1)
	v_mov_b32_e32 v65, v61
.LBB57_98:                              ;   in Loop: Header=BB57_2 Depth=1
	s_or_b64 exec, exec, s[18:19]
	v_add_u32_e32 v67, 1, v64
	v_cndmask_b32_e64 v61, v61, v62, s[16:17]
	v_add_u32_e32 v62, 1, v63
	v_cndmask_b32_e64 v67, v67, v64, s[16:17]
	v_cndmask_b32_e64 v62, v63, v62, s[16:17]
	;; [unrolled: 1-line block ×5, first 2 shown]
	v_cmp_ge_i32_e64 s[14:15], v67, v26
	s_waitcnt lgkmcnt(0)
	v_cmp_lt_i16_sdwa s[16:17], sext(v66), sext(v65) src0_sel:BYTE_0 src1_sel:BYTE_0
	v_cndmask_b32_e64 v55, v55, v56, s[12:13]
	v_cndmask_b32_e64 v53, v53, v54, s[12:13]
	v_cmp_lt_i32_e64 s[12:13], v62, v42
	s_or_b64 s[14:15], s[14:15], s[16:17]
	s_and_b64 s[12:13], s[12:13], s[14:15]
	v_cndmask_b32_e64 v56, v67, v62, s[12:13]
	s_barrier
	ds_write_b8 v3, v50
	ds_write_b8 v3, v51 offset:1
	ds_write_b8 v3, v52 offset:2
	;; [unrolled: 1-line block ×3, first 2 shown]
	s_waitcnt lgkmcnt(0)
	s_barrier
	ds_read_u8 v49, v56
	ds_read_u8 v50, v53
	;; [unrolled: 1-line block ×4, first 2 shown]
	v_mov_b32_e32 v53, v46
	v_cndmask_b32_e64 v54, v65, v66, s[12:13]
	s_waitcnt lgkmcnt(0)
	s_barrier
	ds_write_b8 v3, v55
	ds_write_b8 v3, v57 offset:1
	ds_write_b8 v3, v61 offset:2
	;; [unrolled: 1-line block ×3, first 2 shown]
	s_waitcnt lgkmcnt(0)
	s_barrier
	s_and_saveexec_b64 s[14:15], s[10:11]
	s_cbranch_execz .LBB57_102
; %bb.99:                               ;   in Loop: Header=BB57_2 Depth=1
	s_mov_b64 s[16:17], 0
	v_mov_b32_e32 v53, v46
	v_mov_b32_e32 v54, v47
.LBB57_100:                             ;   Parent Loop BB57_2 Depth=1
                                        ; =>  This Inner Loop Header: Depth=2
	v_sub_u32_e32 v55, v54, v53
	v_lshrrev_b32_e32 v56, 31, v55
	v_add_u32_e32 v55, v55, v56
	v_ashrrev_i32_e32 v55, 1, v55
	v_add_u32_e32 v55, v55, v53
	v_not_b32_e32 v56, v55
	v_add3_u32 v56, v3, v56, v2
	ds_read_i8 v57, v55
	ds_read_i8 v56, v56
	v_add_u32_e32 v58, 1, v55
	s_waitcnt lgkmcnt(0)
	v_cmp_lt_i16_e64 s[12:13], v56, v57
	s_nop 1
	v_cndmask_b32_e64 v54, v54, v55, s[12:13]
	v_cndmask_b32_e64 v53, v58, v53, s[12:13]
	v_cmp_ge_i32_e64 s[12:13], v53, v54
	s_or_b64 s[16:17], s[12:13], s[16:17]
	s_andn2_b64 exec, exec, s[16:17]
	s_cbranch_execnz .LBB57_100
; %bb.101:                              ;   in Loop: Header=BB57_2 Depth=1
	s_or_b64 exec, exec, s[16:17]
.LBB57_102:                             ;   in Loop: Header=BB57_2 Depth=1
	s_or_b64 exec, exec, s[14:15]
	v_sub_u32_e32 v54, v48, v53
	ds_read_u8 v55, v53
	ds_read_u8 v56, v54
	v_cmp_le_i32_e64 s[14:15], v2, v53
	v_cmp_gt_i32_e64 s[12:13], s43, v54
                                        ; implicit-def: $vgpr57
	s_waitcnt lgkmcnt(1)
	v_bfe_i32 v55, v55, 0, 8
	s_waitcnt lgkmcnt(0)
	v_bfe_i32 v56, v56, 0, 8
	v_cmp_lt_i16_e64 s[16:17], v56, v55
	s_or_b64 s[14:15], s[14:15], s[16:17]
	s_and_b64 s[12:13], s[12:13], s[14:15]
	s_xor_b64 s[14:15], s[12:13], -1
	s_and_saveexec_b64 s[16:17], s[14:15]
	s_xor_b64 s[14:15], exec, s[16:17]
	s_cbranch_execz .LBB57_104
; %bb.103:                              ;   in Loop: Header=BB57_2 Depth=1
	ds_read_u8 v57, v53 offset:1
.LBB57_104:                             ;   in Loop: Header=BB57_2 Depth=1
	s_or_saveexec_b64 s[14:15], s[14:15]
	v_mov_b32_e32 v58, v56
	s_xor_b64 exec, exec, s[14:15]
	s_cbranch_execz .LBB57_106
; %bb.105:                              ;   in Loop: Header=BB57_2 Depth=1
	ds_read_u8 v58, v54 offset:1
	s_waitcnt lgkmcnt(1)
	v_mov_b32_e32 v57, v55
.LBB57_106:                             ;   in Loop: Header=BB57_2 Depth=1
	s_or_b64 exec, exec, s[14:15]
	v_add_u32_e32 v60, 1, v53
	v_add_u32_e32 v59, 1, v54
	v_cndmask_b32_e64 v60, v60, v53, s[12:13]
	v_cndmask_b32_e64 v59, v54, v59, s[12:13]
	v_cmp_ge_i32_e64 s[16:17], v60, v2
	s_waitcnt lgkmcnt(0)
	v_cmp_lt_i16_sdwa s[18:19], sext(v58), sext(v57) src0_sel:BYTE_0 src1_sel:BYTE_0
	v_cmp_gt_i32_e64 s[14:15], s43, v59
	s_or_b64 s[16:17], s[16:17], s[18:19]
	s_and_b64 s[14:15], s[14:15], s[16:17]
	s_xor_b64 s[16:17], s[14:15], -1
                                        ; implicit-def: $vgpr61
	s_and_saveexec_b64 s[18:19], s[16:17]
	s_xor_b64 s[16:17], exec, s[18:19]
	s_cbranch_execz .LBB57_108
; %bb.107:                              ;   in Loop: Header=BB57_2 Depth=1
	ds_read_u8 v61, v60 offset:1
.LBB57_108:                             ;   in Loop: Header=BB57_2 Depth=1
	s_or_saveexec_b64 s[16:17], s[16:17]
	v_mov_b32_e32 v62, v58
	s_xor_b64 exec, exec, s[16:17]
	s_cbranch_execz .LBB57_110
; %bb.109:                              ;   in Loop: Header=BB57_2 Depth=1
	ds_read_u8 v62, v59 offset:1
	s_waitcnt lgkmcnt(1)
	v_mov_b32_e32 v61, v57
.LBB57_110:                             ;   in Loop: Header=BB57_2 Depth=1
	s_or_b64 exec, exec, s[16:17]
	v_add_u32_e32 v64, 1, v60
	v_add_u32_e32 v63, 1, v59
	v_cndmask_b32_e64 v67, v64, v60, s[14:15]
	v_cndmask_b32_e64 v63, v59, v63, s[14:15]
	v_cmp_ge_i32_e64 s[18:19], v67, v2
	s_waitcnt lgkmcnt(0)
	v_cmp_lt_i16_sdwa s[20:21], sext(v62), sext(v61) src0_sel:BYTE_0 src1_sel:BYTE_0
	v_cmp_gt_i32_e64 s[16:17], s43, v63
	s_or_b64 s[18:19], s[18:19], s[20:21]
	s_and_b64 s[16:17], s[16:17], s[18:19]
	s_xor_b64 s[18:19], s[16:17], -1
                                        ; implicit-def: $vgpr65
                                        ; implicit-def: $vgpr64
	s_and_saveexec_b64 s[20:21], s[18:19]
	s_xor_b64 s[18:19], exec, s[20:21]
	s_cbranch_execz .LBB57_112
; %bb.111:                              ;   in Loop: Header=BB57_2 Depth=1
	ds_read_u8 v65, v67 offset:1
	v_add_u32_e32 v64, 1, v67
.LBB57_112:                             ;   in Loop: Header=BB57_2 Depth=1
	s_or_saveexec_b64 s[18:19], s[18:19]
	v_mov_b32_e32 v66, v67
	v_mov_b32_e32 v68, v62
	s_xor_b64 exec, exec, s[18:19]
	s_cbranch_execz .LBB57_1
; %bb.113:                              ;   in Loop: Header=BB57_2 Depth=1
	ds_read_u8 v68, v63 offset:1
	s_waitcnt lgkmcnt(1)
	v_add_u32_e32 v65, 1, v63
	v_mov_b32_e32 v66, v63
	v_mov_b32_e32 v64, v67
	;; [unrolled: 1-line block ×4, first 2 shown]
	s_branch .LBB57_1
.LBB57_114:
	s_add_u32 s0, s38, s33
	s_addc_u32 s1, s39, 0
	v_add_u16_e32 v2, v55, v54
	v_lshl_add_u64 v[0:1], s[0:1], 0, v[0:1]
	v_add_u16_e32 v3, v56, v58
	v_add_u16_e32 v4, v57, v51
	;; [unrolled: 1-line block ×3, first 2 shown]
	global_store_byte v[0:1], v2, off
	global_store_byte v[0:1], v3, off offset:128
	global_store_byte v[0:1], v4, off offset:256
	;; [unrolled: 1-line block ×3, first 2 shown]
	s_endpgm
	.section	.rodata,"a",@progbits
	.p2align	6, 0x0
	.amdhsa_kernel _Z17sort_pairs_kernelIaLj128ELj4EN10test_utils4lessELj10EEvPKT_PS2_T2_
		.amdhsa_group_segment_fixed_size 513
		.amdhsa_private_segment_fixed_size 0
		.amdhsa_kernarg_size 20
		.amdhsa_user_sgpr_count 2
		.amdhsa_user_sgpr_dispatch_ptr 0
		.amdhsa_user_sgpr_queue_ptr 0
		.amdhsa_user_sgpr_kernarg_segment_ptr 1
		.amdhsa_user_sgpr_dispatch_id 0
		.amdhsa_user_sgpr_kernarg_preload_length 0
		.amdhsa_user_sgpr_kernarg_preload_offset 0
		.amdhsa_user_sgpr_private_segment_size 0
		.amdhsa_uses_dynamic_stack 0
		.amdhsa_enable_private_segment 0
		.amdhsa_system_sgpr_workgroup_id_x 1
		.amdhsa_system_sgpr_workgroup_id_y 0
		.amdhsa_system_sgpr_workgroup_id_z 0
		.amdhsa_system_sgpr_workgroup_info 0
		.amdhsa_system_vgpr_workitem_id 0
		.amdhsa_next_free_vgpr 69
		.amdhsa_next_free_sgpr 46
		.amdhsa_accum_offset 72
		.amdhsa_reserve_vcc 1
		.amdhsa_float_round_mode_32 0
		.amdhsa_float_round_mode_16_64 0
		.amdhsa_float_denorm_mode_32 3
		.amdhsa_float_denorm_mode_16_64 3
		.amdhsa_dx10_clamp 1
		.amdhsa_ieee_mode 1
		.amdhsa_fp16_overflow 0
		.amdhsa_tg_split 0
		.amdhsa_exception_fp_ieee_invalid_op 0
		.amdhsa_exception_fp_denorm_src 0
		.amdhsa_exception_fp_ieee_div_zero 0
		.amdhsa_exception_fp_ieee_overflow 0
		.amdhsa_exception_fp_ieee_underflow 0
		.amdhsa_exception_fp_ieee_inexact 0
		.amdhsa_exception_int_div_zero 0
	.end_amdhsa_kernel
	.section	.text._Z17sort_pairs_kernelIaLj128ELj4EN10test_utils4lessELj10EEvPKT_PS2_T2_,"axG",@progbits,_Z17sort_pairs_kernelIaLj128ELj4EN10test_utils4lessELj10EEvPKT_PS2_T2_,comdat
.Lfunc_end57:
	.size	_Z17sort_pairs_kernelIaLj128ELj4EN10test_utils4lessELj10EEvPKT_PS2_T2_, .Lfunc_end57-_Z17sort_pairs_kernelIaLj128ELj4EN10test_utils4lessELj10EEvPKT_PS2_T2_
                                        ; -- End function
	.section	.AMDGPU.csdata,"",@progbits
; Kernel info:
; codeLenInByte = 6520
; NumSgprs: 52
; NumVgprs: 69
; NumAgprs: 0
; TotalNumVgprs: 69
; ScratchSize: 0
; MemoryBound: 0
; FloatMode: 240
; IeeeMode: 1
; LDSByteSize: 513 bytes/workgroup (compile time only)
; SGPRBlocks: 6
; VGPRBlocks: 8
; NumSGPRsForWavesPerEU: 52
; NumVGPRsForWavesPerEU: 69
; AccumOffset: 72
; Occupancy: 7
; WaveLimiterHint : 1
; COMPUTE_PGM_RSRC2:SCRATCH_EN: 0
; COMPUTE_PGM_RSRC2:USER_SGPR: 2
; COMPUTE_PGM_RSRC2:TRAP_HANDLER: 0
; COMPUTE_PGM_RSRC2:TGID_X_EN: 1
; COMPUTE_PGM_RSRC2:TGID_Y_EN: 0
; COMPUTE_PGM_RSRC2:TGID_Z_EN: 0
; COMPUTE_PGM_RSRC2:TIDIG_COMP_CNT: 0
; COMPUTE_PGM_RSRC3_GFX90A:ACCUM_OFFSET: 17
; COMPUTE_PGM_RSRC3_GFX90A:TG_SPLIT: 0
	.section	.text._Z16sort_keys_kernelIaLj128ELj8EN10test_utils4lessELj10EEvPKT_PS2_T2_,"axG",@progbits,_Z16sort_keys_kernelIaLj128ELj8EN10test_utils4lessELj10EEvPKT_PS2_T2_,comdat
	.protected	_Z16sort_keys_kernelIaLj128ELj8EN10test_utils4lessELj10EEvPKT_PS2_T2_ ; -- Begin function _Z16sort_keys_kernelIaLj128ELj8EN10test_utils4lessELj10EEvPKT_PS2_T2_
	.globl	_Z16sort_keys_kernelIaLj128ELj8EN10test_utils4lessELj10EEvPKT_PS2_T2_
	.p2align	8
	.type	_Z16sort_keys_kernelIaLj128ELj8EN10test_utils4lessELj10EEvPKT_PS2_T2_,@function
_Z16sort_keys_kernelIaLj128ELj8EN10test_utils4lessELj10EEvPKT_PS2_T2_: ; @_Z16sort_keys_kernelIaLj128ELj8EN10test_utils4lessELj10EEvPKT_PS2_T2_
; %bb.0:
	s_load_dwordx4 s[28:31], s[0:1], 0x0
	s_lshl_b32 s33, s2, 10
	v_lshlrev_b32_e32 v2, 3, v0
	v_and_b32_e32 v3, 0x3f0, v2
	v_and_b32_e32 v10, 0x3e0, v2
	s_waitcnt lgkmcnt(0)
	s_add_u32 s0, s28, s33
	s_addc_u32 s1, s29, 0
	global_load_ubyte v49, v0, s[0:1]
	global_load_ubyte v50, v0, s[0:1] offset:128
	global_load_ubyte v51, v0, s[0:1] offset:256
	;; [unrolled: 1-line block ×7, first 2 shown]
	v_and_b32_e32 v17, 0x3c0, v2
	v_and_b32_e32 v24, 0x380, v2
	;; [unrolled: 1-line block ×4, first 2 shown]
	v_or_b32_e32 v5, 8, v3
	v_add_u32_e32 v6, 16, v3
	v_or_b32_e32 v12, 16, v10
	v_add_u32_e32 v13, 32, v10
	;; [unrolled: 2-line block ×6, first 2 shown]
	v_and_b32_e32 v4, 8, v2
	v_sub_u32_e32 v7, v6, v5
	v_and_b32_e32 v11, 24, v2
	v_sub_u32_e32 v14, v13, v12
	;; [unrolled: 2-line block ×6, first 2 shown]
	v_sub_u32_e32 v8, v5, v3
	v_sub_u32_e32 v9, v4, v7
	v_cmp_ge_i32_e32 vcc, v4, v7
	v_sub_u32_e32 v15, v12, v10
	v_sub_u32_e32 v16, v11, v14
	v_cmp_ge_i32_e64 s[0:1], v11, v14
	v_sub_u32_e32 v22, v19, v17
	v_sub_u32_e32 v23, v18, v21
	v_cmp_ge_i32_e64 s[2:3], v18, v21
	;; [unrolled: 3-line block ×4, first 2 shown]
	v_mov_b32_e32 v38, 0x200
	v_sub_u32_e32 v44, v41, v39
	v_sub_u32_e32 v45, v40, v43
	v_cmp_ge_i32_e64 s[8:9], v40, v43
	v_cndmask_b32_e32 v7, 0, v9, vcc
	v_min_i32_e32 v8, v4, v8
	v_cndmask_b32_e64 v14, 0, v16, s[0:1]
	v_min_i32_e32 v15, v11, v15
	v_cndmask_b32_e64 v21, 0, v23, s[2:3]
	;; [unrolled: 2-line block ×5, first 2 shown]
	v_min_i32_e32 v44, v40, v44
	v_sub_u32_e64 v46, v2, v38 clamp
	v_min_i32_e32 v47, 0x200, v2
	s_mov_b32 s34, 0
	v_mov_b32_e32 v1, 0
	v_cmp_lt_i32_e32 vcc, v7, v8
	v_add_u32_e32 v9, v5, v4
	v_cmp_lt_i32_e64 s[0:1], v14, v15
	v_add_u32_e32 v16, v12, v11
	v_cmp_lt_i32_e64 s[2:3], v21, v22
	;; [unrolled: 2-line block ×4, first 2 shown]
	v_add_u32_e32 v37, v33, v32
	s_waitcnt vmcnt(6)
	v_lshlrev_b16_e32 v50, 8, v50
	v_or_b32_e32 v49, v49, v50
	s_waitcnt vmcnt(4)
	v_lshlrev_b16_e32 v50, 8, v52
	v_or_b32_sdwa v50, v51, v50 dst_sel:WORD_1 dst_unused:UNUSED_PAD src0_sel:DWORD src1_sel:DWORD
	v_cmp_lt_i32_e64 s[8:9], v43, v44
	v_or_b32_sdwa v50, v49, v50 dst_sel:DWORD dst_unused:UNUSED_PAD src0_sel:WORD_0 src1_sel:DWORD
	s_waitcnt vmcnt(2)
	v_lshlrev_b16_e32 v49, 8, v54
	s_waitcnt vmcnt(0)
	v_lshlrev_b16_e32 v51, 8, v56
	v_or_b32_e32 v49, v53, v49
	v_or_b32_sdwa v51, v55, v51 dst_sel:WORD_1 dst_unused:UNUSED_PAD src0_sel:DWORD src1_sel:DWORD
	v_add_u32_e32 v45, v41, v40
	v_cmp_lt_i32_e64 s[10:11], v46, v47
	v_add_u32_e32 v48, 0x200, v2
	s_mov_b32 s28, 0xffff
	v_or_b32_sdwa v49, v49, v51 dst_sel:DWORD dst_unused:UNUSED_PAD src0_sel:WORD_0 src1_sel:DWORD
	s_mov_b32 s29, 0x7060405
	s_mov_b32 s35, 0xc0c0001
	s_mov_b32 s36, 0x6070504
	s_movk_i32 s37, 0xff00
	s_movk_i32 s38, 0xff
	s_mov_b32 s39, 0x3020104
	s_mov_b32 s40, 0xffff0000
	s_movk_i32 s41, 0x400
	s_branch .LBB58_2
.LBB58_1:                               ;   in Loop: Header=BB58_2 Depth=1
	s_or_b64 exec, exec, s[26:27]
	v_cndmask_b32_e64 v51, v51, v52, s[14:15]
	v_cndmask_b32_e64 v52, v53, v54, s[16:17]
	v_cmp_ge_i32_e64 s[14:15], v65, v38
	s_waitcnt lgkmcnt(0)
	v_cmp_lt_i16_sdwa s[16:17], sext(v67), sext(v64) src0_sel:BYTE_0 src1_sel:BYTE_0
	v_cndmask_b32_e64 v66, v49, v50, s[12:13]
	v_cndmask_b32_e64 v53, v55, v56, s[18:19]
	v_cmp_gt_i32_e64 s[12:13], s41, v63
	s_or_b64 s[14:15], s[14:15], s[16:17]
	s_and_b64 s[12:13], s[12:13], s[14:15]
	v_lshlrev_b16_e32 v49, 8, v51
	v_lshlrev_b16_e32 v50, 8, v53
	v_cndmask_b32_e64 v54, v57, v58, s[20:21]
	v_cndmask_b32_e64 v55, v59, v60, s[22:23]
	;; [unrolled: 1-line block ×3, first 2 shown]
	v_or_b32_sdwa v49, v66, v49 dst_sel:DWORD dst_unused:UNUSED_PAD src0_sel:BYTE_0 src1_sel:DWORD
	v_or_b32_sdwa v50, v52, v50 dst_sel:WORD_1 dst_unused:UNUSED_PAD src0_sel:BYTE_0 src1_sel:DWORD
	v_cndmask_b32_e64 v56, v61, v62, s[24:25]
	v_or_b32_sdwa v50, v49, v50 dst_sel:DWORD dst_unused:UNUSED_PAD src0_sel:WORD_0 src1_sel:DWORD
	v_lshlrev_b16_e32 v49, 8, v55
	v_lshlrev_b16_e32 v58, 8, v57
	s_add_i32 s34, s34, 1
	v_or_b32_sdwa v49, v54, v49 dst_sel:DWORD dst_unused:UNUSED_PAD src0_sel:BYTE_0 src1_sel:DWORD
	v_or_b32_sdwa v58, v56, v58 dst_sel:WORD_1 dst_unused:UNUSED_PAD src0_sel:BYTE_0 src1_sel:DWORD
	s_cmp_eq_u32 s34, 10
	v_or_b32_sdwa v49, v49, v58 dst_sel:DWORD dst_unused:UNUSED_PAD src0_sel:WORD_0 src1_sel:DWORD
	s_cbranch_scc1 .LBB58_226
.LBB58_2:                               ; =>This Loop Header: Depth=1
                                        ;     Child Loop BB58_4 Depth 2
                                        ;     Child Loop BB58_36 Depth 2
	;; [unrolled: 1-line block ×7, first 2 shown]
	v_lshrrev_b32_e32 v52, 8, v50
	v_perm_b32 v51, v50, v50, s29
	v_cmp_lt_i16_sdwa s[12:13], sext(v52), sext(v50) src0_sel:BYTE_0 src1_sel:BYTE_0
	v_min_i16_sdwa v55, sext(v52), sext(v50) dst_sel:DWORD dst_unused:UNUSED_PAD src0_sel:BYTE_0 src1_sel:BYTE_0
	s_nop 0
	v_cndmask_b32_e64 v51, v50, v51, s[12:13]
	v_lshrrev_b32_e32 v53, 16, v51
	v_perm_b32 v54, 0, v53, s35
	v_max_i16_sdwa v50, sext(v52), sext(v50) dst_sel:DWORD dst_unused:UNUSED_PAD src0_sel:BYTE_0 src1_sel:BYTE_0
	v_lshrrev_b32_e32 v52, 24, v51
	v_lshlrev_b32_e32 v54, 16, v54
	v_and_or_b32 v54, v51, s28, v54
	v_cmp_lt_i16_sdwa s[12:13], sext(v52), sext(v53) src0_sel:BYTE_0 src1_sel:BYTE_0
	v_max_i16_sdwa v56, sext(v52), sext(v53) dst_sel:DWORD dst_unused:UNUSED_PAD src0_sel:BYTE_0 src1_sel:BYTE_0
	v_min_i16_sdwa v52, sext(v52), sext(v53) dst_sel:DWORD dst_unused:UNUSED_PAD src0_sel:BYTE_0 src1_sel:BYTE_0
	v_lshrrev_b32_e32 v53, 8, v49
	v_cndmask_b32_e64 v51, v51, v54, s[12:13]
	v_perm_b32 v54, v49, v49, s29
	v_cmp_lt_i16_sdwa s[12:13], sext(v53), sext(v49) src0_sel:BYTE_0 src1_sel:BYTE_0
	v_max_i16_sdwa v57, sext(v53), sext(v49) dst_sel:DWORD dst_unused:UNUSED_PAD src0_sel:BYTE_0 src1_sel:BYTE_0
	v_and_b32_sdwa v60, v51, s37 dst_sel:DWORD dst_unused:UNUSED_PAD src0_sel:WORD_1 src1_sel:DWORD
	v_cndmask_b32_e64 v54, v49, v54, s[12:13]
	v_min_i16_sdwa v49, sext(v53), sext(v49) dst_sel:DWORD dst_unused:UNUSED_PAD src0_sel:BYTE_0 src1_sel:BYTE_0
	v_lshrrev_b32_e32 v53, 24, v54
	v_lshrrev_b32_e32 v58, 16, v54
	v_perm_b32 v59, v54, v54, s36
	v_cmp_lt_i16_sdwa s[12:13], sext(v53), sext(v58) src0_sel:BYTE_0 src1_sel:BYTE_0
	v_or_b32_sdwa v60, v50, v60 dst_sel:WORD_1 dst_unused:UNUSED_PAD src0_sel:BYTE_0 src1_sel:DWORD
	v_lshlrev_b16_e32 v62, 8, v49
	v_cndmask_b32_e64 v54, v54, v59, s[12:13]
	v_max_i16_sdwa v59, sext(v53), sext(v58) dst_sel:DWORD dst_unused:UNUSED_PAD src0_sel:BYTE_0 src1_sel:BYTE_0
	v_min_i16_sdwa v53, sext(v53), sext(v58) dst_sel:DWORD dst_unused:UNUSED_PAD src0_sel:BYTE_0 src1_sel:BYTE_0
	v_lshlrev_b16_e32 v58, 8, v52
	v_or_b32_sdwa v58, v51, v58 dst_sel:DWORD dst_unused:UNUSED_PAD src0_sel:BYTE_0 src1_sel:DWORD
	v_or_b32_sdwa v58, v58, v60 dst_sel:DWORD dst_unused:UNUSED_PAD src0_sel:WORD_0 src1_sel:DWORD
	v_cmp_lt_i16_e64 s[12:13], v52, v50
	v_perm_b32 v60, v56, v54, s39
	v_max_i16_e32 v61, v52, v50
	v_cndmask_b32_e64 v51, v51, v58, s[12:13]
	v_and_b32_sdwa v58, v51, s38 dst_sel:DWORD dst_unused:UNUSED_PAD src0_sel:WORD_1 src1_sel:DWORD
	v_or_b32_sdwa v58, v58, v62 dst_sel:WORD_1 dst_unused:UNUSED_PAD src0_sel:DWORD src1_sel:DWORD
	v_cmp_lt_i16_e64 s[12:13], v49, v56
	v_and_or_b32 v58, v51, s28, v58
	v_min_i16_e32 v50, v52, v50
	v_cndmask_b32_e64 v54, v54, v60, s[12:13]
	v_cndmask_b32_e64 v51, v51, v58, s[12:13]
	v_and_b32_sdwa v58, v54, s37 dst_sel:DWORD dst_unused:UNUSED_PAD src0_sel:WORD_1 src1_sel:DWORD
	v_max_i16_e32 v60, v49, v56
	v_min_i16_e32 v49, v49, v56
	v_lshlrev_b16_e32 v56, 8, v53
	v_or_b32_sdwa v58, v57, v58 dst_sel:WORD_1 dst_unused:UNUSED_PAD src0_sel:BYTE_0 src1_sel:DWORD
	v_or_b32_sdwa v56, v54, v56 dst_sel:DWORD dst_unused:UNUSED_PAD src0_sel:BYTE_0 src1_sel:DWORD
	v_or_b32_sdwa v56, v56, v58 dst_sel:DWORD dst_unused:UNUSED_PAD src0_sel:WORD_0 src1_sel:DWORD
	v_lshlrev_b16_e32 v58, 8, v55
	v_or_b32_sdwa v58, v50, v58 dst_sel:DWORD dst_unused:UNUSED_PAD src0_sel:BYTE_0 src1_sel:DWORD
	v_cmp_lt_i16_e64 s[12:13], v53, v57
	v_and_b32_e32 v58, 0xffff, v58
	v_and_or_b32 v58, v51, s40, v58
	v_cndmask_b32_e64 v54, v54, v56, s[12:13]
	v_cmp_lt_i16_e64 s[12:13], v52, v55
	v_max_i16_e32 v56, v53, v57
	v_min_i16_e32 v53, v53, v57
	v_cndmask_b32_e64 v52, v55, v50, s[12:13]
	v_cndmask_b32_e64 v50, v50, v55, s[12:13]
	v_lshlrev_b16_e32 v55, 8, v61
	v_cndmask_b32_e64 v51, v51, v58, s[12:13]
	v_or_b32_sdwa v55, v49, v55 dst_sel:WORD_1 dst_unused:UNUSED_PAD src0_sel:BYTE_0 src1_sel:DWORD
	v_cmp_lt_i16_e64 s[12:13], v49, v61
	v_and_or_b32 v55, v51, s28, v55
	v_max_i16_e32 v58, v49, v61
	v_cndmask_b32_e64 v51, v51, v55, s[12:13]
	v_lshlrev_b16_e32 v55, 8, v60
	v_or_b32_sdwa v55, v53, v55 dst_sel:DWORD dst_unused:UNUSED_PAD src0_sel:BYTE_0 src1_sel:DWORD
	v_and_b32_e32 v55, 0xffff, v55
	v_and_or_b32 v55, v54, s40, v55
	v_cmp_lt_i16_e64 s[12:13], v53, v60
	v_min_i16_e32 v49, v49, v61
	v_and_b32_sdwa v61, v51, s37 dst_sel:DWORD dst_unused:UNUSED_PAD src0_sel:WORD_1 src1_sel:DWORD
	v_cndmask_b32_e64 v54, v54, v55, s[12:13]
	v_max_i16_e32 v55, v53, v60
	v_min_i16_e32 v53, v53, v60
	v_lshlrev_b16_e32 v60, 8, v56
	v_cmp_gt_i16_e64 s[12:13], v57, v59
	v_or_b32_sdwa v60, v59, v60 dst_sel:WORD_1 dst_unused:UNUSED_PAD src0_sel:BYTE_0 src1_sel:DWORD
	v_or_b32_sdwa v61, v50, v61 dst_sel:WORD_1 dst_unused:UNUSED_PAD src0_sel:BYTE_0 src1_sel:DWORD
	v_cndmask_b32_e64 v57, v59, v56, s[12:13]
	v_cndmask_b32_e64 v56, v56, v59, s[12:13]
	v_lshlrev_b16_e32 v59, 8, v49
	v_and_or_b32 v60, v54, s28, v60
	v_or_b32_sdwa v59, v51, v59 dst_sel:DWORD dst_unused:UNUSED_PAD src0_sel:BYTE_0 src1_sel:DWORD
	v_cndmask_b32_e64 v54, v54, v60, s[12:13]
	v_or_b32_sdwa v59, v59, v61 dst_sel:DWORD dst_unused:UNUSED_PAD src0_sel:WORD_0 src1_sel:DWORD
	v_cmp_lt_i16_e64 s[12:13], v49, v50
	v_max_i16_e32 v61, v49, v50
	v_min_i16_e32 v49, v49, v50
	v_cndmask_b32_e64 v51, v51, v59, s[12:13]
	v_and_b32_sdwa v59, v51, s38 dst_sel:DWORD dst_unused:UNUSED_PAD src0_sel:WORD_1 src1_sel:DWORD
	v_lshlrev_b16_e32 v50, 8, v53
	v_or_b32_sdwa v50, v59, v50 dst_sel:WORD_1 dst_unused:UNUSED_PAD src0_sel:DWORD src1_sel:DWORD
	v_perm_b32 v60, v58, v54, s39
	v_and_or_b32 v50, v51, s28, v50
	v_cmp_lt_i16_e64 s[12:13], v53, v58
	v_max_i16_e32 v59, v53, v58
	v_min_i16_e32 v53, v53, v58
	v_cndmask_b32_e64 v50, v51, v50, s[12:13]
	v_cndmask_b32_e64 v51, v54, v60, s[12:13]
	v_and_b32_sdwa v54, v51, s37 dst_sel:DWORD dst_unused:UNUSED_PAD src0_sel:WORD_1 src1_sel:DWORD
	v_lshlrev_b16_e32 v58, 8, v56
	v_or_b32_sdwa v54, v55, v54 dst_sel:WORD_1 dst_unused:UNUSED_PAD src0_sel:BYTE_0 src1_sel:DWORD
	v_or_b32_sdwa v58, v51, v58 dst_sel:DWORD dst_unused:UNUSED_PAD src0_sel:BYTE_0 src1_sel:DWORD
	v_or_b32_sdwa v54, v58, v54 dst_sel:DWORD dst_unused:UNUSED_PAD src0_sel:WORD_0 src1_sel:DWORD
	v_lshlrev_b16_e32 v58, 8, v52
	v_or_b32_sdwa v58, v49, v58 dst_sel:DWORD dst_unused:UNUSED_PAD src0_sel:BYTE_0 src1_sel:DWORD
	v_and_b32_e32 v58, 0xffff, v58
	v_cmp_lt_i16_e64 s[12:13], v56, v55
	v_and_or_b32 v58, v50, s40, v58
	s_barrier
	v_cndmask_b32_e64 v51, v51, v54, s[12:13]
	v_max_i16_e32 v54, v56, v55
	v_min_i16_e32 v55, v56, v55
	v_cmp_lt_i16_e64 s[12:13], v49, v52
	v_min_i16_e32 v56, v49, v52
	v_max_i16_e32 v49, v49, v52
	v_lshlrev_b16_e32 v52, 8, v61
	v_cndmask_b32_e64 v50, v50, v58, s[12:13]
	v_or_b32_sdwa v52, v53, v52 dst_sel:WORD_1 dst_unused:UNUSED_PAD src0_sel:BYTE_0 src1_sel:DWORD
	v_cmp_lt_i16_e64 s[12:13], v53, v61
	v_and_or_b32 v52, v50, s28, v52
	v_max_i16_e32 v58, v53, v61
	v_cndmask_b32_e64 v50, v50, v52, s[12:13]
	v_lshlrev_b16_e32 v52, 8, v59
	v_or_b32_sdwa v52, v55, v52 dst_sel:DWORD dst_unused:UNUSED_PAD src0_sel:BYTE_0 src1_sel:DWORD
	v_and_b32_e32 v52, 0xffff, v52
	v_and_or_b32 v52, v51, s40, v52
	v_cmp_lt_i16_e64 s[12:13], v55, v59
	v_min_i16_e32 v53, v53, v61
	v_and_b32_sdwa v60, v50, s37 dst_sel:DWORD dst_unused:UNUSED_PAD src0_sel:WORD_1 src1_sel:DWORD
	v_cndmask_b32_e64 v51, v51, v52, s[12:13]
	v_max_i16_e32 v52, v55, v59
	v_min_i16_e32 v55, v55, v59
	v_lshlrev_b16_e32 v59, 8, v54
	v_or_b32_sdwa v59, v57, v59 dst_sel:WORD_1 dst_unused:UNUSED_PAD src0_sel:BYTE_0 src1_sel:DWORD
	v_cmp_lt_i16_e64 s[12:13], v57, v54
	v_and_or_b32 v59, v51, s28, v59
	v_or_b32_sdwa v60, v49, v60 dst_sel:WORD_1 dst_unused:UNUSED_PAD src0_sel:BYTE_0 src1_sel:DWORD
	v_cndmask_b32_e64 v51, v51, v59, s[12:13]
	v_max_i16_e32 v59, v57, v54
	v_min_i16_e32 v54, v57, v54
	v_lshlrev_b16_e32 v57, 8, v53
	v_or_b32_sdwa v57, v50, v57 dst_sel:DWORD dst_unused:UNUSED_PAD src0_sel:BYTE_0 src1_sel:DWORD
	v_or_b32_sdwa v57, v57, v60 dst_sel:DWORD dst_unused:UNUSED_PAD src0_sel:WORD_0 src1_sel:DWORD
	v_cmp_lt_i16_e64 s[12:13], v53, v49
	v_lshlrev_b16_e32 v62, 8, v55
	v_perm_b32 v60, v58, v51, s39
	v_cndmask_b32_e64 v50, v50, v57, s[12:13]
	v_and_b32_sdwa v57, v50, s38 dst_sel:DWORD dst_unused:UNUSED_PAD src0_sel:WORD_1 src1_sel:DWORD
	v_or_b32_sdwa v57, v57, v62 dst_sel:WORD_1 dst_unused:UNUSED_PAD src0_sel:DWORD src1_sel:DWORD
	v_cmp_lt_i16_e64 s[12:13], v55, v58
	v_and_or_b32 v57, v50, s28, v57
	v_max_i16_e32 v61, v53, v49
	v_cndmask_b32_e64 v51, v51, v60, s[12:13]
	v_cndmask_b32_e64 v50, v50, v57, s[12:13]
	v_and_b32_sdwa v57, v51, s37 dst_sel:DWORD dst_unused:UNUSED_PAD src0_sel:WORD_1 src1_sel:DWORD
	v_max_i16_e32 v60, v55, v58
	v_min_i16_e32 v55, v55, v58
	v_lshlrev_b16_e32 v58, 8, v54
	v_or_b32_sdwa v57, v52, v57 dst_sel:WORD_1 dst_unused:UNUSED_PAD src0_sel:BYTE_0 src1_sel:DWORD
	v_or_b32_sdwa v58, v51, v58 dst_sel:DWORD dst_unused:UNUSED_PAD src0_sel:BYTE_0 src1_sel:DWORD
	v_min_i16_e32 v49, v53, v49
	v_or_b32_sdwa v57, v58, v57 dst_sel:DWORD dst_unused:UNUSED_PAD src0_sel:WORD_0 src1_sel:DWORD
	v_lshlrev_b16_e32 v58, 8, v56
	v_or_b32_sdwa v58, v49, v58 dst_sel:DWORD dst_unused:UNUSED_PAD src0_sel:BYTE_0 src1_sel:DWORD
	v_and_b32_e32 v58, 0xffff, v58
	v_cmp_lt_i16_e64 s[12:13], v54, v52
	v_and_or_b32 v58, v50, s40, v58
	s_nop 0
	v_cndmask_b32_e64 v51, v51, v57, s[12:13]
	v_cmp_lt_i16_e64 s[12:13], v53, v56
	v_lshlrev_b16_e32 v53, 8, v61
	v_or_b32_sdwa v53, v55, v53 dst_sel:WORD_1 dst_unused:UNUSED_PAD src0_sel:BYTE_0 src1_sel:DWORD
	v_cndmask_b32_e64 v50, v50, v58, s[12:13]
	v_cndmask_b32_e64 v49, v49, v56, s[12:13]
	v_and_or_b32 v53, v50, s28, v53
	v_cmp_lt_i16_e64 s[12:13], v55, v61
	v_max_i16_e32 v57, v54, v52
	v_min_i16_e32 v54, v54, v52
	v_cndmask_b32_e64 v50, v50, v53, s[12:13]
	v_lshlrev_b16_e32 v53, 8, v60
	v_or_b32_sdwa v53, v54, v53 dst_sel:DWORD dst_unused:UNUSED_PAD src0_sel:BYTE_0 src1_sel:DWORD
	v_and_b32_e32 v53, 0xffff, v53
	v_and_or_b32 v53, v51, s40, v53
	v_cmp_lt_i16_e64 s[12:13], v54, v60
	v_max_i16_e32 v56, v55, v61
	v_min_i16_e32 v55, v55, v61
	v_cndmask_b32_e64 v51, v51, v53, s[12:13]
	v_lshlrev_b16_e32 v58, 8, v57
	v_cmp_gt_i16_e64 s[12:13], v52, v59
	v_max_i16_e32 v53, v54, v60
	v_min_i16_e32 v54, v54, v60
	v_or_b32_sdwa v58, v59, v58 dst_sel:WORD_1 dst_unused:UNUSED_PAD src0_sel:BYTE_0 src1_sel:DWORD
	v_and_b32_sdwa v60, v50, s37 dst_sel:DWORD dst_unused:UNUSED_PAD src0_sel:WORD_1 src1_sel:DWORD
	v_cndmask_b32_e64 v52, v57, v59, s[12:13]
	v_lshlrev_b16_e32 v57, 8, v55
	v_and_or_b32 v58, v51, s28, v58
	v_or_b32_sdwa v60, v49, v60 dst_sel:WORD_1 dst_unused:UNUSED_PAD src0_sel:BYTE_0 src1_sel:DWORD
	v_or_b32_sdwa v57, v50, v57 dst_sel:DWORD dst_unused:UNUSED_PAD src0_sel:BYTE_0 src1_sel:DWORD
	v_cndmask_b32_e64 v51, v51, v58, s[12:13]
	v_or_b32_sdwa v57, v57, v60 dst_sel:DWORD dst_unused:UNUSED_PAD src0_sel:WORD_0 src1_sel:DWORD
	v_cmp_lt_i16_e64 s[12:13], v55, v49
	v_perm_b32 v55, v56, v51, s39
	s_nop 0
	v_cndmask_b32_e64 v49, v50, v57, s[12:13]
	v_and_b32_sdwa v50, v49, s38 dst_sel:DWORD dst_unused:UNUSED_PAD src0_sel:WORD_1 src1_sel:DWORD
	v_lshlrev_b16_e32 v57, 8, v54
	v_or_b32_sdwa v50, v50, v57 dst_sel:WORD_1 dst_unused:UNUSED_PAD src0_sel:DWORD src1_sel:DWORD
	v_cmp_lt_i16_e64 s[12:13], v54, v56
	v_and_or_b32 v50, v49, s28, v50
	v_lshlrev_b16_e32 v54, 8, v52
	v_cndmask_b32_e64 v50, v49, v50, s[12:13]
	v_cndmask_b32_e64 v49, v51, v55, s[12:13]
	v_and_b32_sdwa v51, v49, s37 dst_sel:DWORD dst_unused:UNUSED_PAD src0_sel:WORD_1 src1_sel:DWORD
	v_or_b32_sdwa v51, v53, v51 dst_sel:WORD_1 dst_unused:UNUSED_PAD src0_sel:BYTE_0 src1_sel:DWORD
	v_or_b32_sdwa v54, v49, v54 dst_sel:DWORD dst_unused:UNUSED_PAD src0_sel:BYTE_0 src1_sel:DWORD
	v_or_b32_sdwa v51, v54, v51 dst_sel:DWORD dst_unused:UNUSED_PAD src0_sel:WORD_0 src1_sel:DWORD
	v_cmp_lt_i16_e64 s[12:13], v52, v53
	s_nop 1
	v_cndmask_b32_e64 v51, v49, v51, s[12:13]
	v_mov_b32_e32 v49, v7
	ds_write_b64 v2, v[50:51]
	s_waitcnt lgkmcnt(0)
	s_barrier
	s_and_saveexec_b64 s[14:15], vcc
	s_cbranch_execz .LBB58_6
; %bb.3:                                ;   in Loop: Header=BB58_2 Depth=1
	s_mov_b64 s[16:17], 0
	v_mov_b32_e32 v49, v7
	v_mov_b32_e32 v50, v8
.LBB58_4:                               ;   Parent Loop BB58_2 Depth=1
                                        ; =>  This Inner Loop Header: Depth=2
	v_sub_u32_e32 v51, v50, v49
	v_lshrrev_b32_e32 v52, 31, v51
	v_add_u32_e32 v51, v51, v52
	v_ashrrev_i32_e32 v51, 1, v51
	v_add_u32_e32 v51, v51, v49
	v_not_b32_e32 v53, v51
	v_add_u32_e32 v52, v3, v51
	v_add3_u32 v53, v4, v53, v5
	ds_read_i8 v52, v52
	ds_read_i8 v53, v53
	v_add_u32_e32 v54, 1, v51
	s_waitcnt lgkmcnt(0)
	v_cmp_lt_i16_e64 s[12:13], v53, v52
	s_nop 1
	v_cndmask_b32_e64 v50, v50, v51, s[12:13]
	v_cndmask_b32_e64 v49, v54, v49, s[12:13]
	v_cmp_ge_i32_e64 s[12:13], v49, v50
	s_or_b64 s[16:17], s[12:13], s[16:17]
	s_andn2_b64 exec, exec, s[16:17]
	s_cbranch_execnz .LBB58_4
; %bb.5:                                ;   in Loop: Header=BB58_2 Depth=1
	s_or_b64 exec, exec, s[16:17]
.LBB58_6:                               ;   in Loop: Header=BB58_2 Depth=1
	s_or_b64 exec, exec, s[14:15]
	v_add_u32_e32 v53, v49, v3
	v_sub_u32_e32 v54, v9, v49
	ds_read_u8 v49, v53
	ds_read_u8 v50, v54
	v_cmp_le_i32_e64 s[14:15], v5, v53
	v_cmp_gt_i32_e64 s[12:13], v6, v54
                                        ; implicit-def: $vgpr51
	s_waitcnt lgkmcnt(1)
	v_bfe_i32 v49, v49, 0, 8
	s_waitcnt lgkmcnt(0)
	v_bfe_i32 v50, v50, 0, 8
	v_cmp_lt_i16_e64 s[16:17], v50, v49
	s_or_b64 s[14:15], s[14:15], s[16:17]
	s_and_b64 s[12:13], s[12:13], s[14:15]
	s_xor_b64 s[14:15], s[12:13], -1
	s_and_saveexec_b64 s[16:17], s[14:15]
	s_xor_b64 s[14:15], exec, s[16:17]
	s_cbranch_execz .LBB58_8
; %bb.7:                                ;   in Loop: Header=BB58_2 Depth=1
	ds_read_u8 v51, v53 offset:1
.LBB58_8:                               ;   in Loop: Header=BB58_2 Depth=1
	s_or_saveexec_b64 s[14:15], s[14:15]
	v_mov_b32_e32 v52, v50
	s_xor_b64 exec, exec, s[14:15]
	s_cbranch_execz .LBB58_10
; %bb.9:                                ;   in Loop: Header=BB58_2 Depth=1
	ds_read_u8 v52, v54 offset:1
	s_waitcnt lgkmcnt(1)
	v_mov_b32_e32 v51, v49
.LBB58_10:                              ;   in Loop: Header=BB58_2 Depth=1
	s_or_b64 exec, exec, s[14:15]
	v_add_u32_e32 v56, 1, v53
	v_add_u32_e32 v55, 1, v54
	v_cndmask_b32_e64 v56, v56, v53, s[12:13]
	v_cndmask_b32_e64 v55, v54, v55, s[12:13]
	v_cmp_ge_i32_e64 s[16:17], v56, v5
	s_waitcnt lgkmcnt(0)
	v_cmp_lt_i16_sdwa s[18:19], sext(v52), sext(v51) src0_sel:BYTE_0 src1_sel:BYTE_0
	v_cmp_lt_i32_e64 s[14:15], v55, v6
	s_or_b64 s[16:17], s[16:17], s[18:19]
	s_and_b64 s[14:15], s[14:15], s[16:17]
	s_xor_b64 s[16:17], s[14:15], -1
                                        ; implicit-def: $vgpr53
	s_and_saveexec_b64 s[18:19], s[16:17]
	s_xor_b64 s[16:17], exec, s[18:19]
	s_cbranch_execz .LBB58_12
; %bb.11:                               ;   in Loop: Header=BB58_2 Depth=1
	ds_read_u8 v53, v56 offset:1
.LBB58_12:                              ;   in Loop: Header=BB58_2 Depth=1
	s_or_saveexec_b64 s[16:17], s[16:17]
	v_mov_b32_e32 v54, v52
	s_xor_b64 exec, exec, s[16:17]
	s_cbranch_execz .LBB58_14
; %bb.13:                               ;   in Loop: Header=BB58_2 Depth=1
	ds_read_u8 v54, v55 offset:1
	s_waitcnt lgkmcnt(1)
	v_mov_b32_e32 v53, v51
.LBB58_14:                              ;   in Loop: Header=BB58_2 Depth=1
	s_or_b64 exec, exec, s[16:17]
	v_add_u32_e32 v58, 1, v56
	v_add_u32_e32 v57, 1, v55
	v_cndmask_b32_e64 v58, v58, v56, s[14:15]
	v_cndmask_b32_e64 v57, v55, v57, s[14:15]
	v_cmp_ge_i32_e64 s[18:19], v58, v5
	s_waitcnt lgkmcnt(0)
	v_cmp_lt_i16_sdwa s[20:21], sext(v54), sext(v53) src0_sel:BYTE_0 src1_sel:BYTE_0
	v_cmp_lt_i32_e64 s[16:17], v57, v6
	s_or_b64 s[18:19], s[18:19], s[20:21]
	s_and_b64 s[16:17], s[16:17], s[18:19]
	s_xor_b64 s[18:19], s[16:17], -1
                                        ; implicit-def: $vgpr55
	s_and_saveexec_b64 s[20:21], s[18:19]
	s_xor_b64 s[18:19], exec, s[20:21]
	s_cbranch_execz .LBB58_16
; %bb.15:                               ;   in Loop: Header=BB58_2 Depth=1
	ds_read_u8 v55, v58 offset:1
.LBB58_16:                              ;   in Loop: Header=BB58_2 Depth=1
	s_or_saveexec_b64 s[18:19], s[18:19]
	v_mov_b32_e32 v56, v54
	s_xor_b64 exec, exec, s[18:19]
	s_cbranch_execz .LBB58_18
; %bb.17:                               ;   in Loop: Header=BB58_2 Depth=1
	ds_read_u8 v56, v57 offset:1
	s_waitcnt lgkmcnt(1)
	v_mov_b32_e32 v55, v53
.LBB58_18:                              ;   in Loop: Header=BB58_2 Depth=1
	s_or_b64 exec, exec, s[18:19]
	v_add_u32_e32 v60, 1, v58
	v_add_u32_e32 v59, 1, v57
	v_cndmask_b32_e64 v60, v60, v58, s[16:17]
	v_cndmask_b32_e64 v59, v57, v59, s[16:17]
	v_cmp_ge_i32_e64 s[20:21], v60, v5
	s_waitcnt lgkmcnt(0)
	v_cmp_lt_i16_sdwa s[22:23], sext(v56), sext(v55) src0_sel:BYTE_0 src1_sel:BYTE_0
	v_cmp_lt_i32_e64 s[18:19], v59, v6
	s_or_b64 s[20:21], s[20:21], s[22:23]
	s_and_b64 s[18:19], s[18:19], s[20:21]
	s_xor_b64 s[20:21], s[18:19], -1
                                        ; implicit-def: $vgpr57
	s_and_saveexec_b64 s[22:23], s[20:21]
	s_xor_b64 s[20:21], exec, s[22:23]
	s_cbranch_execz .LBB58_20
; %bb.19:                               ;   in Loop: Header=BB58_2 Depth=1
	ds_read_u8 v57, v60 offset:1
.LBB58_20:                              ;   in Loop: Header=BB58_2 Depth=1
	s_or_saveexec_b64 s[20:21], s[20:21]
	v_mov_b32_e32 v58, v56
	s_xor_b64 exec, exec, s[20:21]
	s_cbranch_execz .LBB58_22
; %bb.21:                               ;   in Loop: Header=BB58_2 Depth=1
	ds_read_u8 v58, v59 offset:1
	s_waitcnt lgkmcnt(1)
	v_mov_b32_e32 v57, v55
.LBB58_22:                              ;   in Loop: Header=BB58_2 Depth=1
	s_or_b64 exec, exec, s[20:21]
	v_add_u32_e32 v62, 1, v60
	v_add_u32_e32 v61, 1, v59
	v_cndmask_b32_e64 v62, v62, v60, s[18:19]
	v_cndmask_b32_e64 v61, v59, v61, s[18:19]
	v_cmp_ge_i32_e64 s[22:23], v62, v5
	s_waitcnt lgkmcnt(0)
	v_cmp_lt_i16_sdwa s[24:25], sext(v58), sext(v57) src0_sel:BYTE_0 src1_sel:BYTE_0
	v_cmp_lt_i32_e64 s[20:21], v61, v6
	s_or_b64 s[22:23], s[22:23], s[24:25]
	s_and_b64 s[20:21], s[20:21], s[22:23]
	s_xor_b64 s[22:23], s[20:21], -1
                                        ; implicit-def: $vgpr59
	s_and_saveexec_b64 s[24:25], s[22:23]
	s_xor_b64 s[22:23], exec, s[24:25]
	s_cbranch_execz .LBB58_24
; %bb.23:                               ;   in Loop: Header=BB58_2 Depth=1
	ds_read_u8 v59, v62 offset:1
.LBB58_24:                              ;   in Loop: Header=BB58_2 Depth=1
	s_or_saveexec_b64 s[22:23], s[22:23]
	v_mov_b32_e32 v60, v58
	s_xor_b64 exec, exec, s[22:23]
	s_cbranch_execz .LBB58_26
; %bb.25:                               ;   in Loop: Header=BB58_2 Depth=1
	ds_read_u8 v60, v61 offset:1
	s_waitcnt lgkmcnt(1)
	v_mov_b32_e32 v59, v57
.LBB58_26:                              ;   in Loop: Header=BB58_2 Depth=1
	s_or_b64 exec, exec, s[22:23]
	v_add_u32_e32 v64, 1, v62
	v_add_u32_e32 v63, 1, v61
	v_cndmask_b32_e64 v65, v64, v62, s[20:21]
	v_cndmask_b32_e64 v63, v61, v63, s[20:21]
	v_cmp_ge_i32_e64 s[24:25], v65, v5
	s_waitcnt lgkmcnt(0)
	v_cmp_lt_i16_sdwa s[26:27], sext(v60), sext(v59) src0_sel:BYTE_0 src1_sel:BYTE_0
	v_cmp_lt_i32_e64 s[22:23], v63, v6
	s_or_b64 s[24:25], s[24:25], s[26:27]
	s_and_b64 s[22:23], s[22:23], s[24:25]
	s_xor_b64 s[24:25], s[22:23], -1
                                        ; implicit-def: $vgpr61
	s_and_saveexec_b64 s[26:27], s[24:25]
	s_xor_b64 s[24:25], exec, s[26:27]
	s_cbranch_execz .LBB58_28
; %bb.27:                               ;   in Loop: Header=BB58_2 Depth=1
	ds_read_u8 v61, v65 offset:1
.LBB58_28:                              ;   in Loop: Header=BB58_2 Depth=1
	s_or_saveexec_b64 s[24:25], s[24:25]
	v_mov_b32_e32 v62, v60
	s_xor_b64 exec, exec, s[24:25]
	s_cbranch_execz .LBB58_30
; %bb.29:                               ;   in Loop: Header=BB58_2 Depth=1
	ds_read_u8 v62, v63 offset:1
	s_waitcnt lgkmcnt(1)
	v_mov_b32_e32 v61, v59
.LBB58_30:                              ;   in Loop: Header=BB58_2 Depth=1
	s_or_b64 exec, exec, s[24:25]
	v_add_u32_e32 v66, 1, v65
	v_add_u32_e32 v64, 1, v63
	v_cndmask_b32_e64 v65, v66, v65, s[22:23]
	v_cndmask_b32_e64 v64, v63, v64, s[22:23]
	v_cmp_ge_i32_e64 s[26:27], v65, v5
	s_waitcnt lgkmcnt(0)
	v_cmp_lt_i16_sdwa s[42:43], sext(v62), sext(v61) src0_sel:BYTE_0 src1_sel:BYTE_0
	v_cmp_lt_i32_e64 s[24:25], v64, v6
	s_or_b64 s[26:27], s[26:27], s[42:43]
	s_and_b64 s[24:25], s[24:25], s[26:27]
	s_xor_b64 s[26:27], s[24:25], -1
                                        ; implicit-def: $vgpr63
	s_and_saveexec_b64 s[42:43], s[26:27]
	s_xor_b64 s[26:27], exec, s[42:43]
	s_cbranch_execz .LBB58_32
; %bb.31:                               ;   in Loop: Header=BB58_2 Depth=1
	ds_read_u8 v63, v65 offset:1
.LBB58_32:                              ;   in Loop: Header=BB58_2 Depth=1
	s_or_saveexec_b64 s[26:27], s[26:27]
	v_mov_b32_e32 v66, v62
	s_xor_b64 exec, exec, s[26:27]
	s_cbranch_execz .LBB58_34
; %bb.33:                               ;   in Loop: Header=BB58_2 Depth=1
	ds_read_u8 v66, v64 offset:1
	s_waitcnt lgkmcnt(1)
	v_mov_b32_e32 v63, v61
.LBB58_34:                              ;   in Loop: Header=BB58_2 Depth=1
	s_or_b64 exec, exec, s[26:27]
	v_cndmask_b32_e64 v61, v61, v62, s[24:25]
	v_add_u32_e32 v62, 1, v64
	v_add_u32_e32 v67, 1, v65
	v_cndmask_b32_e64 v62, v64, v62, s[24:25]
	v_cndmask_b32_e64 v64, v67, v65, s[24:25]
	;; [unrolled: 1-line block ×4, first 2 shown]
	v_cmp_ge_i32_e64 s[14:15], v64, v5
	s_waitcnt lgkmcnt(0)
	v_cmp_lt_i16_sdwa s[16:17], sext(v66), sext(v63) src0_sel:BYTE_0 src1_sel:BYTE_0
	v_cndmask_b32_e64 v55, v55, v56, s[18:19]
	v_cndmask_b32_e64 v49, v49, v50, s[12:13]
	v_cmp_lt_i32_e64 s[12:13], v62, v6
	s_or_b64 s[14:15], s[14:15], s[16:17]
	v_lshlrev_b16_e32 v50, 8, v51
	s_and_b64 s[12:13], s[12:13], s[14:15]
	v_or_b32_sdwa v49, v49, v50 dst_sel:DWORD dst_unused:UNUSED_PAD src0_sel:BYTE_0 src1_sel:DWORD
	v_lshlrev_b16_e32 v50, 8, v55
	v_cndmask_b32_e64 v59, v59, v60, s[22:23]
	v_cndmask_b32_e64 v52, v63, v66, s[12:13]
	v_or_b32_sdwa v50, v53, v50 dst_sel:WORD_1 dst_unused:UNUSED_PAD src0_sel:BYTE_0 src1_sel:DWORD
	v_cndmask_b32_e64 v57, v57, v58, s[20:21]
	v_or_b32_sdwa v50, v49, v50 dst_sel:DWORD dst_unused:UNUSED_PAD src0_sel:WORD_0 src1_sel:DWORD
	v_lshlrev_b16_e32 v49, 8, v59
	v_lshlrev_b16_e32 v51, 8, v52
	v_or_b32_sdwa v49, v57, v49 dst_sel:DWORD dst_unused:UNUSED_PAD src0_sel:BYTE_0 src1_sel:DWORD
	v_or_b32_sdwa v51, v61, v51 dst_sel:WORD_1 dst_unused:UNUSED_PAD src0_sel:BYTE_0 src1_sel:DWORD
	s_nop 0
	v_or_b32_sdwa v51, v49, v51 dst_sel:DWORD dst_unused:UNUSED_PAD src0_sel:WORD_0 src1_sel:DWORD
	v_mov_b32_e32 v49, v14
	s_barrier
	ds_write_b64 v2, v[50:51]
	s_waitcnt lgkmcnt(0)
	s_barrier
	s_and_saveexec_b64 s[14:15], s[0:1]
	s_cbranch_execz .LBB58_38
; %bb.35:                               ;   in Loop: Header=BB58_2 Depth=1
	s_mov_b64 s[16:17], 0
	v_mov_b32_e32 v49, v14
	v_mov_b32_e32 v50, v15
.LBB58_36:                              ;   Parent Loop BB58_2 Depth=1
                                        ; =>  This Inner Loop Header: Depth=2
	v_sub_u32_e32 v51, v50, v49
	v_lshrrev_b32_e32 v52, 31, v51
	v_add_u32_e32 v51, v51, v52
	v_ashrrev_i32_e32 v51, 1, v51
	v_add_u32_e32 v51, v51, v49
	v_not_b32_e32 v53, v51
	v_add_u32_e32 v52, v10, v51
	v_add3_u32 v53, v11, v53, v12
	ds_read_i8 v52, v52
	ds_read_i8 v53, v53
	v_add_u32_e32 v54, 1, v51
	s_waitcnt lgkmcnt(0)
	v_cmp_lt_i16_e64 s[12:13], v53, v52
	s_nop 1
	v_cndmask_b32_e64 v50, v50, v51, s[12:13]
	v_cndmask_b32_e64 v49, v54, v49, s[12:13]
	v_cmp_ge_i32_e64 s[12:13], v49, v50
	s_or_b64 s[16:17], s[12:13], s[16:17]
	s_andn2_b64 exec, exec, s[16:17]
	s_cbranch_execnz .LBB58_36
; %bb.37:                               ;   in Loop: Header=BB58_2 Depth=1
	s_or_b64 exec, exec, s[16:17]
.LBB58_38:                              ;   in Loop: Header=BB58_2 Depth=1
	s_or_b64 exec, exec, s[14:15]
	v_add_u32_e32 v53, v49, v10
	v_sub_u32_e32 v54, v16, v49
	ds_read_u8 v49, v53
	ds_read_u8 v50, v54
	v_cmp_le_i32_e64 s[14:15], v12, v53
	v_cmp_gt_i32_e64 s[12:13], v13, v54
                                        ; implicit-def: $vgpr51
	s_waitcnt lgkmcnt(1)
	v_bfe_i32 v49, v49, 0, 8
	s_waitcnt lgkmcnt(0)
	v_bfe_i32 v50, v50, 0, 8
	v_cmp_lt_i16_e64 s[16:17], v50, v49
	s_or_b64 s[14:15], s[14:15], s[16:17]
	s_and_b64 s[12:13], s[12:13], s[14:15]
	s_xor_b64 s[14:15], s[12:13], -1
	s_and_saveexec_b64 s[16:17], s[14:15]
	s_xor_b64 s[14:15], exec, s[16:17]
	s_cbranch_execz .LBB58_40
; %bb.39:                               ;   in Loop: Header=BB58_2 Depth=1
	ds_read_u8 v51, v53 offset:1
.LBB58_40:                              ;   in Loop: Header=BB58_2 Depth=1
	s_or_saveexec_b64 s[14:15], s[14:15]
	v_mov_b32_e32 v52, v50
	s_xor_b64 exec, exec, s[14:15]
	s_cbranch_execz .LBB58_42
; %bb.41:                               ;   in Loop: Header=BB58_2 Depth=1
	ds_read_u8 v52, v54 offset:1
	s_waitcnt lgkmcnt(1)
	v_mov_b32_e32 v51, v49
.LBB58_42:                              ;   in Loop: Header=BB58_2 Depth=1
	s_or_b64 exec, exec, s[14:15]
	v_add_u32_e32 v56, 1, v53
	v_add_u32_e32 v55, 1, v54
	v_cndmask_b32_e64 v56, v56, v53, s[12:13]
	v_cndmask_b32_e64 v55, v54, v55, s[12:13]
	v_cmp_ge_i32_e64 s[16:17], v56, v12
	s_waitcnt lgkmcnt(0)
	v_cmp_lt_i16_sdwa s[18:19], sext(v52), sext(v51) src0_sel:BYTE_0 src1_sel:BYTE_0
	v_cmp_lt_i32_e64 s[14:15], v55, v13
	s_or_b64 s[16:17], s[16:17], s[18:19]
	s_and_b64 s[14:15], s[14:15], s[16:17]
	s_xor_b64 s[16:17], s[14:15], -1
                                        ; implicit-def: $vgpr53
	s_and_saveexec_b64 s[18:19], s[16:17]
	s_xor_b64 s[16:17], exec, s[18:19]
	s_cbranch_execz .LBB58_44
; %bb.43:                               ;   in Loop: Header=BB58_2 Depth=1
	ds_read_u8 v53, v56 offset:1
.LBB58_44:                              ;   in Loop: Header=BB58_2 Depth=1
	s_or_saveexec_b64 s[16:17], s[16:17]
	v_mov_b32_e32 v54, v52
	s_xor_b64 exec, exec, s[16:17]
	s_cbranch_execz .LBB58_46
; %bb.45:                               ;   in Loop: Header=BB58_2 Depth=1
	ds_read_u8 v54, v55 offset:1
	s_waitcnt lgkmcnt(1)
	v_mov_b32_e32 v53, v51
.LBB58_46:                              ;   in Loop: Header=BB58_2 Depth=1
	s_or_b64 exec, exec, s[16:17]
	v_add_u32_e32 v58, 1, v56
	v_add_u32_e32 v57, 1, v55
	v_cndmask_b32_e64 v58, v58, v56, s[14:15]
	v_cndmask_b32_e64 v57, v55, v57, s[14:15]
	v_cmp_ge_i32_e64 s[18:19], v58, v12
	s_waitcnt lgkmcnt(0)
	v_cmp_lt_i16_sdwa s[20:21], sext(v54), sext(v53) src0_sel:BYTE_0 src1_sel:BYTE_0
	v_cmp_lt_i32_e64 s[16:17], v57, v13
	s_or_b64 s[18:19], s[18:19], s[20:21]
	s_and_b64 s[16:17], s[16:17], s[18:19]
	s_xor_b64 s[18:19], s[16:17], -1
                                        ; implicit-def: $vgpr55
	s_and_saveexec_b64 s[20:21], s[18:19]
	s_xor_b64 s[18:19], exec, s[20:21]
	s_cbranch_execz .LBB58_48
; %bb.47:                               ;   in Loop: Header=BB58_2 Depth=1
	ds_read_u8 v55, v58 offset:1
.LBB58_48:                              ;   in Loop: Header=BB58_2 Depth=1
	s_or_saveexec_b64 s[18:19], s[18:19]
	v_mov_b32_e32 v56, v54
	s_xor_b64 exec, exec, s[18:19]
	s_cbranch_execz .LBB58_50
; %bb.49:                               ;   in Loop: Header=BB58_2 Depth=1
	ds_read_u8 v56, v57 offset:1
	s_waitcnt lgkmcnt(1)
	v_mov_b32_e32 v55, v53
.LBB58_50:                              ;   in Loop: Header=BB58_2 Depth=1
	s_or_b64 exec, exec, s[18:19]
	v_add_u32_e32 v60, 1, v58
	v_add_u32_e32 v59, 1, v57
	v_cndmask_b32_e64 v60, v60, v58, s[16:17]
	v_cndmask_b32_e64 v59, v57, v59, s[16:17]
	v_cmp_ge_i32_e64 s[20:21], v60, v12
	s_waitcnt lgkmcnt(0)
	v_cmp_lt_i16_sdwa s[22:23], sext(v56), sext(v55) src0_sel:BYTE_0 src1_sel:BYTE_0
	v_cmp_lt_i32_e64 s[18:19], v59, v13
	s_or_b64 s[20:21], s[20:21], s[22:23]
	s_and_b64 s[18:19], s[18:19], s[20:21]
	s_xor_b64 s[20:21], s[18:19], -1
                                        ; implicit-def: $vgpr57
	s_and_saveexec_b64 s[22:23], s[20:21]
	s_xor_b64 s[20:21], exec, s[22:23]
	s_cbranch_execz .LBB58_52
; %bb.51:                               ;   in Loop: Header=BB58_2 Depth=1
	ds_read_u8 v57, v60 offset:1
.LBB58_52:                              ;   in Loop: Header=BB58_2 Depth=1
	s_or_saveexec_b64 s[20:21], s[20:21]
	v_mov_b32_e32 v58, v56
	s_xor_b64 exec, exec, s[20:21]
	s_cbranch_execz .LBB58_54
; %bb.53:                               ;   in Loop: Header=BB58_2 Depth=1
	ds_read_u8 v58, v59 offset:1
	s_waitcnt lgkmcnt(1)
	v_mov_b32_e32 v57, v55
.LBB58_54:                              ;   in Loop: Header=BB58_2 Depth=1
	s_or_b64 exec, exec, s[20:21]
	v_add_u32_e32 v62, 1, v60
	v_add_u32_e32 v61, 1, v59
	v_cndmask_b32_e64 v62, v62, v60, s[18:19]
	v_cndmask_b32_e64 v61, v59, v61, s[18:19]
	v_cmp_ge_i32_e64 s[22:23], v62, v12
	s_waitcnt lgkmcnt(0)
	v_cmp_lt_i16_sdwa s[24:25], sext(v58), sext(v57) src0_sel:BYTE_0 src1_sel:BYTE_0
	v_cmp_lt_i32_e64 s[20:21], v61, v13
	s_or_b64 s[22:23], s[22:23], s[24:25]
	s_and_b64 s[20:21], s[20:21], s[22:23]
	s_xor_b64 s[22:23], s[20:21], -1
                                        ; implicit-def: $vgpr59
	s_and_saveexec_b64 s[24:25], s[22:23]
	s_xor_b64 s[22:23], exec, s[24:25]
	s_cbranch_execz .LBB58_56
; %bb.55:                               ;   in Loop: Header=BB58_2 Depth=1
	ds_read_u8 v59, v62 offset:1
.LBB58_56:                              ;   in Loop: Header=BB58_2 Depth=1
	s_or_saveexec_b64 s[22:23], s[22:23]
	v_mov_b32_e32 v60, v58
	s_xor_b64 exec, exec, s[22:23]
	s_cbranch_execz .LBB58_58
; %bb.57:                               ;   in Loop: Header=BB58_2 Depth=1
	ds_read_u8 v60, v61 offset:1
	s_waitcnt lgkmcnt(1)
	v_mov_b32_e32 v59, v57
.LBB58_58:                              ;   in Loop: Header=BB58_2 Depth=1
	s_or_b64 exec, exec, s[22:23]
	v_add_u32_e32 v64, 1, v62
	v_add_u32_e32 v63, 1, v61
	v_cndmask_b32_e64 v65, v64, v62, s[20:21]
	v_cndmask_b32_e64 v63, v61, v63, s[20:21]
	v_cmp_ge_i32_e64 s[24:25], v65, v12
	s_waitcnt lgkmcnt(0)
	v_cmp_lt_i16_sdwa s[26:27], sext(v60), sext(v59) src0_sel:BYTE_0 src1_sel:BYTE_0
	v_cmp_lt_i32_e64 s[22:23], v63, v13
	s_or_b64 s[24:25], s[24:25], s[26:27]
	s_and_b64 s[22:23], s[22:23], s[24:25]
	s_xor_b64 s[24:25], s[22:23], -1
                                        ; implicit-def: $vgpr61
	s_and_saveexec_b64 s[26:27], s[24:25]
	s_xor_b64 s[24:25], exec, s[26:27]
	s_cbranch_execz .LBB58_60
; %bb.59:                               ;   in Loop: Header=BB58_2 Depth=1
	ds_read_u8 v61, v65 offset:1
.LBB58_60:                              ;   in Loop: Header=BB58_2 Depth=1
	s_or_saveexec_b64 s[24:25], s[24:25]
	v_mov_b32_e32 v62, v60
	s_xor_b64 exec, exec, s[24:25]
	s_cbranch_execz .LBB58_62
; %bb.61:                               ;   in Loop: Header=BB58_2 Depth=1
	ds_read_u8 v62, v63 offset:1
	s_waitcnt lgkmcnt(1)
	v_mov_b32_e32 v61, v59
.LBB58_62:                              ;   in Loop: Header=BB58_2 Depth=1
	s_or_b64 exec, exec, s[24:25]
	v_add_u32_e32 v66, 1, v65
	v_add_u32_e32 v64, 1, v63
	v_cndmask_b32_e64 v65, v66, v65, s[22:23]
	v_cndmask_b32_e64 v64, v63, v64, s[22:23]
	v_cmp_ge_i32_e64 s[26:27], v65, v12
	s_waitcnt lgkmcnt(0)
	v_cmp_lt_i16_sdwa s[42:43], sext(v62), sext(v61) src0_sel:BYTE_0 src1_sel:BYTE_0
	v_cmp_lt_i32_e64 s[24:25], v64, v13
	s_or_b64 s[26:27], s[26:27], s[42:43]
	s_and_b64 s[24:25], s[24:25], s[26:27]
	s_xor_b64 s[26:27], s[24:25], -1
                                        ; implicit-def: $vgpr63
	s_and_saveexec_b64 s[42:43], s[26:27]
	s_xor_b64 s[26:27], exec, s[42:43]
	s_cbranch_execz .LBB58_64
; %bb.63:                               ;   in Loop: Header=BB58_2 Depth=1
	ds_read_u8 v63, v65 offset:1
.LBB58_64:                              ;   in Loop: Header=BB58_2 Depth=1
	s_or_saveexec_b64 s[26:27], s[26:27]
	v_mov_b32_e32 v66, v62
	s_xor_b64 exec, exec, s[26:27]
	s_cbranch_execz .LBB58_66
; %bb.65:                               ;   in Loop: Header=BB58_2 Depth=1
	ds_read_u8 v66, v64 offset:1
	s_waitcnt lgkmcnt(1)
	v_mov_b32_e32 v63, v61
.LBB58_66:                              ;   in Loop: Header=BB58_2 Depth=1
	s_or_b64 exec, exec, s[26:27]
	v_cndmask_b32_e64 v61, v61, v62, s[24:25]
	v_add_u32_e32 v62, 1, v64
	v_add_u32_e32 v67, 1, v65
	v_cndmask_b32_e64 v62, v64, v62, s[24:25]
	v_cndmask_b32_e64 v64, v67, v65, s[24:25]
	;; [unrolled: 1-line block ×4, first 2 shown]
	v_cmp_ge_i32_e64 s[14:15], v64, v12
	s_waitcnt lgkmcnt(0)
	v_cmp_lt_i16_sdwa s[16:17], sext(v66), sext(v63) src0_sel:BYTE_0 src1_sel:BYTE_0
	v_cndmask_b32_e64 v55, v55, v56, s[18:19]
	v_cndmask_b32_e64 v49, v49, v50, s[12:13]
	v_cmp_lt_i32_e64 s[12:13], v62, v13
	s_or_b64 s[14:15], s[14:15], s[16:17]
	v_lshlrev_b16_e32 v50, 8, v51
	s_and_b64 s[12:13], s[12:13], s[14:15]
	v_or_b32_sdwa v49, v49, v50 dst_sel:DWORD dst_unused:UNUSED_PAD src0_sel:BYTE_0 src1_sel:DWORD
	v_lshlrev_b16_e32 v50, 8, v55
	v_cndmask_b32_e64 v59, v59, v60, s[22:23]
	v_cndmask_b32_e64 v52, v63, v66, s[12:13]
	v_or_b32_sdwa v50, v53, v50 dst_sel:WORD_1 dst_unused:UNUSED_PAD src0_sel:BYTE_0 src1_sel:DWORD
	v_cndmask_b32_e64 v57, v57, v58, s[20:21]
	v_or_b32_sdwa v50, v49, v50 dst_sel:DWORD dst_unused:UNUSED_PAD src0_sel:WORD_0 src1_sel:DWORD
	v_lshlrev_b16_e32 v49, 8, v59
	v_lshlrev_b16_e32 v51, 8, v52
	v_or_b32_sdwa v49, v57, v49 dst_sel:DWORD dst_unused:UNUSED_PAD src0_sel:BYTE_0 src1_sel:DWORD
	v_or_b32_sdwa v51, v61, v51 dst_sel:WORD_1 dst_unused:UNUSED_PAD src0_sel:BYTE_0 src1_sel:DWORD
	s_nop 0
	v_or_b32_sdwa v51, v49, v51 dst_sel:DWORD dst_unused:UNUSED_PAD src0_sel:WORD_0 src1_sel:DWORD
	v_mov_b32_e32 v49, v21
	s_barrier
	ds_write_b64 v2, v[50:51]
	s_waitcnt lgkmcnt(0)
	s_barrier
	s_and_saveexec_b64 s[14:15], s[2:3]
	s_cbranch_execz .LBB58_70
; %bb.67:                               ;   in Loop: Header=BB58_2 Depth=1
	s_mov_b64 s[16:17], 0
	v_mov_b32_e32 v49, v21
	v_mov_b32_e32 v50, v22
.LBB58_68:                              ;   Parent Loop BB58_2 Depth=1
                                        ; =>  This Inner Loop Header: Depth=2
	v_sub_u32_e32 v51, v50, v49
	v_lshrrev_b32_e32 v52, 31, v51
	v_add_u32_e32 v51, v51, v52
	v_ashrrev_i32_e32 v51, 1, v51
	v_add_u32_e32 v51, v51, v49
	v_not_b32_e32 v53, v51
	v_add_u32_e32 v52, v17, v51
	v_add3_u32 v53, v18, v53, v19
	ds_read_i8 v52, v52
	ds_read_i8 v53, v53
	v_add_u32_e32 v54, 1, v51
	s_waitcnt lgkmcnt(0)
	v_cmp_lt_i16_e64 s[12:13], v53, v52
	s_nop 1
	v_cndmask_b32_e64 v50, v50, v51, s[12:13]
	v_cndmask_b32_e64 v49, v54, v49, s[12:13]
	v_cmp_ge_i32_e64 s[12:13], v49, v50
	s_or_b64 s[16:17], s[12:13], s[16:17]
	s_andn2_b64 exec, exec, s[16:17]
	s_cbranch_execnz .LBB58_68
; %bb.69:                               ;   in Loop: Header=BB58_2 Depth=1
	s_or_b64 exec, exec, s[16:17]
.LBB58_70:                              ;   in Loop: Header=BB58_2 Depth=1
	s_or_b64 exec, exec, s[14:15]
	v_add_u32_e32 v53, v49, v17
	v_sub_u32_e32 v54, v23, v49
	ds_read_u8 v49, v53
	ds_read_u8 v50, v54
	v_cmp_le_i32_e64 s[14:15], v19, v53
	v_cmp_gt_i32_e64 s[12:13], v20, v54
                                        ; implicit-def: $vgpr51
	s_waitcnt lgkmcnt(1)
	v_bfe_i32 v49, v49, 0, 8
	s_waitcnt lgkmcnt(0)
	v_bfe_i32 v50, v50, 0, 8
	v_cmp_lt_i16_e64 s[16:17], v50, v49
	s_or_b64 s[14:15], s[14:15], s[16:17]
	s_and_b64 s[12:13], s[12:13], s[14:15]
	s_xor_b64 s[14:15], s[12:13], -1
	s_and_saveexec_b64 s[16:17], s[14:15]
	s_xor_b64 s[14:15], exec, s[16:17]
	s_cbranch_execz .LBB58_72
; %bb.71:                               ;   in Loop: Header=BB58_2 Depth=1
	ds_read_u8 v51, v53 offset:1
.LBB58_72:                              ;   in Loop: Header=BB58_2 Depth=1
	s_or_saveexec_b64 s[14:15], s[14:15]
	v_mov_b32_e32 v52, v50
	s_xor_b64 exec, exec, s[14:15]
	s_cbranch_execz .LBB58_74
; %bb.73:                               ;   in Loop: Header=BB58_2 Depth=1
	ds_read_u8 v52, v54 offset:1
	s_waitcnt lgkmcnt(1)
	v_mov_b32_e32 v51, v49
.LBB58_74:                              ;   in Loop: Header=BB58_2 Depth=1
	s_or_b64 exec, exec, s[14:15]
	v_add_u32_e32 v56, 1, v53
	v_add_u32_e32 v55, 1, v54
	v_cndmask_b32_e64 v56, v56, v53, s[12:13]
	v_cndmask_b32_e64 v55, v54, v55, s[12:13]
	v_cmp_ge_i32_e64 s[16:17], v56, v19
	s_waitcnt lgkmcnt(0)
	v_cmp_lt_i16_sdwa s[18:19], sext(v52), sext(v51) src0_sel:BYTE_0 src1_sel:BYTE_0
	v_cmp_lt_i32_e64 s[14:15], v55, v20
	s_or_b64 s[16:17], s[16:17], s[18:19]
	s_and_b64 s[14:15], s[14:15], s[16:17]
	s_xor_b64 s[16:17], s[14:15], -1
                                        ; implicit-def: $vgpr53
	s_and_saveexec_b64 s[18:19], s[16:17]
	s_xor_b64 s[16:17], exec, s[18:19]
	s_cbranch_execz .LBB58_76
; %bb.75:                               ;   in Loop: Header=BB58_2 Depth=1
	ds_read_u8 v53, v56 offset:1
.LBB58_76:                              ;   in Loop: Header=BB58_2 Depth=1
	s_or_saveexec_b64 s[16:17], s[16:17]
	v_mov_b32_e32 v54, v52
	s_xor_b64 exec, exec, s[16:17]
	s_cbranch_execz .LBB58_78
; %bb.77:                               ;   in Loop: Header=BB58_2 Depth=1
	ds_read_u8 v54, v55 offset:1
	s_waitcnt lgkmcnt(1)
	v_mov_b32_e32 v53, v51
.LBB58_78:                              ;   in Loop: Header=BB58_2 Depth=1
	s_or_b64 exec, exec, s[16:17]
	v_add_u32_e32 v58, 1, v56
	v_add_u32_e32 v57, 1, v55
	v_cndmask_b32_e64 v58, v58, v56, s[14:15]
	v_cndmask_b32_e64 v57, v55, v57, s[14:15]
	v_cmp_ge_i32_e64 s[18:19], v58, v19
	s_waitcnt lgkmcnt(0)
	v_cmp_lt_i16_sdwa s[20:21], sext(v54), sext(v53) src0_sel:BYTE_0 src1_sel:BYTE_0
	v_cmp_lt_i32_e64 s[16:17], v57, v20
	s_or_b64 s[18:19], s[18:19], s[20:21]
	s_and_b64 s[16:17], s[16:17], s[18:19]
	s_xor_b64 s[18:19], s[16:17], -1
                                        ; implicit-def: $vgpr55
	s_and_saveexec_b64 s[20:21], s[18:19]
	s_xor_b64 s[18:19], exec, s[20:21]
	s_cbranch_execz .LBB58_80
; %bb.79:                               ;   in Loop: Header=BB58_2 Depth=1
	ds_read_u8 v55, v58 offset:1
.LBB58_80:                              ;   in Loop: Header=BB58_2 Depth=1
	s_or_saveexec_b64 s[18:19], s[18:19]
	v_mov_b32_e32 v56, v54
	s_xor_b64 exec, exec, s[18:19]
	s_cbranch_execz .LBB58_82
; %bb.81:                               ;   in Loop: Header=BB58_2 Depth=1
	ds_read_u8 v56, v57 offset:1
	s_waitcnt lgkmcnt(1)
	v_mov_b32_e32 v55, v53
.LBB58_82:                              ;   in Loop: Header=BB58_2 Depth=1
	s_or_b64 exec, exec, s[18:19]
	v_add_u32_e32 v60, 1, v58
	v_add_u32_e32 v59, 1, v57
	v_cndmask_b32_e64 v60, v60, v58, s[16:17]
	v_cndmask_b32_e64 v59, v57, v59, s[16:17]
	v_cmp_ge_i32_e64 s[20:21], v60, v19
	s_waitcnt lgkmcnt(0)
	v_cmp_lt_i16_sdwa s[22:23], sext(v56), sext(v55) src0_sel:BYTE_0 src1_sel:BYTE_0
	v_cmp_lt_i32_e64 s[18:19], v59, v20
	s_or_b64 s[20:21], s[20:21], s[22:23]
	s_and_b64 s[18:19], s[18:19], s[20:21]
	s_xor_b64 s[20:21], s[18:19], -1
                                        ; implicit-def: $vgpr57
	s_and_saveexec_b64 s[22:23], s[20:21]
	s_xor_b64 s[20:21], exec, s[22:23]
	s_cbranch_execz .LBB58_84
; %bb.83:                               ;   in Loop: Header=BB58_2 Depth=1
	ds_read_u8 v57, v60 offset:1
.LBB58_84:                              ;   in Loop: Header=BB58_2 Depth=1
	s_or_saveexec_b64 s[20:21], s[20:21]
	v_mov_b32_e32 v58, v56
	s_xor_b64 exec, exec, s[20:21]
	s_cbranch_execz .LBB58_86
; %bb.85:                               ;   in Loop: Header=BB58_2 Depth=1
	ds_read_u8 v58, v59 offset:1
	s_waitcnt lgkmcnt(1)
	v_mov_b32_e32 v57, v55
.LBB58_86:                              ;   in Loop: Header=BB58_2 Depth=1
	s_or_b64 exec, exec, s[20:21]
	v_add_u32_e32 v62, 1, v60
	v_add_u32_e32 v61, 1, v59
	v_cndmask_b32_e64 v62, v62, v60, s[18:19]
	v_cndmask_b32_e64 v61, v59, v61, s[18:19]
	v_cmp_ge_i32_e64 s[22:23], v62, v19
	s_waitcnt lgkmcnt(0)
	v_cmp_lt_i16_sdwa s[24:25], sext(v58), sext(v57) src0_sel:BYTE_0 src1_sel:BYTE_0
	v_cmp_lt_i32_e64 s[20:21], v61, v20
	s_or_b64 s[22:23], s[22:23], s[24:25]
	s_and_b64 s[20:21], s[20:21], s[22:23]
	s_xor_b64 s[22:23], s[20:21], -1
                                        ; implicit-def: $vgpr59
	s_and_saveexec_b64 s[24:25], s[22:23]
	s_xor_b64 s[22:23], exec, s[24:25]
	s_cbranch_execz .LBB58_88
; %bb.87:                               ;   in Loop: Header=BB58_2 Depth=1
	ds_read_u8 v59, v62 offset:1
.LBB58_88:                              ;   in Loop: Header=BB58_2 Depth=1
	s_or_saveexec_b64 s[22:23], s[22:23]
	v_mov_b32_e32 v60, v58
	s_xor_b64 exec, exec, s[22:23]
	s_cbranch_execz .LBB58_90
; %bb.89:                               ;   in Loop: Header=BB58_2 Depth=1
	ds_read_u8 v60, v61 offset:1
	s_waitcnt lgkmcnt(1)
	v_mov_b32_e32 v59, v57
.LBB58_90:                              ;   in Loop: Header=BB58_2 Depth=1
	s_or_b64 exec, exec, s[22:23]
	v_add_u32_e32 v64, 1, v62
	v_add_u32_e32 v63, 1, v61
	v_cndmask_b32_e64 v65, v64, v62, s[20:21]
	v_cndmask_b32_e64 v63, v61, v63, s[20:21]
	v_cmp_ge_i32_e64 s[24:25], v65, v19
	s_waitcnt lgkmcnt(0)
	v_cmp_lt_i16_sdwa s[26:27], sext(v60), sext(v59) src0_sel:BYTE_0 src1_sel:BYTE_0
	v_cmp_lt_i32_e64 s[22:23], v63, v20
	s_or_b64 s[24:25], s[24:25], s[26:27]
	s_and_b64 s[22:23], s[22:23], s[24:25]
	s_xor_b64 s[24:25], s[22:23], -1
                                        ; implicit-def: $vgpr61
	s_and_saveexec_b64 s[26:27], s[24:25]
	s_xor_b64 s[24:25], exec, s[26:27]
	s_cbranch_execz .LBB58_92
; %bb.91:                               ;   in Loop: Header=BB58_2 Depth=1
	ds_read_u8 v61, v65 offset:1
.LBB58_92:                              ;   in Loop: Header=BB58_2 Depth=1
	s_or_saveexec_b64 s[24:25], s[24:25]
	v_mov_b32_e32 v62, v60
	s_xor_b64 exec, exec, s[24:25]
	s_cbranch_execz .LBB58_94
; %bb.93:                               ;   in Loop: Header=BB58_2 Depth=1
	ds_read_u8 v62, v63 offset:1
	s_waitcnt lgkmcnt(1)
	v_mov_b32_e32 v61, v59
.LBB58_94:                              ;   in Loop: Header=BB58_2 Depth=1
	s_or_b64 exec, exec, s[24:25]
	v_add_u32_e32 v66, 1, v65
	v_add_u32_e32 v64, 1, v63
	v_cndmask_b32_e64 v65, v66, v65, s[22:23]
	v_cndmask_b32_e64 v64, v63, v64, s[22:23]
	v_cmp_ge_i32_e64 s[26:27], v65, v19
	s_waitcnt lgkmcnt(0)
	v_cmp_lt_i16_sdwa s[42:43], sext(v62), sext(v61) src0_sel:BYTE_0 src1_sel:BYTE_0
	v_cmp_lt_i32_e64 s[24:25], v64, v20
	s_or_b64 s[26:27], s[26:27], s[42:43]
	s_and_b64 s[24:25], s[24:25], s[26:27]
	s_xor_b64 s[26:27], s[24:25], -1
                                        ; implicit-def: $vgpr63
	s_and_saveexec_b64 s[42:43], s[26:27]
	s_xor_b64 s[26:27], exec, s[42:43]
	s_cbranch_execz .LBB58_96
; %bb.95:                               ;   in Loop: Header=BB58_2 Depth=1
	ds_read_u8 v63, v65 offset:1
.LBB58_96:                              ;   in Loop: Header=BB58_2 Depth=1
	s_or_saveexec_b64 s[26:27], s[26:27]
	v_mov_b32_e32 v66, v62
	s_xor_b64 exec, exec, s[26:27]
	s_cbranch_execz .LBB58_98
; %bb.97:                               ;   in Loop: Header=BB58_2 Depth=1
	ds_read_u8 v66, v64 offset:1
	s_waitcnt lgkmcnt(1)
	v_mov_b32_e32 v63, v61
.LBB58_98:                              ;   in Loop: Header=BB58_2 Depth=1
	s_or_b64 exec, exec, s[26:27]
	v_cndmask_b32_e64 v61, v61, v62, s[24:25]
	v_add_u32_e32 v62, 1, v64
	v_add_u32_e32 v67, 1, v65
	v_cndmask_b32_e64 v62, v64, v62, s[24:25]
	v_cndmask_b32_e64 v64, v67, v65, s[24:25]
	;; [unrolled: 1-line block ×4, first 2 shown]
	v_cmp_ge_i32_e64 s[14:15], v64, v19
	s_waitcnt lgkmcnt(0)
	v_cmp_lt_i16_sdwa s[16:17], sext(v66), sext(v63) src0_sel:BYTE_0 src1_sel:BYTE_0
	v_cndmask_b32_e64 v55, v55, v56, s[18:19]
	v_cndmask_b32_e64 v49, v49, v50, s[12:13]
	v_cmp_lt_i32_e64 s[12:13], v62, v20
	s_or_b64 s[14:15], s[14:15], s[16:17]
	v_lshlrev_b16_e32 v50, 8, v51
	s_and_b64 s[12:13], s[12:13], s[14:15]
	v_or_b32_sdwa v49, v49, v50 dst_sel:DWORD dst_unused:UNUSED_PAD src0_sel:BYTE_0 src1_sel:DWORD
	v_lshlrev_b16_e32 v50, 8, v55
	v_cndmask_b32_e64 v59, v59, v60, s[22:23]
	v_cndmask_b32_e64 v52, v63, v66, s[12:13]
	v_or_b32_sdwa v50, v53, v50 dst_sel:WORD_1 dst_unused:UNUSED_PAD src0_sel:BYTE_0 src1_sel:DWORD
	v_cndmask_b32_e64 v57, v57, v58, s[20:21]
	v_or_b32_sdwa v50, v49, v50 dst_sel:DWORD dst_unused:UNUSED_PAD src0_sel:WORD_0 src1_sel:DWORD
	v_lshlrev_b16_e32 v49, 8, v59
	v_lshlrev_b16_e32 v51, 8, v52
	v_or_b32_sdwa v49, v57, v49 dst_sel:DWORD dst_unused:UNUSED_PAD src0_sel:BYTE_0 src1_sel:DWORD
	v_or_b32_sdwa v51, v61, v51 dst_sel:WORD_1 dst_unused:UNUSED_PAD src0_sel:BYTE_0 src1_sel:DWORD
	s_nop 0
	v_or_b32_sdwa v51, v49, v51 dst_sel:DWORD dst_unused:UNUSED_PAD src0_sel:WORD_0 src1_sel:DWORD
	v_mov_b32_e32 v49, v28
	s_barrier
	ds_write_b64 v2, v[50:51]
	s_waitcnt lgkmcnt(0)
	s_barrier
	s_and_saveexec_b64 s[14:15], s[4:5]
	s_cbranch_execz .LBB58_102
; %bb.99:                               ;   in Loop: Header=BB58_2 Depth=1
	s_mov_b64 s[16:17], 0
	v_mov_b32_e32 v49, v28
	v_mov_b32_e32 v50, v29
.LBB58_100:                             ;   Parent Loop BB58_2 Depth=1
                                        ; =>  This Inner Loop Header: Depth=2
	v_sub_u32_e32 v51, v50, v49
	v_lshrrev_b32_e32 v52, 31, v51
	v_add_u32_e32 v51, v51, v52
	v_ashrrev_i32_e32 v51, 1, v51
	v_add_u32_e32 v51, v51, v49
	v_not_b32_e32 v53, v51
	v_add_u32_e32 v52, v24, v51
	v_add3_u32 v53, v25, v53, v26
	ds_read_i8 v52, v52
	ds_read_i8 v53, v53
	v_add_u32_e32 v54, 1, v51
	s_waitcnt lgkmcnt(0)
	v_cmp_lt_i16_e64 s[12:13], v53, v52
	s_nop 1
	v_cndmask_b32_e64 v50, v50, v51, s[12:13]
	v_cndmask_b32_e64 v49, v54, v49, s[12:13]
	v_cmp_ge_i32_e64 s[12:13], v49, v50
	s_or_b64 s[16:17], s[12:13], s[16:17]
	s_andn2_b64 exec, exec, s[16:17]
	s_cbranch_execnz .LBB58_100
; %bb.101:                              ;   in Loop: Header=BB58_2 Depth=1
	s_or_b64 exec, exec, s[16:17]
.LBB58_102:                             ;   in Loop: Header=BB58_2 Depth=1
	s_or_b64 exec, exec, s[14:15]
	v_add_u32_e32 v53, v49, v24
	v_sub_u32_e32 v54, v30, v49
	ds_read_u8 v49, v53
	ds_read_u8 v50, v54
	v_cmp_le_i32_e64 s[14:15], v26, v53
	v_cmp_gt_i32_e64 s[12:13], v27, v54
                                        ; implicit-def: $vgpr51
	s_waitcnt lgkmcnt(1)
	v_bfe_i32 v49, v49, 0, 8
	s_waitcnt lgkmcnt(0)
	v_bfe_i32 v50, v50, 0, 8
	v_cmp_lt_i16_e64 s[16:17], v50, v49
	s_or_b64 s[14:15], s[14:15], s[16:17]
	s_and_b64 s[12:13], s[12:13], s[14:15]
	s_xor_b64 s[14:15], s[12:13], -1
	s_and_saveexec_b64 s[16:17], s[14:15]
	s_xor_b64 s[14:15], exec, s[16:17]
	s_cbranch_execz .LBB58_104
; %bb.103:                              ;   in Loop: Header=BB58_2 Depth=1
	ds_read_u8 v51, v53 offset:1
.LBB58_104:                             ;   in Loop: Header=BB58_2 Depth=1
	s_or_saveexec_b64 s[14:15], s[14:15]
	v_mov_b32_e32 v52, v50
	s_xor_b64 exec, exec, s[14:15]
	s_cbranch_execz .LBB58_106
; %bb.105:                              ;   in Loop: Header=BB58_2 Depth=1
	ds_read_u8 v52, v54 offset:1
	s_waitcnt lgkmcnt(1)
	v_mov_b32_e32 v51, v49
.LBB58_106:                             ;   in Loop: Header=BB58_2 Depth=1
	s_or_b64 exec, exec, s[14:15]
	v_add_u32_e32 v56, 1, v53
	v_add_u32_e32 v55, 1, v54
	v_cndmask_b32_e64 v56, v56, v53, s[12:13]
	v_cndmask_b32_e64 v55, v54, v55, s[12:13]
	v_cmp_ge_i32_e64 s[16:17], v56, v26
	s_waitcnt lgkmcnt(0)
	v_cmp_lt_i16_sdwa s[18:19], sext(v52), sext(v51) src0_sel:BYTE_0 src1_sel:BYTE_0
	v_cmp_lt_i32_e64 s[14:15], v55, v27
	s_or_b64 s[16:17], s[16:17], s[18:19]
	s_and_b64 s[14:15], s[14:15], s[16:17]
	s_xor_b64 s[16:17], s[14:15], -1
                                        ; implicit-def: $vgpr53
	s_and_saveexec_b64 s[18:19], s[16:17]
	s_xor_b64 s[16:17], exec, s[18:19]
	s_cbranch_execz .LBB58_108
; %bb.107:                              ;   in Loop: Header=BB58_2 Depth=1
	ds_read_u8 v53, v56 offset:1
.LBB58_108:                             ;   in Loop: Header=BB58_2 Depth=1
	s_or_saveexec_b64 s[16:17], s[16:17]
	v_mov_b32_e32 v54, v52
	s_xor_b64 exec, exec, s[16:17]
	s_cbranch_execz .LBB58_110
; %bb.109:                              ;   in Loop: Header=BB58_2 Depth=1
	ds_read_u8 v54, v55 offset:1
	s_waitcnt lgkmcnt(1)
	v_mov_b32_e32 v53, v51
.LBB58_110:                             ;   in Loop: Header=BB58_2 Depth=1
	s_or_b64 exec, exec, s[16:17]
	v_add_u32_e32 v58, 1, v56
	v_add_u32_e32 v57, 1, v55
	v_cndmask_b32_e64 v58, v58, v56, s[14:15]
	v_cndmask_b32_e64 v57, v55, v57, s[14:15]
	v_cmp_ge_i32_e64 s[18:19], v58, v26
	s_waitcnt lgkmcnt(0)
	v_cmp_lt_i16_sdwa s[20:21], sext(v54), sext(v53) src0_sel:BYTE_0 src1_sel:BYTE_0
	v_cmp_lt_i32_e64 s[16:17], v57, v27
	s_or_b64 s[18:19], s[18:19], s[20:21]
	s_and_b64 s[16:17], s[16:17], s[18:19]
	s_xor_b64 s[18:19], s[16:17], -1
                                        ; implicit-def: $vgpr55
	s_and_saveexec_b64 s[20:21], s[18:19]
	s_xor_b64 s[18:19], exec, s[20:21]
	s_cbranch_execz .LBB58_112
; %bb.111:                              ;   in Loop: Header=BB58_2 Depth=1
	ds_read_u8 v55, v58 offset:1
.LBB58_112:                             ;   in Loop: Header=BB58_2 Depth=1
	s_or_saveexec_b64 s[18:19], s[18:19]
	v_mov_b32_e32 v56, v54
	s_xor_b64 exec, exec, s[18:19]
	s_cbranch_execz .LBB58_114
; %bb.113:                              ;   in Loop: Header=BB58_2 Depth=1
	ds_read_u8 v56, v57 offset:1
	s_waitcnt lgkmcnt(1)
	v_mov_b32_e32 v55, v53
.LBB58_114:                             ;   in Loop: Header=BB58_2 Depth=1
	s_or_b64 exec, exec, s[18:19]
	v_add_u32_e32 v60, 1, v58
	v_add_u32_e32 v59, 1, v57
	v_cndmask_b32_e64 v60, v60, v58, s[16:17]
	v_cndmask_b32_e64 v59, v57, v59, s[16:17]
	v_cmp_ge_i32_e64 s[20:21], v60, v26
	s_waitcnt lgkmcnt(0)
	v_cmp_lt_i16_sdwa s[22:23], sext(v56), sext(v55) src0_sel:BYTE_0 src1_sel:BYTE_0
	v_cmp_lt_i32_e64 s[18:19], v59, v27
	s_or_b64 s[20:21], s[20:21], s[22:23]
	s_and_b64 s[18:19], s[18:19], s[20:21]
	s_xor_b64 s[20:21], s[18:19], -1
                                        ; implicit-def: $vgpr57
	s_and_saveexec_b64 s[22:23], s[20:21]
	s_xor_b64 s[20:21], exec, s[22:23]
	s_cbranch_execz .LBB58_116
; %bb.115:                              ;   in Loop: Header=BB58_2 Depth=1
	ds_read_u8 v57, v60 offset:1
.LBB58_116:                             ;   in Loop: Header=BB58_2 Depth=1
	s_or_saveexec_b64 s[20:21], s[20:21]
	v_mov_b32_e32 v58, v56
	s_xor_b64 exec, exec, s[20:21]
	s_cbranch_execz .LBB58_118
; %bb.117:                              ;   in Loop: Header=BB58_2 Depth=1
	ds_read_u8 v58, v59 offset:1
	s_waitcnt lgkmcnt(1)
	v_mov_b32_e32 v57, v55
.LBB58_118:                             ;   in Loop: Header=BB58_2 Depth=1
	s_or_b64 exec, exec, s[20:21]
	v_add_u32_e32 v62, 1, v60
	v_add_u32_e32 v61, 1, v59
	v_cndmask_b32_e64 v62, v62, v60, s[18:19]
	v_cndmask_b32_e64 v61, v59, v61, s[18:19]
	v_cmp_ge_i32_e64 s[22:23], v62, v26
	s_waitcnt lgkmcnt(0)
	v_cmp_lt_i16_sdwa s[24:25], sext(v58), sext(v57) src0_sel:BYTE_0 src1_sel:BYTE_0
	v_cmp_lt_i32_e64 s[20:21], v61, v27
	s_or_b64 s[22:23], s[22:23], s[24:25]
	s_and_b64 s[20:21], s[20:21], s[22:23]
	s_xor_b64 s[22:23], s[20:21], -1
                                        ; implicit-def: $vgpr59
	s_and_saveexec_b64 s[24:25], s[22:23]
	s_xor_b64 s[22:23], exec, s[24:25]
	s_cbranch_execz .LBB58_120
; %bb.119:                              ;   in Loop: Header=BB58_2 Depth=1
	ds_read_u8 v59, v62 offset:1
.LBB58_120:                             ;   in Loop: Header=BB58_2 Depth=1
	s_or_saveexec_b64 s[22:23], s[22:23]
	v_mov_b32_e32 v60, v58
	s_xor_b64 exec, exec, s[22:23]
	s_cbranch_execz .LBB58_122
; %bb.121:                              ;   in Loop: Header=BB58_2 Depth=1
	ds_read_u8 v60, v61 offset:1
	s_waitcnt lgkmcnt(1)
	v_mov_b32_e32 v59, v57
.LBB58_122:                             ;   in Loop: Header=BB58_2 Depth=1
	s_or_b64 exec, exec, s[22:23]
	v_add_u32_e32 v64, 1, v62
	v_add_u32_e32 v63, 1, v61
	v_cndmask_b32_e64 v65, v64, v62, s[20:21]
	v_cndmask_b32_e64 v63, v61, v63, s[20:21]
	v_cmp_ge_i32_e64 s[24:25], v65, v26
	s_waitcnt lgkmcnt(0)
	v_cmp_lt_i16_sdwa s[26:27], sext(v60), sext(v59) src0_sel:BYTE_0 src1_sel:BYTE_0
	v_cmp_lt_i32_e64 s[22:23], v63, v27
	s_or_b64 s[24:25], s[24:25], s[26:27]
	s_and_b64 s[22:23], s[22:23], s[24:25]
	s_xor_b64 s[24:25], s[22:23], -1
                                        ; implicit-def: $vgpr61
	s_and_saveexec_b64 s[26:27], s[24:25]
	s_xor_b64 s[24:25], exec, s[26:27]
	s_cbranch_execz .LBB58_124
; %bb.123:                              ;   in Loop: Header=BB58_2 Depth=1
	ds_read_u8 v61, v65 offset:1
.LBB58_124:                             ;   in Loop: Header=BB58_2 Depth=1
	s_or_saveexec_b64 s[24:25], s[24:25]
	v_mov_b32_e32 v62, v60
	s_xor_b64 exec, exec, s[24:25]
	s_cbranch_execz .LBB58_126
; %bb.125:                              ;   in Loop: Header=BB58_2 Depth=1
	ds_read_u8 v62, v63 offset:1
	s_waitcnt lgkmcnt(1)
	v_mov_b32_e32 v61, v59
.LBB58_126:                             ;   in Loop: Header=BB58_2 Depth=1
	s_or_b64 exec, exec, s[24:25]
	v_add_u32_e32 v66, 1, v65
	v_add_u32_e32 v64, 1, v63
	v_cndmask_b32_e64 v65, v66, v65, s[22:23]
	v_cndmask_b32_e64 v64, v63, v64, s[22:23]
	v_cmp_ge_i32_e64 s[26:27], v65, v26
	s_waitcnt lgkmcnt(0)
	v_cmp_lt_i16_sdwa s[42:43], sext(v62), sext(v61) src0_sel:BYTE_0 src1_sel:BYTE_0
	v_cmp_lt_i32_e64 s[24:25], v64, v27
	s_or_b64 s[26:27], s[26:27], s[42:43]
	s_and_b64 s[24:25], s[24:25], s[26:27]
	s_xor_b64 s[26:27], s[24:25], -1
                                        ; implicit-def: $vgpr63
	s_and_saveexec_b64 s[42:43], s[26:27]
	s_xor_b64 s[26:27], exec, s[42:43]
	s_cbranch_execz .LBB58_128
; %bb.127:                              ;   in Loop: Header=BB58_2 Depth=1
	ds_read_u8 v63, v65 offset:1
.LBB58_128:                             ;   in Loop: Header=BB58_2 Depth=1
	s_or_saveexec_b64 s[26:27], s[26:27]
	v_mov_b32_e32 v66, v62
	s_xor_b64 exec, exec, s[26:27]
	s_cbranch_execz .LBB58_130
; %bb.129:                              ;   in Loop: Header=BB58_2 Depth=1
	ds_read_u8 v66, v64 offset:1
	s_waitcnt lgkmcnt(1)
	v_mov_b32_e32 v63, v61
.LBB58_130:                             ;   in Loop: Header=BB58_2 Depth=1
	s_or_b64 exec, exec, s[26:27]
	v_cndmask_b32_e64 v61, v61, v62, s[24:25]
	v_add_u32_e32 v62, 1, v64
	v_add_u32_e32 v67, 1, v65
	v_cndmask_b32_e64 v62, v64, v62, s[24:25]
	v_cndmask_b32_e64 v64, v67, v65, s[24:25]
	;; [unrolled: 1-line block ×4, first 2 shown]
	v_cmp_ge_i32_e64 s[14:15], v64, v26
	s_waitcnt lgkmcnt(0)
	v_cmp_lt_i16_sdwa s[16:17], sext(v66), sext(v63) src0_sel:BYTE_0 src1_sel:BYTE_0
	v_cndmask_b32_e64 v55, v55, v56, s[18:19]
	v_cndmask_b32_e64 v49, v49, v50, s[12:13]
	v_cmp_lt_i32_e64 s[12:13], v62, v27
	s_or_b64 s[14:15], s[14:15], s[16:17]
	v_lshlrev_b16_e32 v50, 8, v51
	s_and_b64 s[12:13], s[12:13], s[14:15]
	v_or_b32_sdwa v49, v49, v50 dst_sel:DWORD dst_unused:UNUSED_PAD src0_sel:BYTE_0 src1_sel:DWORD
	v_lshlrev_b16_e32 v50, 8, v55
	v_cndmask_b32_e64 v59, v59, v60, s[22:23]
	v_cndmask_b32_e64 v52, v63, v66, s[12:13]
	v_or_b32_sdwa v50, v53, v50 dst_sel:WORD_1 dst_unused:UNUSED_PAD src0_sel:BYTE_0 src1_sel:DWORD
	v_cndmask_b32_e64 v57, v57, v58, s[20:21]
	v_or_b32_sdwa v50, v49, v50 dst_sel:DWORD dst_unused:UNUSED_PAD src0_sel:WORD_0 src1_sel:DWORD
	v_lshlrev_b16_e32 v49, 8, v59
	v_lshlrev_b16_e32 v51, 8, v52
	v_or_b32_sdwa v49, v57, v49 dst_sel:DWORD dst_unused:UNUSED_PAD src0_sel:BYTE_0 src1_sel:DWORD
	v_or_b32_sdwa v51, v61, v51 dst_sel:WORD_1 dst_unused:UNUSED_PAD src0_sel:BYTE_0 src1_sel:DWORD
	s_nop 0
	v_or_b32_sdwa v51, v49, v51 dst_sel:DWORD dst_unused:UNUSED_PAD src0_sel:WORD_0 src1_sel:DWORD
	v_mov_b32_e32 v49, v35
	s_barrier
	ds_write_b64 v2, v[50:51]
	s_waitcnt lgkmcnt(0)
	s_barrier
	s_and_saveexec_b64 s[14:15], s[6:7]
	s_cbranch_execz .LBB58_134
; %bb.131:                              ;   in Loop: Header=BB58_2 Depth=1
	s_mov_b64 s[16:17], 0
	v_mov_b32_e32 v49, v35
	v_mov_b32_e32 v50, v36
.LBB58_132:                             ;   Parent Loop BB58_2 Depth=1
                                        ; =>  This Inner Loop Header: Depth=2
	v_sub_u32_e32 v51, v50, v49
	v_lshrrev_b32_e32 v52, 31, v51
	v_add_u32_e32 v51, v51, v52
	v_ashrrev_i32_e32 v51, 1, v51
	v_add_u32_e32 v51, v51, v49
	v_not_b32_e32 v53, v51
	v_add_u32_e32 v52, v31, v51
	v_add3_u32 v53, v32, v53, v33
	ds_read_i8 v52, v52
	ds_read_i8 v53, v53
	v_add_u32_e32 v54, 1, v51
	s_waitcnt lgkmcnt(0)
	v_cmp_lt_i16_e64 s[12:13], v53, v52
	s_nop 1
	v_cndmask_b32_e64 v50, v50, v51, s[12:13]
	v_cndmask_b32_e64 v49, v54, v49, s[12:13]
	v_cmp_ge_i32_e64 s[12:13], v49, v50
	s_or_b64 s[16:17], s[12:13], s[16:17]
	s_andn2_b64 exec, exec, s[16:17]
	s_cbranch_execnz .LBB58_132
; %bb.133:                              ;   in Loop: Header=BB58_2 Depth=1
	s_or_b64 exec, exec, s[16:17]
.LBB58_134:                             ;   in Loop: Header=BB58_2 Depth=1
	s_or_b64 exec, exec, s[14:15]
	v_add_u32_e32 v53, v49, v31
	v_sub_u32_e32 v54, v37, v49
	ds_read_u8 v49, v53
	ds_read_u8 v50, v54
	v_cmp_le_i32_e64 s[14:15], v33, v53
	v_cmp_gt_i32_e64 s[12:13], v34, v54
                                        ; implicit-def: $vgpr51
	s_waitcnt lgkmcnt(1)
	v_bfe_i32 v49, v49, 0, 8
	s_waitcnt lgkmcnt(0)
	v_bfe_i32 v50, v50, 0, 8
	v_cmp_lt_i16_e64 s[16:17], v50, v49
	s_or_b64 s[14:15], s[14:15], s[16:17]
	s_and_b64 s[12:13], s[12:13], s[14:15]
	s_xor_b64 s[14:15], s[12:13], -1
	s_and_saveexec_b64 s[16:17], s[14:15]
	s_xor_b64 s[14:15], exec, s[16:17]
	s_cbranch_execz .LBB58_136
; %bb.135:                              ;   in Loop: Header=BB58_2 Depth=1
	ds_read_u8 v51, v53 offset:1
.LBB58_136:                             ;   in Loop: Header=BB58_2 Depth=1
	s_or_saveexec_b64 s[14:15], s[14:15]
	v_mov_b32_e32 v52, v50
	s_xor_b64 exec, exec, s[14:15]
	s_cbranch_execz .LBB58_138
; %bb.137:                              ;   in Loop: Header=BB58_2 Depth=1
	ds_read_u8 v52, v54 offset:1
	s_waitcnt lgkmcnt(1)
	v_mov_b32_e32 v51, v49
.LBB58_138:                             ;   in Loop: Header=BB58_2 Depth=1
	s_or_b64 exec, exec, s[14:15]
	v_add_u32_e32 v56, 1, v53
	v_add_u32_e32 v55, 1, v54
	v_cndmask_b32_e64 v56, v56, v53, s[12:13]
	v_cndmask_b32_e64 v55, v54, v55, s[12:13]
	v_cmp_ge_i32_e64 s[16:17], v56, v33
	s_waitcnt lgkmcnt(0)
	v_cmp_lt_i16_sdwa s[18:19], sext(v52), sext(v51) src0_sel:BYTE_0 src1_sel:BYTE_0
	v_cmp_lt_i32_e64 s[14:15], v55, v34
	s_or_b64 s[16:17], s[16:17], s[18:19]
	s_and_b64 s[14:15], s[14:15], s[16:17]
	s_xor_b64 s[16:17], s[14:15], -1
                                        ; implicit-def: $vgpr53
	s_and_saveexec_b64 s[18:19], s[16:17]
	s_xor_b64 s[16:17], exec, s[18:19]
	s_cbranch_execz .LBB58_140
; %bb.139:                              ;   in Loop: Header=BB58_2 Depth=1
	ds_read_u8 v53, v56 offset:1
.LBB58_140:                             ;   in Loop: Header=BB58_2 Depth=1
	s_or_saveexec_b64 s[16:17], s[16:17]
	v_mov_b32_e32 v54, v52
	s_xor_b64 exec, exec, s[16:17]
	s_cbranch_execz .LBB58_142
; %bb.141:                              ;   in Loop: Header=BB58_2 Depth=1
	ds_read_u8 v54, v55 offset:1
	s_waitcnt lgkmcnt(1)
	v_mov_b32_e32 v53, v51
.LBB58_142:                             ;   in Loop: Header=BB58_2 Depth=1
	s_or_b64 exec, exec, s[16:17]
	v_add_u32_e32 v58, 1, v56
	v_add_u32_e32 v57, 1, v55
	v_cndmask_b32_e64 v58, v58, v56, s[14:15]
	v_cndmask_b32_e64 v57, v55, v57, s[14:15]
	v_cmp_ge_i32_e64 s[18:19], v58, v33
	s_waitcnt lgkmcnt(0)
	v_cmp_lt_i16_sdwa s[20:21], sext(v54), sext(v53) src0_sel:BYTE_0 src1_sel:BYTE_0
	v_cmp_lt_i32_e64 s[16:17], v57, v34
	s_or_b64 s[18:19], s[18:19], s[20:21]
	s_and_b64 s[16:17], s[16:17], s[18:19]
	s_xor_b64 s[18:19], s[16:17], -1
                                        ; implicit-def: $vgpr55
	s_and_saveexec_b64 s[20:21], s[18:19]
	s_xor_b64 s[18:19], exec, s[20:21]
	s_cbranch_execz .LBB58_144
; %bb.143:                              ;   in Loop: Header=BB58_2 Depth=1
	ds_read_u8 v55, v58 offset:1
.LBB58_144:                             ;   in Loop: Header=BB58_2 Depth=1
	s_or_saveexec_b64 s[18:19], s[18:19]
	v_mov_b32_e32 v56, v54
	s_xor_b64 exec, exec, s[18:19]
	s_cbranch_execz .LBB58_146
; %bb.145:                              ;   in Loop: Header=BB58_2 Depth=1
	ds_read_u8 v56, v57 offset:1
	s_waitcnt lgkmcnt(1)
	v_mov_b32_e32 v55, v53
.LBB58_146:                             ;   in Loop: Header=BB58_2 Depth=1
	s_or_b64 exec, exec, s[18:19]
	v_add_u32_e32 v60, 1, v58
	v_add_u32_e32 v59, 1, v57
	v_cndmask_b32_e64 v60, v60, v58, s[16:17]
	v_cndmask_b32_e64 v59, v57, v59, s[16:17]
	v_cmp_ge_i32_e64 s[20:21], v60, v33
	s_waitcnt lgkmcnt(0)
	v_cmp_lt_i16_sdwa s[22:23], sext(v56), sext(v55) src0_sel:BYTE_0 src1_sel:BYTE_0
	v_cmp_lt_i32_e64 s[18:19], v59, v34
	s_or_b64 s[20:21], s[20:21], s[22:23]
	s_and_b64 s[18:19], s[18:19], s[20:21]
	s_xor_b64 s[20:21], s[18:19], -1
                                        ; implicit-def: $vgpr57
	s_and_saveexec_b64 s[22:23], s[20:21]
	s_xor_b64 s[20:21], exec, s[22:23]
	s_cbranch_execz .LBB58_148
; %bb.147:                              ;   in Loop: Header=BB58_2 Depth=1
	ds_read_u8 v57, v60 offset:1
.LBB58_148:                             ;   in Loop: Header=BB58_2 Depth=1
	s_or_saveexec_b64 s[20:21], s[20:21]
	v_mov_b32_e32 v58, v56
	s_xor_b64 exec, exec, s[20:21]
	s_cbranch_execz .LBB58_150
; %bb.149:                              ;   in Loop: Header=BB58_2 Depth=1
	ds_read_u8 v58, v59 offset:1
	s_waitcnt lgkmcnt(1)
	v_mov_b32_e32 v57, v55
.LBB58_150:                             ;   in Loop: Header=BB58_2 Depth=1
	s_or_b64 exec, exec, s[20:21]
	v_add_u32_e32 v62, 1, v60
	v_add_u32_e32 v61, 1, v59
	v_cndmask_b32_e64 v62, v62, v60, s[18:19]
	v_cndmask_b32_e64 v61, v59, v61, s[18:19]
	v_cmp_ge_i32_e64 s[22:23], v62, v33
	s_waitcnt lgkmcnt(0)
	v_cmp_lt_i16_sdwa s[24:25], sext(v58), sext(v57) src0_sel:BYTE_0 src1_sel:BYTE_0
	v_cmp_lt_i32_e64 s[20:21], v61, v34
	s_or_b64 s[22:23], s[22:23], s[24:25]
	s_and_b64 s[20:21], s[20:21], s[22:23]
	s_xor_b64 s[22:23], s[20:21], -1
                                        ; implicit-def: $vgpr59
	s_and_saveexec_b64 s[24:25], s[22:23]
	s_xor_b64 s[22:23], exec, s[24:25]
	s_cbranch_execz .LBB58_152
; %bb.151:                              ;   in Loop: Header=BB58_2 Depth=1
	ds_read_u8 v59, v62 offset:1
.LBB58_152:                             ;   in Loop: Header=BB58_2 Depth=1
	s_or_saveexec_b64 s[22:23], s[22:23]
	v_mov_b32_e32 v60, v58
	s_xor_b64 exec, exec, s[22:23]
	s_cbranch_execz .LBB58_154
; %bb.153:                              ;   in Loop: Header=BB58_2 Depth=1
	ds_read_u8 v60, v61 offset:1
	s_waitcnt lgkmcnt(1)
	v_mov_b32_e32 v59, v57
.LBB58_154:                             ;   in Loop: Header=BB58_2 Depth=1
	s_or_b64 exec, exec, s[22:23]
	v_add_u32_e32 v64, 1, v62
	v_add_u32_e32 v63, 1, v61
	v_cndmask_b32_e64 v65, v64, v62, s[20:21]
	v_cndmask_b32_e64 v63, v61, v63, s[20:21]
	v_cmp_ge_i32_e64 s[24:25], v65, v33
	s_waitcnt lgkmcnt(0)
	v_cmp_lt_i16_sdwa s[26:27], sext(v60), sext(v59) src0_sel:BYTE_0 src1_sel:BYTE_0
	v_cmp_lt_i32_e64 s[22:23], v63, v34
	s_or_b64 s[24:25], s[24:25], s[26:27]
	s_and_b64 s[22:23], s[22:23], s[24:25]
	s_xor_b64 s[24:25], s[22:23], -1
                                        ; implicit-def: $vgpr61
	s_and_saveexec_b64 s[26:27], s[24:25]
	s_xor_b64 s[24:25], exec, s[26:27]
	s_cbranch_execz .LBB58_156
; %bb.155:                              ;   in Loop: Header=BB58_2 Depth=1
	ds_read_u8 v61, v65 offset:1
.LBB58_156:                             ;   in Loop: Header=BB58_2 Depth=1
	s_or_saveexec_b64 s[24:25], s[24:25]
	v_mov_b32_e32 v62, v60
	s_xor_b64 exec, exec, s[24:25]
	s_cbranch_execz .LBB58_158
; %bb.157:                              ;   in Loop: Header=BB58_2 Depth=1
	ds_read_u8 v62, v63 offset:1
	s_waitcnt lgkmcnt(1)
	v_mov_b32_e32 v61, v59
.LBB58_158:                             ;   in Loop: Header=BB58_2 Depth=1
	s_or_b64 exec, exec, s[24:25]
	v_add_u32_e32 v66, 1, v65
	v_add_u32_e32 v64, 1, v63
	v_cndmask_b32_e64 v65, v66, v65, s[22:23]
	v_cndmask_b32_e64 v64, v63, v64, s[22:23]
	v_cmp_ge_i32_e64 s[26:27], v65, v33
	s_waitcnt lgkmcnt(0)
	v_cmp_lt_i16_sdwa s[42:43], sext(v62), sext(v61) src0_sel:BYTE_0 src1_sel:BYTE_0
	v_cmp_lt_i32_e64 s[24:25], v64, v34
	s_or_b64 s[26:27], s[26:27], s[42:43]
	s_and_b64 s[24:25], s[24:25], s[26:27]
	s_xor_b64 s[26:27], s[24:25], -1
                                        ; implicit-def: $vgpr63
	s_and_saveexec_b64 s[42:43], s[26:27]
	s_xor_b64 s[26:27], exec, s[42:43]
	s_cbranch_execz .LBB58_160
; %bb.159:                              ;   in Loop: Header=BB58_2 Depth=1
	ds_read_u8 v63, v65 offset:1
.LBB58_160:                             ;   in Loop: Header=BB58_2 Depth=1
	s_or_saveexec_b64 s[26:27], s[26:27]
	v_mov_b32_e32 v66, v62
	s_xor_b64 exec, exec, s[26:27]
	s_cbranch_execz .LBB58_162
; %bb.161:                              ;   in Loop: Header=BB58_2 Depth=1
	ds_read_u8 v66, v64 offset:1
	s_waitcnt lgkmcnt(1)
	v_mov_b32_e32 v63, v61
.LBB58_162:                             ;   in Loop: Header=BB58_2 Depth=1
	s_or_b64 exec, exec, s[26:27]
	v_cndmask_b32_e64 v61, v61, v62, s[24:25]
	v_add_u32_e32 v62, 1, v64
	v_add_u32_e32 v67, 1, v65
	v_cndmask_b32_e64 v62, v64, v62, s[24:25]
	v_cndmask_b32_e64 v64, v67, v65, s[24:25]
	;; [unrolled: 1-line block ×4, first 2 shown]
	v_cmp_ge_i32_e64 s[14:15], v64, v33
	s_waitcnt lgkmcnt(0)
	v_cmp_lt_i16_sdwa s[16:17], sext(v66), sext(v63) src0_sel:BYTE_0 src1_sel:BYTE_0
	v_cndmask_b32_e64 v55, v55, v56, s[18:19]
	v_cndmask_b32_e64 v49, v49, v50, s[12:13]
	v_cmp_lt_i32_e64 s[12:13], v62, v34
	s_or_b64 s[14:15], s[14:15], s[16:17]
	v_lshlrev_b16_e32 v50, 8, v51
	s_and_b64 s[12:13], s[12:13], s[14:15]
	v_or_b32_sdwa v49, v49, v50 dst_sel:DWORD dst_unused:UNUSED_PAD src0_sel:BYTE_0 src1_sel:DWORD
	v_lshlrev_b16_e32 v50, 8, v55
	v_cndmask_b32_e64 v59, v59, v60, s[22:23]
	v_cndmask_b32_e64 v52, v63, v66, s[12:13]
	v_or_b32_sdwa v50, v53, v50 dst_sel:WORD_1 dst_unused:UNUSED_PAD src0_sel:BYTE_0 src1_sel:DWORD
	v_cndmask_b32_e64 v57, v57, v58, s[20:21]
	v_or_b32_sdwa v50, v49, v50 dst_sel:DWORD dst_unused:UNUSED_PAD src0_sel:WORD_0 src1_sel:DWORD
	v_lshlrev_b16_e32 v49, 8, v59
	v_lshlrev_b16_e32 v51, 8, v52
	v_or_b32_sdwa v49, v57, v49 dst_sel:DWORD dst_unused:UNUSED_PAD src0_sel:BYTE_0 src1_sel:DWORD
	v_or_b32_sdwa v51, v61, v51 dst_sel:WORD_1 dst_unused:UNUSED_PAD src0_sel:BYTE_0 src1_sel:DWORD
	s_nop 0
	v_or_b32_sdwa v51, v49, v51 dst_sel:DWORD dst_unused:UNUSED_PAD src0_sel:WORD_0 src1_sel:DWORD
	v_mov_b32_e32 v49, v43
	s_barrier
	ds_write_b64 v2, v[50:51]
	s_waitcnt lgkmcnt(0)
	s_barrier
	s_and_saveexec_b64 s[14:15], s[8:9]
	s_cbranch_execz .LBB58_166
; %bb.163:                              ;   in Loop: Header=BB58_2 Depth=1
	s_mov_b64 s[16:17], 0
	v_mov_b32_e32 v49, v43
	v_mov_b32_e32 v50, v44
.LBB58_164:                             ;   Parent Loop BB58_2 Depth=1
                                        ; =>  This Inner Loop Header: Depth=2
	v_sub_u32_e32 v51, v50, v49
	v_lshrrev_b32_e32 v52, 31, v51
	v_add_u32_e32 v51, v51, v52
	v_ashrrev_i32_e32 v51, 1, v51
	v_add_u32_e32 v51, v51, v49
	v_not_b32_e32 v53, v51
	v_add_u32_e32 v52, v39, v51
	v_add3_u32 v53, v40, v53, v41
	ds_read_i8 v52, v52
	ds_read_i8 v53, v53
	v_add_u32_e32 v54, 1, v51
	s_waitcnt lgkmcnt(0)
	v_cmp_lt_i16_e64 s[12:13], v53, v52
	s_nop 1
	v_cndmask_b32_e64 v50, v50, v51, s[12:13]
	v_cndmask_b32_e64 v49, v54, v49, s[12:13]
	v_cmp_ge_i32_e64 s[12:13], v49, v50
	s_or_b64 s[16:17], s[12:13], s[16:17]
	s_andn2_b64 exec, exec, s[16:17]
	s_cbranch_execnz .LBB58_164
; %bb.165:                              ;   in Loop: Header=BB58_2 Depth=1
	s_or_b64 exec, exec, s[16:17]
.LBB58_166:                             ;   in Loop: Header=BB58_2 Depth=1
	s_or_b64 exec, exec, s[14:15]
	v_add_u32_e32 v53, v49, v39
	v_sub_u32_e32 v54, v45, v49
	ds_read_u8 v49, v53
	ds_read_u8 v50, v54
	v_cmp_le_i32_e64 s[14:15], v41, v53
	v_cmp_gt_i32_e64 s[12:13], v42, v54
                                        ; implicit-def: $vgpr51
	s_waitcnt lgkmcnt(1)
	v_bfe_i32 v49, v49, 0, 8
	s_waitcnt lgkmcnt(0)
	v_bfe_i32 v50, v50, 0, 8
	v_cmp_lt_i16_e64 s[16:17], v50, v49
	s_or_b64 s[14:15], s[14:15], s[16:17]
	s_and_b64 s[12:13], s[12:13], s[14:15]
	s_xor_b64 s[14:15], s[12:13], -1
	s_and_saveexec_b64 s[16:17], s[14:15]
	s_xor_b64 s[14:15], exec, s[16:17]
	s_cbranch_execz .LBB58_168
; %bb.167:                              ;   in Loop: Header=BB58_2 Depth=1
	ds_read_u8 v51, v53 offset:1
.LBB58_168:                             ;   in Loop: Header=BB58_2 Depth=1
	s_or_saveexec_b64 s[14:15], s[14:15]
	v_mov_b32_e32 v52, v50
	s_xor_b64 exec, exec, s[14:15]
	s_cbranch_execz .LBB58_170
; %bb.169:                              ;   in Loop: Header=BB58_2 Depth=1
	ds_read_u8 v52, v54 offset:1
	s_waitcnt lgkmcnt(1)
	v_mov_b32_e32 v51, v49
.LBB58_170:                             ;   in Loop: Header=BB58_2 Depth=1
	s_or_b64 exec, exec, s[14:15]
	v_add_u32_e32 v56, 1, v53
	v_add_u32_e32 v55, 1, v54
	v_cndmask_b32_e64 v56, v56, v53, s[12:13]
	v_cndmask_b32_e64 v55, v54, v55, s[12:13]
	v_cmp_ge_i32_e64 s[16:17], v56, v41
	s_waitcnt lgkmcnt(0)
	v_cmp_lt_i16_sdwa s[18:19], sext(v52), sext(v51) src0_sel:BYTE_0 src1_sel:BYTE_0
	v_cmp_lt_i32_e64 s[14:15], v55, v42
	s_or_b64 s[16:17], s[16:17], s[18:19]
	s_and_b64 s[14:15], s[14:15], s[16:17]
	s_xor_b64 s[16:17], s[14:15], -1
                                        ; implicit-def: $vgpr53
	s_and_saveexec_b64 s[18:19], s[16:17]
	s_xor_b64 s[16:17], exec, s[18:19]
	s_cbranch_execz .LBB58_172
; %bb.171:                              ;   in Loop: Header=BB58_2 Depth=1
	ds_read_u8 v53, v56 offset:1
.LBB58_172:                             ;   in Loop: Header=BB58_2 Depth=1
	s_or_saveexec_b64 s[16:17], s[16:17]
	v_mov_b32_e32 v54, v52
	s_xor_b64 exec, exec, s[16:17]
	s_cbranch_execz .LBB58_174
; %bb.173:                              ;   in Loop: Header=BB58_2 Depth=1
	ds_read_u8 v54, v55 offset:1
	s_waitcnt lgkmcnt(1)
	v_mov_b32_e32 v53, v51
.LBB58_174:                             ;   in Loop: Header=BB58_2 Depth=1
	s_or_b64 exec, exec, s[16:17]
	v_add_u32_e32 v58, 1, v56
	v_add_u32_e32 v57, 1, v55
	v_cndmask_b32_e64 v58, v58, v56, s[14:15]
	v_cndmask_b32_e64 v57, v55, v57, s[14:15]
	v_cmp_ge_i32_e64 s[18:19], v58, v41
	s_waitcnt lgkmcnt(0)
	v_cmp_lt_i16_sdwa s[20:21], sext(v54), sext(v53) src0_sel:BYTE_0 src1_sel:BYTE_0
	v_cmp_lt_i32_e64 s[16:17], v57, v42
	s_or_b64 s[18:19], s[18:19], s[20:21]
	s_and_b64 s[16:17], s[16:17], s[18:19]
	s_xor_b64 s[18:19], s[16:17], -1
                                        ; implicit-def: $vgpr55
	s_and_saveexec_b64 s[20:21], s[18:19]
	s_xor_b64 s[18:19], exec, s[20:21]
	s_cbranch_execz .LBB58_176
; %bb.175:                              ;   in Loop: Header=BB58_2 Depth=1
	ds_read_u8 v55, v58 offset:1
.LBB58_176:                             ;   in Loop: Header=BB58_2 Depth=1
	s_or_saveexec_b64 s[18:19], s[18:19]
	v_mov_b32_e32 v56, v54
	s_xor_b64 exec, exec, s[18:19]
	s_cbranch_execz .LBB58_178
; %bb.177:                              ;   in Loop: Header=BB58_2 Depth=1
	ds_read_u8 v56, v57 offset:1
	s_waitcnt lgkmcnt(1)
	v_mov_b32_e32 v55, v53
.LBB58_178:                             ;   in Loop: Header=BB58_2 Depth=1
	s_or_b64 exec, exec, s[18:19]
	v_add_u32_e32 v60, 1, v58
	v_add_u32_e32 v59, 1, v57
	v_cndmask_b32_e64 v60, v60, v58, s[16:17]
	v_cndmask_b32_e64 v59, v57, v59, s[16:17]
	v_cmp_ge_i32_e64 s[20:21], v60, v41
	s_waitcnt lgkmcnt(0)
	v_cmp_lt_i16_sdwa s[22:23], sext(v56), sext(v55) src0_sel:BYTE_0 src1_sel:BYTE_0
	v_cmp_lt_i32_e64 s[18:19], v59, v42
	s_or_b64 s[20:21], s[20:21], s[22:23]
	s_and_b64 s[18:19], s[18:19], s[20:21]
	s_xor_b64 s[20:21], s[18:19], -1
                                        ; implicit-def: $vgpr57
	s_and_saveexec_b64 s[22:23], s[20:21]
	s_xor_b64 s[20:21], exec, s[22:23]
	s_cbranch_execz .LBB58_180
; %bb.179:                              ;   in Loop: Header=BB58_2 Depth=1
	ds_read_u8 v57, v60 offset:1
.LBB58_180:                             ;   in Loop: Header=BB58_2 Depth=1
	s_or_saveexec_b64 s[20:21], s[20:21]
	v_mov_b32_e32 v58, v56
	s_xor_b64 exec, exec, s[20:21]
	s_cbranch_execz .LBB58_182
; %bb.181:                              ;   in Loop: Header=BB58_2 Depth=1
	ds_read_u8 v58, v59 offset:1
	s_waitcnt lgkmcnt(1)
	v_mov_b32_e32 v57, v55
.LBB58_182:                             ;   in Loop: Header=BB58_2 Depth=1
	s_or_b64 exec, exec, s[20:21]
	v_add_u32_e32 v62, 1, v60
	v_add_u32_e32 v61, 1, v59
	v_cndmask_b32_e64 v62, v62, v60, s[18:19]
	v_cndmask_b32_e64 v61, v59, v61, s[18:19]
	v_cmp_ge_i32_e64 s[22:23], v62, v41
	s_waitcnt lgkmcnt(0)
	v_cmp_lt_i16_sdwa s[24:25], sext(v58), sext(v57) src0_sel:BYTE_0 src1_sel:BYTE_0
	v_cmp_lt_i32_e64 s[20:21], v61, v42
	s_or_b64 s[22:23], s[22:23], s[24:25]
	s_and_b64 s[20:21], s[20:21], s[22:23]
	s_xor_b64 s[22:23], s[20:21], -1
                                        ; implicit-def: $vgpr59
	s_and_saveexec_b64 s[24:25], s[22:23]
	s_xor_b64 s[22:23], exec, s[24:25]
	s_cbranch_execz .LBB58_184
; %bb.183:                              ;   in Loop: Header=BB58_2 Depth=1
	ds_read_u8 v59, v62 offset:1
.LBB58_184:                             ;   in Loop: Header=BB58_2 Depth=1
	s_or_saveexec_b64 s[22:23], s[22:23]
	v_mov_b32_e32 v60, v58
	s_xor_b64 exec, exec, s[22:23]
	s_cbranch_execz .LBB58_186
; %bb.185:                              ;   in Loop: Header=BB58_2 Depth=1
	ds_read_u8 v60, v61 offset:1
	s_waitcnt lgkmcnt(1)
	v_mov_b32_e32 v59, v57
.LBB58_186:                             ;   in Loop: Header=BB58_2 Depth=1
	s_or_b64 exec, exec, s[22:23]
	v_add_u32_e32 v64, 1, v62
	v_add_u32_e32 v63, 1, v61
	v_cndmask_b32_e64 v65, v64, v62, s[20:21]
	v_cndmask_b32_e64 v63, v61, v63, s[20:21]
	v_cmp_ge_i32_e64 s[24:25], v65, v41
	s_waitcnt lgkmcnt(0)
	v_cmp_lt_i16_sdwa s[26:27], sext(v60), sext(v59) src0_sel:BYTE_0 src1_sel:BYTE_0
	v_cmp_lt_i32_e64 s[22:23], v63, v42
	s_or_b64 s[24:25], s[24:25], s[26:27]
	s_and_b64 s[22:23], s[22:23], s[24:25]
	s_xor_b64 s[24:25], s[22:23], -1
                                        ; implicit-def: $vgpr61
	s_and_saveexec_b64 s[26:27], s[24:25]
	s_xor_b64 s[24:25], exec, s[26:27]
	s_cbranch_execz .LBB58_188
; %bb.187:                              ;   in Loop: Header=BB58_2 Depth=1
	ds_read_u8 v61, v65 offset:1
.LBB58_188:                             ;   in Loop: Header=BB58_2 Depth=1
	s_or_saveexec_b64 s[24:25], s[24:25]
	v_mov_b32_e32 v62, v60
	s_xor_b64 exec, exec, s[24:25]
	s_cbranch_execz .LBB58_190
; %bb.189:                              ;   in Loop: Header=BB58_2 Depth=1
	ds_read_u8 v62, v63 offset:1
	s_waitcnt lgkmcnt(1)
	v_mov_b32_e32 v61, v59
.LBB58_190:                             ;   in Loop: Header=BB58_2 Depth=1
	s_or_b64 exec, exec, s[24:25]
	v_add_u32_e32 v66, 1, v65
	v_add_u32_e32 v64, 1, v63
	v_cndmask_b32_e64 v65, v66, v65, s[22:23]
	v_cndmask_b32_e64 v64, v63, v64, s[22:23]
	v_cmp_ge_i32_e64 s[26:27], v65, v41
	s_waitcnt lgkmcnt(0)
	v_cmp_lt_i16_sdwa s[42:43], sext(v62), sext(v61) src0_sel:BYTE_0 src1_sel:BYTE_0
	v_cmp_lt_i32_e64 s[24:25], v64, v42
	s_or_b64 s[26:27], s[26:27], s[42:43]
	s_and_b64 s[24:25], s[24:25], s[26:27]
	s_xor_b64 s[26:27], s[24:25], -1
                                        ; implicit-def: $vgpr63
	s_and_saveexec_b64 s[42:43], s[26:27]
	s_xor_b64 s[26:27], exec, s[42:43]
	s_cbranch_execz .LBB58_192
; %bb.191:                              ;   in Loop: Header=BB58_2 Depth=1
	ds_read_u8 v63, v65 offset:1
.LBB58_192:                             ;   in Loop: Header=BB58_2 Depth=1
	s_or_saveexec_b64 s[26:27], s[26:27]
	v_mov_b32_e32 v66, v62
	s_xor_b64 exec, exec, s[26:27]
	s_cbranch_execz .LBB58_194
; %bb.193:                              ;   in Loop: Header=BB58_2 Depth=1
	ds_read_u8 v66, v64 offset:1
	s_waitcnt lgkmcnt(1)
	v_mov_b32_e32 v63, v61
.LBB58_194:                             ;   in Loop: Header=BB58_2 Depth=1
	s_or_b64 exec, exec, s[26:27]
	v_cndmask_b32_e64 v61, v61, v62, s[24:25]
	v_add_u32_e32 v62, 1, v64
	v_add_u32_e32 v67, 1, v65
	v_cndmask_b32_e64 v62, v64, v62, s[24:25]
	v_cndmask_b32_e64 v64, v67, v65, s[24:25]
	;; [unrolled: 1-line block ×4, first 2 shown]
	v_cmp_ge_i32_e64 s[14:15], v64, v41
	s_waitcnt lgkmcnt(0)
	v_cmp_lt_i16_sdwa s[16:17], sext(v66), sext(v63) src0_sel:BYTE_0 src1_sel:BYTE_0
	v_cndmask_b32_e64 v55, v55, v56, s[18:19]
	v_cndmask_b32_e64 v49, v49, v50, s[12:13]
	v_cmp_lt_i32_e64 s[12:13], v62, v42
	s_or_b64 s[14:15], s[14:15], s[16:17]
	v_lshlrev_b16_e32 v50, 8, v51
	s_and_b64 s[12:13], s[12:13], s[14:15]
	v_or_b32_sdwa v49, v49, v50 dst_sel:DWORD dst_unused:UNUSED_PAD src0_sel:BYTE_0 src1_sel:DWORD
	v_lshlrev_b16_e32 v50, 8, v55
	v_cndmask_b32_e64 v59, v59, v60, s[22:23]
	v_cndmask_b32_e64 v52, v63, v66, s[12:13]
	v_or_b32_sdwa v50, v53, v50 dst_sel:WORD_1 dst_unused:UNUSED_PAD src0_sel:BYTE_0 src1_sel:DWORD
	v_cndmask_b32_e64 v57, v57, v58, s[20:21]
	v_or_b32_sdwa v50, v49, v50 dst_sel:DWORD dst_unused:UNUSED_PAD src0_sel:WORD_0 src1_sel:DWORD
	v_lshlrev_b16_e32 v49, 8, v59
	v_lshlrev_b16_e32 v51, 8, v52
	v_or_b32_sdwa v49, v57, v49 dst_sel:DWORD dst_unused:UNUSED_PAD src0_sel:BYTE_0 src1_sel:DWORD
	v_or_b32_sdwa v51, v61, v51 dst_sel:WORD_1 dst_unused:UNUSED_PAD src0_sel:BYTE_0 src1_sel:DWORD
	v_mov_b32_e32 v53, v46
	v_or_b32_sdwa v51, v49, v51 dst_sel:DWORD dst_unused:UNUSED_PAD src0_sel:WORD_0 src1_sel:DWORD
	s_barrier
	ds_write_b64 v2, v[50:51]
	s_waitcnt lgkmcnt(0)
	s_barrier
	s_and_saveexec_b64 s[14:15], s[10:11]
	s_cbranch_execz .LBB58_198
; %bb.195:                              ;   in Loop: Header=BB58_2 Depth=1
	s_mov_b64 s[16:17], 0
	v_mov_b32_e32 v53, v46
	v_mov_b32_e32 v49, v47
.LBB58_196:                             ;   Parent Loop BB58_2 Depth=1
                                        ; =>  This Inner Loop Header: Depth=2
	v_sub_u32_e32 v50, v49, v53
	v_lshrrev_b32_e32 v51, 31, v50
	v_add_u32_e32 v50, v50, v51
	v_ashrrev_i32_e32 v50, 1, v50
	v_add_u32_e32 v50, v50, v53
	v_not_b32_e32 v51, v50
	v_add3_u32 v51, v2, v51, v38
	ds_read_i8 v52, v50
	ds_read_i8 v51, v51
	v_add_u32_e32 v54, 1, v50
	s_waitcnt lgkmcnt(0)
	v_cmp_lt_i16_e64 s[12:13], v51, v52
	s_nop 1
	v_cndmask_b32_e64 v49, v49, v50, s[12:13]
	v_cndmask_b32_e64 v53, v54, v53, s[12:13]
	v_cmp_ge_i32_e64 s[12:13], v53, v49
	s_or_b64 s[16:17], s[12:13], s[16:17]
	s_andn2_b64 exec, exec, s[16:17]
	s_cbranch_execnz .LBB58_196
; %bb.197:                              ;   in Loop: Header=BB58_2 Depth=1
	s_or_b64 exec, exec, s[16:17]
.LBB58_198:                             ;   in Loop: Header=BB58_2 Depth=1
	s_or_b64 exec, exec, s[14:15]
	v_sub_u32_e32 v54, v48, v53
	ds_read_u8 v49, v53
	ds_read_u8 v50, v54
	v_cmp_le_i32_e64 s[14:15], v38, v53
	v_cmp_gt_i32_e64 s[12:13], s41, v54
                                        ; implicit-def: $vgpr51
	s_waitcnt lgkmcnt(1)
	v_bfe_i32 v49, v49, 0, 8
	s_waitcnt lgkmcnt(0)
	v_bfe_i32 v50, v50, 0, 8
	v_cmp_lt_i16_e64 s[16:17], v50, v49
	s_or_b64 s[14:15], s[14:15], s[16:17]
	s_and_b64 s[12:13], s[12:13], s[14:15]
	s_xor_b64 s[14:15], s[12:13], -1
	s_and_saveexec_b64 s[16:17], s[14:15]
	s_xor_b64 s[14:15], exec, s[16:17]
	s_cbranch_execz .LBB58_200
; %bb.199:                              ;   in Loop: Header=BB58_2 Depth=1
	ds_read_u8 v51, v53 offset:1
.LBB58_200:                             ;   in Loop: Header=BB58_2 Depth=1
	s_or_saveexec_b64 s[14:15], s[14:15]
	v_mov_b32_e32 v52, v50
	s_xor_b64 exec, exec, s[14:15]
	s_cbranch_execz .LBB58_202
; %bb.201:                              ;   in Loop: Header=BB58_2 Depth=1
	ds_read_u8 v52, v54 offset:1
	s_waitcnt lgkmcnt(1)
	v_mov_b32_e32 v51, v49
.LBB58_202:                             ;   in Loop: Header=BB58_2 Depth=1
	s_or_b64 exec, exec, s[14:15]
	v_add_u32_e32 v56, 1, v53
	v_add_u32_e32 v55, 1, v54
	v_cndmask_b32_e64 v56, v56, v53, s[12:13]
	v_cndmask_b32_e64 v55, v54, v55, s[12:13]
	v_cmp_ge_i32_e64 s[16:17], v56, v38
	s_waitcnt lgkmcnt(0)
	v_cmp_lt_i16_sdwa s[18:19], sext(v52), sext(v51) src0_sel:BYTE_0 src1_sel:BYTE_0
	v_cmp_gt_i32_e64 s[14:15], s41, v55
	s_or_b64 s[16:17], s[16:17], s[18:19]
	s_and_b64 s[14:15], s[14:15], s[16:17]
	s_xor_b64 s[16:17], s[14:15], -1
                                        ; implicit-def: $vgpr53
	s_and_saveexec_b64 s[18:19], s[16:17]
	s_xor_b64 s[16:17], exec, s[18:19]
	s_cbranch_execz .LBB58_204
; %bb.203:                              ;   in Loop: Header=BB58_2 Depth=1
	ds_read_u8 v53, v56 offset:1
.LBB58_204:                             ;   in Loop: Header=BB58_2 Depth=1
	s_or_saveexec_b64 s[16:17], s[16:17]
	v_mov_b32_e32 v54, v52
	s_xor_b64 exec, exec, s[16:17]
	s_cbranch_execz .LBB58_206
; %bb.205:                              ;   in Loop: Header=BB58_2 Depth=1
	ds_read_u8 v54, v55 offset:1
	s_waitcnt lgkmcnt(1)
	v_mov_b32_e32 v53, v51
.LBB58_206:                             ;   in Loop: Header=BB58_2 Depth=1
	s_or_b64 exec, exec, s[16:17]
	v_add_u32_e32 v58, 1, v56
	v_add_u32_e32 v57, 1, v55
	v_cndmask_b32_e64 v58, v58, v56, s[14:15]
	v_cndmask_b32_e64 v57, v55, v57, s[14:15]
	v_cmp_ge_i32_e64 s[18:19], v58, v38
	s_waitcnt lgkmcnt(0)
	v_cmp_lt_i16_sdwa s[20:21], sext(v54), sext(v53) src0_sel:BYTE_0 src1_sel:BYTE_0
	v_cmp_gt_i32_e64 s[16:17], s41, v57
	s_or_b64 s[18:19], s[18:19], s[20:21]
	s_and_b64 s[16:17], s[16:17], s[18:19]
	s_xor_b64 s[18:19], s[16:17], -1
                                        ; implicit-def: $vgpr55
	s_and_saveexec_b64 s[20:21], s[18:19]
	s_xor_b64 s[18:19], exec, s[20:21]
	s_cbranch_execz .LBB58_208
; %bb.207:                              ;   in Loop: Header=BB58_2 Depth=1
	ds_read_u8 v55, v58 offset:1
.LBB58_208:                             ;   in Loop: Header=BB58_2 Depth=1
	s_or_saveexec_b64 s[18:19], s[18:19]
	v_mov_b32_e32 v56, v54
	s_xor_b64 exec, exec, s[18:19]
	s_cbranch_execz .LBB58_210
; %bb.209:                              ;   in Loop: Header=BB58_2 Depth=1
	ds_read_u8 v56, v57 offset:1
	s_waitcnt lgkmcnt(1)
	v_mov_b32_e32 v55, v53
.LBB58_210:                             ;   in Loop: Header=BB58_2 Depth=1
	s_or_b64 exec, exec, s[18:19]
	v_add_u32_e32 v60, 1, v58
	v_add_u32_e32 v59, 1, v57
	v_cndmask_b32_e64 v60, v60, v58, s[16:17]
	v_cndmask_b32_e64 v59, v57, v59, s[16:17]
	v_cmp_ge_i32_e64 s[20:21], v60, v38
	s_waitcnt lgkmcnt(0)
	v_cmp_lt_i16_sdwa s[22:23], sext(v56), sext(v55) src0_sel:BYTE_0 src1_sel:BYTE_0
	v_cmp_gt_i32_e64 s[18:19], s41, v59
	s_or_b64 s[20:21], s[20:21], s[22:23]
	s_and_b64 s[18:19], s[18:19], s[20:21]
	s_xor_b64 s[20:21], s[18:19], -1
                                        ; implicit-def: $vgpr57
	s_and_saveexec_b64 s[22:23], s[20:21]
	s_xor_b64 s[20:21], exec, s[22:23]
	s_cbranch_execz .LBB58_212
; %bb.211:                              ;   in Loop: Header=BB58_2 Depth=1
	ds_read_u8 v57, v60 offset:1
.LBB58_212:                             ;   in Loop: Header=BB58_2 Depth=1
	s_or_saveexec_b64 s[20:21], s[20:21]
	v_mov_b32_e32 v58, v56
	s_xor_b64 exec, exec, s[20:21]
	s_cbranch_execz .LBB58_214
; %bb.213:                              ;   in Loop: Header=BB58_2 Depth=1
	ds_read_u8 v58, v59 offset:1
	s_waitcnt lgkmcnt(1)
	v_mov_b32_e32 v57, v55
.LBB58_214:                             ;   in Loop: Header=BB58_2 Depth=1
	s_or_b64 exec, exec, s[20:21]
	v_add_u32_e32 v62, 1, v60
	v_add_u32_e32 v61, 1, v59
	v_cndmask_b32_e64 v62, v62, v60, s[18:19]
	v_cndmask_b32_e64 v61, v59, v61, s[18:19]
	v_cmp_ge_i32_e64 s[22:23], v62, v38
	s_waitcnt lgkmcnt(0)
	v_cmp_lt_i16_sdwa s[24:25], sext(v58), sext(v57) src0_sel:BYTE_0 src1_sel:BYTE_0
	v_cmp_gt_i32_e64 s[20:21], s41, v61
	s_or_b64 s[22:23], s[22:23], s[24:25]
	s_and_b64 s[20:21], s[20:21], s[22:23]
	s_xor_b64 s[22:23], s[20:21], -1
                                        ; implicit-def: $vgpr59
	s_and_saveexec_b64 s[24:25], s[22:23]
	s_xor_b64 s[22:23], exec, s[24:25]
	s_cbranch_execz .LBB58_216
; %bb.215:                              ;   in Loop: Header=BB58_2 Depth=1
	ds_read_u8 v59, v62 offset:1
.LBB58_216:                             ;   in Loop: Header=BB58_2 Depth=1
	s_or_saveexec_b64 s[22:23], s[22:23]
	v_mov_b32_e32 v60, v58
	s_xor_b64 exec, exec, s[22:23]
	s_cbranch_execz .LBB58_218
; %bb.217:                              ;   in Loop: Header=BB58_2 Depth=1
	ds_read_u8 v60, v61 offset:1
	s_waitcnt lgkmcnt(1)
	v_mov_b32_e32 v59, v57
.LBB58_218:                             ;   in Loop: Header=BB58_2 Depth=1
	s_or_b64 exec, exec, s[22:23]
	v_add_u32_e32 v64, 1, v62
	v_add_u32_e32 v63, 1, v61
	v_cndmask_b32_e64 v64, v64, v62, s[20:21]
	v_cndmask_b32_e64 v63, v61, v63, s[20:21]
	v_cmp_ge_i32_e64 s[24:25], v64, v38
	s_waitcnt lgkmcnt(0)
	v_cmp_lt_i16_sdwa s[26:27], sext(v60), sext(v59) src0_sel:BYTE_0 src1_sel:BYTE_0
	v_cmp_gt_i32_e64 s[22:23], s41, v63
	s_or_b64 s[24:25], s[24:25], s[26:27]
	s_and_b64 s[22:23], s[22:23], s[24:25]
	s_xor_b64 s[24:25], s[22:23], -1
                                        ; implicit-def: $vgpr61
	s_and_saveexec_b64 s[26:27], s[24:25]
	s_xor_b64 s[24:25], exec, s[26:27]
	s_cbranch_execz .LBB58_220
; %bb.219:                              ;   in Loop: Header=BB58_2 Depth=1
	ds_read_u8 v61, v64 offset:1
.LBB58_220:                             ;   in Loop: Header=BB58_2 Depth=1
	s_or_saveexec_b64 s[24:25], s[24:25]
	v_mov_b32_e32 v62, v60
	s_xor_b64 exec, exec, s[24:25]
	s_cbranch_execz .LBB58_222
; %bb.221:                              ;   in Loop: Header=BB58_2 Depth=1
	ds_read_u8 v62, v63 offset:1
	s_waitcnt lgkmcnt(1)
	v_mov_b32_e32 v61, v59
.LBB58_222:                             ;   in Loop: Header=BB58_2 Depth=1
	s_or_b64 exec, exec, s[24:25]
	v_add_u32_e32 v66, 1, v64
	v_add_u32_e32 v65, 1, v63
	v_cndmask_b32_e64 v66, v66, v64, s[22:23]
	v_cndmask_b32_e64 v63, v63, v65, s[22:23]
	v_cmp_ge_i32_e64 s[26:27], v66, v38
	s_waitcnt lgkmcnt(0)
	v_cmp_lt_i16_sdwa s[42:43], sext(v62), sext(v61) src0_sel:BYTE_0 src1_sel:BYTE_0
	v_cmp_gt_i32_e64 s[24:25], s41, v63
	s_or_b64 s[26:27], s[26:27], s[42:43]
	s_and_b64 s[24:25], s[24:25], s[26:27]
	s_xor_b64 s[26:27], s[24:25], -1
                                        ; implicit-def: $vgpr64
                                        ; implicit-def: $vgpr65
	s_and_saveexec_b64 s[42:43], s[26:27]
	s_xor_b64 s[26:27], exec, s[42:43]
	s_cbranch_execz .LBB58_224
; %bb.223:                              ;   in Loop: Header=BB58_2 Depth=1
	ds_read_u8 v64, v66 offset:1
	v_add_u32_e32 v65, 1, v66
                                        ; implicit-def: $vgpr66
.LBB58_224:                             ;   in Loop: Header=BB58_2 Depth=1
	s_or_saveexec_b64 s[26:27], s[26:27]
	v_mov_b32_e32 v67, v62
	s_xor_b64 exec, exec, s[26:27]
	s_cbranch_execz .LBB58_1
; %bb.225:                              ;   in Loop: Header=BB58_2 Depth=1
	ds_read_u8 v67, v63 offset:1
	v_add_u32_e32 v63, 1, v63
	v_mov_b32_e32 v65, v66
	s_waitcnt lgkmcnt(1)
	v_mov_b32_e32 v64, v61
	s_branch .LBB58_1
.LBB58_226:
	s_add_u32 s0, s30, s33
	s_addc_u32 s1, s31, 0
	v_lshl_add_u64 v[0:1], s[0:1], 0, v[0:1]
	global_store_byte v[0:1], v66, off
	global_store_byte v[0:1], v51, off offset:128
	global_store_byte v[0:1], v52, off offset:256
	;; [unrolled: 1-line block ×7, first 2 shown]
	s_endpgm
	.section	.rodata,"a",@progbits
	.p2align	6, 0x0
	.amdhsa_kernel _Z16sort_keys_kernelIaLj128ELj8EN10test_utils4lessELj10EEvPKT_PS2_T2_
		.amdhsa_group_segment_fixed_size 1025
		.amdhsa_private_segment_fixed_size 0
		.amdhsa_kernarg_size 20
		.amdhsa_user_sgpr_count 2
		.amdhsa_user_sgpr_dispatch_ptr 0
		.amdhsa_user_sgpr_queue_ptr 0
		.amdhsa_user_sgpr_kernarg_segment_ptr 1
		.amdhsa_user_sgpr_dispatch_id 0
		.amdhsa_user_sgpr_kernarg_preload_length 0
		.amdhsa_user_sgpr_kernarg_preload_offset 0
		.amdhsa_user_sgpr_private_segment_size 0
		.amdhsa_uses_dynamic_stack 0
		.amdhsa_enable_private_segment 0
		.amdhsa_system_sgpr_workgroup_id_x 1
		.amdhsa_system_sgpr_workgroup_id_y 0
		.amdhsa_system_sgpr_workgroup_id_z 0
		.amdhsa_system_sgpr_workgroup_info 0
		.amdhsa_system_vgpr_workitem_id 0
		.amdhsa_next_free_vgpr 68
		.amdhsa_next_free_sgpr 44
		.amdhsa_accum_offset 68
		.amdhsa_reserve_vcc 1
		.amdhsa_float_round_mode_32 0
		.amdhsa_float_round_mode_16_64 0
		.amdhsa_float_denorm_mode_32 3
		.amdhsa_float_denorm_mode_16_64 3
		.amdhsa_dx10_clamp 1
		.amdhsa_ieee_mode 1
		.amdhsa_fp16_overflow 0
		.amdhsa_tg_split 0
		.amdhsa_exception_fp_ieee_invalid_op 0
		.amdhsa_exception_fp_denorm_src 0
		.amdhsa_exception_fp_ieee_div_zero 0
		.amdhsa_exception_fp_ieee_overflow 0
		.amdhsa_exception_fp_ieee_underflow 0
		.amdhsa_exception_fp_ieee_inexact 0
		.amdhsa_exception_int_div_zero 0
	.end_amdhsa_kernel
	.section	.text._Z16sort_keys_kernelIaLj128ELj8EN10test_utils4lessELj10EEvPKT_PS2_T2_,"axG",@progbits,_Z16sort_keys_kernelIaLj128ELj8EN10test_utils4lessELj10EEvPKT_PS2_T2_,comdat
.Lfunc_end58:
	.size	_Z16sort_keys_kernelIaLj128ELj8EN10test_utils4lessELj10EEvPKT_PS2_T2_, .Lfunc_end58-_Z16sort_keys_kernelIaLj128ELj8EN10test_utils4lessELj10EEvPKT_PS2_T2_
                                        ; -- End function
	.section	.AMDGPU.csdata,"",@progbits
; Kernel info:
; codeLenInByte = 10768
; NumSgprs: 50
; NumVgprs: 68
; NumAgprs: 0
; TotalNumVgprs: 68
; ScratchSize: 0
; MemoryBound: 0
; FloatMode: 240
; IeeeMode: 1
; LDSByteSize: 1025 bytes/workgroup (compile time only)
; SGPRBlocks: 6
; VGPRBlocks: 8
; NumSGPRsForWavesPerEU: 50
; NumVGPRsForWavesPerEU: 68
; AccumOffset: 68
; Occupancy: 7
; WaveLimiterHint : 1
; COMPUTE_PGM_RSRC2:SCRATCH_EN: 0
; COMPUTE_PGM_RSRC2:USER_SGPR: 2
; COMPUTE_PGM_RSRC2:TRAP_HANDLER: 0
; COMPUTE_PGM_RSRC2:TGID_X_EN: 1
; COMPUTE_PGM_RSRC2:TGID_Y_EN: 0
; COMPUTE_PGM_RSRC2:TGID_Z_EN: 0
; COMPUTE_PGM_RSRC2:TIDIG_COMP_CNT: 0
; COMPUTE_PGM_RSRC3_GFX90A:ACCUM_OFFSET: 16
; COMPUTE_PGM_RSRC3_GFX90A:TG_SPLIT: 0
	.section	.text._Z17sort_pairs_kernelIaLj128ELj8EN10test_utils4lessELj10EEvPKT_PS2_T2_,"axG",@progbits,_Z17sort_pairs_kernelIaLj128ELj8EN10test_utils4lessELj10EEvPKT_PS2_T2_,comdat
	.protected	_Z17sort_pairs_kernelIaLj128ELj8EN10test_utils4lessELj10EEvPKT_PS2_T2_ ; -- Begin function _Z17sort_pairs_kernelIaLj128ELj8EN10test_utils4lessELj10EEvPKT_PS2_T2_
	.globl	_Z17sort_pairs_kernelIaLj128ELj8EN10test_utils4lessELj10EEvPKT_PS2_T2_
	.p2align	8
	.type	_Z17sort_pairs_kernelIaLj128ELj8EN10test_utils4lessELj10EEvPKT_PS2_T2_,@function
_Z17sort_pairs_kernelIaLj128ELj8EN10test_utils4lessELj10EEvPKT_PS2_T2_: ; @_Z17sort_pairs_kernelIaLj128ELj8EN10test_utils4lessELj10EEvPKT_PS2_T2_
; %bb.0:
	s_load_dwordx4 s[4:7], s[0:1], 0x0
	s_lshl_b32 s33, s2, 10
                                        ; implicit-def: $vgpr89 : SGPR spill to VGPR lane
	v_lshlrev_b32_e32 v3, 3, v0
	v_and_b32_e32 v4, 0x3f0, v3
	v_and_b32_e32 v6, 0x3e0, v3
	s_waitcnt lgkmcnt(0)
	s_add_u32 s0, s4, s33
	s_mov_b64 s[2:3], s[6:7]
	v_writelane_b32 v89, s0, 0
	v_or_b32_e32 v16, 8, v4
	v_add_u32_e32 v17, 16, v4
	v_writelane_b32 v89, s1, 1
	v_writelane_b32 v89, s2, 2
	;; [unrolled: 1-line block ×3, first 2 shown]
	s_addc_u32 s1, s5, 0
	global_load_ubyte v48, v0, s[0:1]
	global_load_ubyte v49, v0, s[0:1] offset:256
	global_load_ubyte v50, v0, s[0:1] offset:512
	;; [unrolled: 1-line block ×7, first 2 shown]
	v_and_b32_e32 v5, 8, v3
	v_and_b32_e32 v8, 0x3c0, v3
	v_or_b32_e32 v18, 16, v6
	v_add_u32_e32 v19, 32, v6
	v_sub_u32_e32 v38, v17, v16
	v_and_b32_e32 v7, 24, v3
	v_and_b32_e32 v10, 0x380, v3
	v_or_b32_e32 v20, 32, v8
	v_add_u32_e32 v21, 64, v8
	v_sub_u32_e32 v39, v19, v18
	v_sub_u32_e32 v43, v5, v38
	v_cmp_ge_i32_e32 vcc, v5, v38
	v_and_b32_e32 v9, 56, v3
	v_and_b32_e32 v12, 0x300, v3
	v_or_b32_e32 v22, 64, v10
	v_add_u32_e32 v23, 0x80, v10
	v_sub_u32_e32 v40, v21, v20
	v_sub_u32_e32 v45, v7, v39
	v_cndmask_b32_e32 v38, 0, v43, vcc
	v_cmp_ge_i32_e32 vcc, v7, v39
	v_and_b32_e32 v11, 0x78, v3
	v_or_b32_e32 v24, 0x80, v12
	v_add_u32_e32 v25, 0x100, v12
	v_sub_u32_e32 v41, v23, v22
	v_sub_u32_e32 v46, v9, v40
	v_cndmask_b32_e32 v39, 0, v45, vcc
	v_cmp_ge_i32_e32 vcc, v9, v40
	v_and_b32_e32 v13, 0xf8, v3
	v_sub_u32_e32 v42, v25, v24
	v_sub_u32_e32 v47, v11, v41
	v_cndmask_b32_e32 v40, 0, v46, vcc
	v_cmp_ge_i32_e32 vcc, v11, v41
	v_sub_u32_e32 v56, v13, v42
	v_and_b32_e32 v14, 0x200, v3
	v_cndmask_b32_e32 v41, 0, v47, vcc
	v_cmp_ge_i32_e32 vcc, v13, v42
	s_movk_i32 s12, 0x100
	v_or_b32_e32 v26, 0x100, v14
	v_cndmask_b32_e32 v42, 0, v56, vcc
	v_add_u32_e32 v27, 0x200, v14
	v_and_b32_e32 v15, 0x1f8, v3
	v_sub_u32_e32 v43, v27, v26
	v_mov_b32_e32 v2, 0x200
	v_sub_u32_e32 v33, v16, v4
	v_sub_u32_e32 v34, v18, v6
	v_sub_u32_e32 v35, v20, v8
	v_sub_u32_e32 v36, v22, v10
	v_sub_u32_e32 v37, v24, v12
	v_sub_u32_e32 v44, v26, v14
	v_sub_u32_e32 v45, v15, v43
	v_cmp_ge_i32_e64 s[8:9], v15, v43
	v_min_i32_e32 v33, v5, v33
	v_min_i32_e32 v34, v7, v34
	;; [unrolled: 1-line block ×5, first 2 shown]
	v_cndmask_b32_e64 v43, 0, v45, s[8:9]
	v_min_i32_e32 v44, v15, v44
	v_sub_u32_e64 v46, v3, v2 clamp
	v_min_i32_e32 v47, 0x200, v3
	s_mov_b32 s88, 0
	v_mov_b32_e32 v1, 0
	v_add_u32_e32 v28, v16, v5
	v_add_u32_e32 v29, v18, v7
	;; [unrolled: 1-line block ×5, first 2 shown]
	v_cmp_lt_i32_e32 vcc, v38, v33
	v_cmp_lt_i32_e64 s[0:1], v39, v34
	v_cmp_lt_i32_e64 s[2:3], v40, v35
	v_cmp_lt_i32_e64 s[4:5], v41, v36
	v_cmp_lt_i32_e64 s[6:7], v42, v37
	v_cmp_lt_i32_e64 s[8:9], v43, v44
	v_add_u32_e32 v45, v26, v15
	v_cmp_lt_i32_e64 s[10:11], v46, v47
	s_waitcnt vmcnt(7)
	v_add_u16_e32 v56, 1, v48
	s_waitcnt vmcnt(6)
	v_add_u16_e32 v57, 1, v49
	s_waitcnt vmcnt(2)
	v_lshlrev_b16_e32 v54, 8, v54
	s_waitcnt vmcnt(1)
	v_lshlrev_b16_e32 v60, 8, v51
	;; [unrolled: 2-line block ×3, first 2 shown]
	v_or_b32_e32 v48, v48, v55
	v_or_b32_sdwa v49, v49, v60 dst_sel:WORD_1 dst_unused:UNUSED_PAD src0_sel:DWORD src1_sel:DWORD
	v_add_u16_e32 v58, 1, v50
	v_or_b32_sdwa v51, v48, v49 dst_sel:DWORD dst_unused:UNUSED_PAD src0_sel:WORD_0 src1_sel:DWORD
	v_or_b32_e32 v49, v50, v54
	v_lshlrev_b16_e32 v50, 8, v53
	v_add_u16_e32 v59, 1, v52
	v_or_b32_sdwa v52, v52, v50 dst_sel:WORD_1 dst_unused:UNUSED_PAD src0_sel:DWORD src1_sel:DWORD
	v_or_b32_sdwa v53, v60, v57 dst_sel:DWORD dst_unused:UNUSED_PAD src0_sel:DWORD src1_sel:BYTE_0
	v_or_b32_sdwa v52, v49, v52 dst_sel:DWORD dst_unused:UNUSED_PAD src0_sel:WORD_0 src1_sel:DWORD
	v_or_b32_sdwa v49, v55, v56 dst_sel:DWORD dst_unused:UNUSED_PAD src0_sel:DWORD src1_sel:BYTE_0
	v_add_u16_e32 v49, 0x100, v49
	v_add_u16_sdwa v53, v53, s12 dst_sel:WORD_1 dst_unused:UNUSED_PAD src0_sel:DWORD src1_sel:DWORD
	v_or_b32_sdwa v50, v50, v59 dst_sel:DWORD dst_unused:UNUSED_PAD src0_sel:DWORD src1_sel:BYTE_0
	v_or_b32_e32 v49, v49, v53
	v_or_b32_sdwa v53, v54, v58 dst_sel:DWORD dst_unused:UNUSED_PAD src0_sel:DWORD src1_sel:BYTE_0
	v_add_u16_e32 v53, 0x100, v53
	v_add_u16_sdwa v50, v50, s12 dst_sel:WORD_1 dst_unused:UNUSED_PAD src0_sel:DWORD src1_sel:DWORD
	v_add_u32_e32 v48, 0x200, v3
	s_mov_b32 s89, 0xffff
	s_movk_i32 s90, 0xff
	v_or_b32_e32 v50, v53, v50
	s_mov_b32 s91, 0x7060405
	s_mov_b32 s92, 0xc0c0001
	;; [unrolled: 1-line block ×6, first 2 shown]
	s_movk_i32 s97, 0x400
	s_branch .LBB59_2
.LBB59_1:                               ;   in Loop: Header=BB59_2 Depth=1
	s_or_b64 exec, exec, s[26:27]
	v_cndmask_b32_e64 v59, v59, v60, s[12:13]
	v_cndmask_b32_e64 v60, v61, v62, s[14:15]
	;; [unrolled: 1-line block ×5, first 2 shown]
	v_cmp_ge_i32_e64 s[14:15], v85, v2
	s_waitcnt lgkmcnt(0)
	v_cmp_lt_i16_sdwa s[16:17], sext(v88), sext(v86) src0_sel:BYTE_0 src1_sel:BYTE_0
	v_lshlrev_b16_e32 v51, 8, v51
	v_cndmask_b32_e64 v58, v57, v58, s[12:13]
	v_cmp_gt_i32_e64 s[12:13], s97, v83
	s_or_b64 s[14:15], s[14:15], s[16:17]
	v_lshlrev_b16_e32 v56, 8, v56
	v_lshlrev_b16_e32 v53, 8, v53
	v_or_b32_sdwa v49, v49, v51 dst_sel:DWORD dst_unused:UNUSED_PAD src0_sel:BYTE_0 src1_sel:DWORD
	v_lshlrev_b16_e32 v51, 8, v52
	v_cndmask_b32_e64 v62, v69, v70, s[18:19]
	s_and_b64 s[12:13], s[12:13], s[14:15]
	v_or_b32_sdwa v54, v54, v56 dst_sel:DWORD dst_unused:UNUSED_PAD src0_sel:BYTE_0 src1_sel:DWORD
	v_or_b32_sdwa v53, v55, v53 dst_sel:WORD_1 dst_unused:UNUSED_PAD src0_sel:BYTE_0 src1_sel:DWORD
	v_or_b32_sdwa v50, v50, v51 dst_sel:WORD_1 dst_unused:UNUSED_PAD src0_sel:BYTE_0 src1_sel:DWORD
	v_cndmask_b32_e64 v64, v85, v83, s[12:13]
	v_or_b32_sdwa v53, v54, v53 dst_sel:DWORD dst_unused:UNUSED_PAD src0_sel:WORD_0 src1_sel:DWORD
	v_or_b32_sdwa v52, v49, v50 dst_sel:DWORD dst_unused:UNUSED_PAD src0_sel:WORD_0 src1_sel:DWORD
	v_lshlrev_b16_e32 v49, 8, v60
	v_lshlrev_b16_e32 v50, 8, v62
	v_cndmask_b32_e64 v65, v73, v74, s[20:21]
	v_cndmask_b32_e64 v66, v77, v78, s[22:23]
	;; [unrolled: 1-line block ×6, first 2 shown]
	s_barrier
	ds_write_b64 v3, v[52:53]
	s_waitcnt lgkmcnt(0)
	s_barrier
	ds_read_u8 v53, v84
	ds_read_u8 v54, v64
	;; [unrolled: 1-line block ×8, first 2 shown]
	v_or_b32_sdwa v49, v59, v49 dst_sel:DWORD dst_unused:UNUSED_PAD src0_sel:BYTE_0 src1_sel:DWORD
	v_or_b32_sdwa v50, v61, v50 dst_sel:WORD_1 dst_unused:UNUSED_PAD src0_sel:BYTE_0 src1_sel:DWORD
	v_cndmask_b32_e64 v69, v81, v82, s[24:25]
	v_or_b32_sdwa v51, v49, v50 dst_sel:DWORD dst_unused:UNUSED_PAD src0_sel:WORD_0 src1_sel:DWORD
	v_lshlrev_b16_e32 v49, 8, v66
	v_lshlrev_b16_e32 v50, 8, v57
	v_or_b32_sdwa v49, v65, v49 dst_sel:DWORD dst_unused:UNUSED_PAD src0_sel:BYTE_0 src1_sel:DWORD
	v_or_b32_sdwa v50, v69, v50 dst_sel:WORD_1 dst_unused:UNUSED_PAD src0_sel:BYTE_0 src1_sel:DWORD
	s_waitcnt lgkmcnt(6)
	v_lshlrev_b16_e32 v68, 8, v54
	v_or_b32_sdwa v52, v49, v50 dst_sel:DWORD dst_unused:UNUSED_PAD src0_sel:WORD_0 src1_sel:DWORD
	s_waitcnt lgkmcnt(4)
	v_lshlrev_b16_e32 v49, 8, v56
	s_waitcnt lgkmcnt(2)
	v_lshlrev_b16_e32 v50, 8, v63
	v_or_b32_e32 v49, v55, v49
	v_or_b32_sdwa v50, v58, v50 dst_sel:WORD_1 dst_unused:UNUSED_PAD src0_sel:DWORD src1_sel:DWORD
	s_add_i32 s88, s88, 1
	v_or_b32_sdwa v49, v49, v50 dst_sel:DWORD dst_unused:UNUSED_PAD src0_sel:WORD_0 src1_sel:DWORD
	s_waitcnt lgkmcnt(0)
	v_lshlrev_b16_e32 v50, 8, v67
	v_or_b32_e32 v50, v64, v50
	v_or_b32_sdwa v68, v53, v68 dst_sel:WORD_1 dst_unused:UNUSED_PAD src0_sel:DWORD src1_sel:DWORD
	s_cmp_eq_u32 s88, 10
	v_or_b32_sdwa v50, v50, v68 dst_sel:DWORD dst_unused:UNUSED_PAD src0_sel:WORD_0 src1_sel:DWORD
	s_cbranch_scc1 .LBB59_226
.LBB59_2:                               ; =>This Loop Header: Depth=1
                                        ;     Child Loop BB59_4 Depth 2
                                        ;     Child Loop BB59_36 Depth 2
	;; [unrolled: 1-line block ×7, first 2 shown]
	v_lshrrev_b32_e32 v54, 8, v51
	v_perm_b32 v53, v51, v51, s91
	v_cmp_lt_i16_sdwa s[12:13], sext(v54), sext(v51) src0_sel:BYTE_0 src1_sel:BYTE_0
	s_barrier
	s_nop 0
	v_cndmask_b32_e64 v51, v51, v53, s[12:13]
	v_lshrrev_b32_e32 v53, 16, v51
	v_perm_b32 v54, 0, v53, s92
	v_lshrrev_b32_e32 v55, 24, v51
	v_lshlrev_b32_e32 v54, 16, v54
	v_and_or_b32 v54, v51, s89, v54
	v_cmp_lt_i16_sdwa s[14:15], sext(v55), sext(v53) src0_sel:BYTE_0 src1_sel:BYTE_0
	v_perm_b32 v53, v52, v52, s91
	s_nop 0
	v_cndmask_b32_e64 v51, v51, v54, s[14:15]
	v_lshrrev_b32_e32 v54, 8, v52
	v_cmp_lt_i16_sdwa s[16:17], sext(v54), sext(v52) src0_sel:BYTE_0 src1_sel:BYTE_0
	s_nop 1
	v_cndmask_b32_e64 v52, v52, v53, s[16:17]
	v_lshrrev_b32_e32 v53, 24, v52
	v_lshrrev_b32_e32 v54, 16, v52
	v_perm_b32 v55, v52, v52, s93
	v_cmp_lt_i16_sdwa s[18:19], sext(v53), sext(v54) src0_sel:BYTE_0 src1_sel:BYTE_0
	v_lshrrev_b32_e32 v53, 16, v51
	v_lshrrev_b32_e32 v54, 8, v51
	v_cndmask_b32_e64 v52, v52, v55, s[18:19]
	v_perm_b32 v55, v51, v51, s94
	v_cmp_lt_i16_sdwa s[20:21], sext(v53), sext(v54) src0_sel:BYTE_0 src1_sel:BYTE_0
	s_nop 1
	v_cndmask_b32_e64 v51, v51, v55, s[20:21]
	v_and_b32_sdwa v54, v51, s90 dst_sel:DWORD dst_unused:UNUSED_PAD src0_sel:WORD_1 src1_sel:DWORD
	v_lshlrev_b16_e32 v55, 8, v52
	v_or_b32_sdwa v54, v54, v55 dst_sel:WORD_1 dst_unused:UNUSED_PAD src0_sel:DWORD src1_sel:DWORD
	v_lshrrev_b32_e32 v55, 24, v51
	v_perm_b32 v53, v51, v52, s95
	v_cmp_lt_i16_sdwa s[22:23], sext(v52), sext(v55) src0_sel:BYTE_0 src1_sel:BYTE_0
	v_and_or_b32 v54, v51, s89, v54
	s_nop 0
	v_cndmask_b32_e64 v52, v52, v53, s[22:23]
	v_cndmask_b32_e64 v51, v51, v54, s[22:23]
	v_lshrrev_b32_e32 v53, 16, v52
	v_lshrrev_b32_e32 v54, 8, v52
	v_cmp_lt_i16_sdwa s[24:25], sext(v53), sext(v54) src0_sel:BYTE_0 src1_sel:BYTE_0
	v_perm_b32 v53, 0, v51, s92
	v_lshrrev_b32_e32 v54, 8, v51
	v_and_or_b32 v53, v51, s96, v53
	v_cmp_lt_i16_sdwa s[26:27], sext(v54), sext(v51) src0_sel:BYTE_0 src1_sel:BYTE_0
	v_perm_b32 v55, v52, v52, s94
	v_cndmask_b32_e64 v52, v52, v55, s[24:25]
	v_cndmask_b32_e64 v51, v51, v53, s[26:27]
	v_lshrrev_b32_e32 v53, 16, v51
	v_perm_b32 v54, 0, v53, s92
	v_lshrrev_b32_e32 v55, 24, v51
	v_lshlrev_b32_e32 v54, 16, v54
	v_and_or_b32 v54, v51, s89, v54
	v_cmp_lt_i16_sdwa s[28:29], sext(v55), sext(v53) src0_sel:BYTE_0 src1_sel:BYTE_0
	v_perm_b32 v53, v52, v52, s91
	s_nop 0
	v_cndmask_b32_e64 v51, v51, v54, s[28:29]
	v_lshrrev_b32_e32 v54, 8, v52
	v_cmp_lt_i16_sdwa s[30:31], sext(v54), sext(v52) src0_sel:BYTE_0 src1_sel:BYTE_0
	s_nop 1
	v_cndmask_b32_e64 v52, v52, v53, s[30:31]
	v_lshrrev_b32_e32 v53, 24, v52
	v_lshrrev_b32_e32 v54, 16, v52
	v_perm_b32 v55, v52, v52, s93
	v_cmp_lt_i16_sdwa s[34:35], sext(v53), sext(v54) src0_sel:BYTE_0 src1_sel:BYTE_0
	v_lshrrev_b32_e32 v53, 16, v51
	v_lshrrev_b32_e32 v54, 8, v51
	v_cndmask_b32_e64 v52, v52, v55, s[34:35]
	v_perm_b32 v55, v51, v51, s94
	v_cmp_lt_i16_sdwa s[36:37], sext(v53), sext(v54) src0_sel:BYTE_0 src1_sel:BYTE_0
	s_nop 1
	v_cndmask_b32_e64 v51, v51, v55, s[36:37]
	v_and_b32_sdwa v54, v51, s90 dst_sel:DWORD dst_unused:UNUSED_PAD src0_sel:WORD_1 src1_sel:DWORD
	v_lshlrev_b16_e32 v55, 8, v52
	v_or_b32_sdwa v54, v54, v55 dst_sel:WORD_1 dst_unused:UNUSED_PAD src0_sel:DWORD src1_sel:DWORD
	v_lshrrev_b32_e32 v55, 24, v51
	v_perm_b32 v53, v51, v52, s95
	v_cmp_lt_i16_sdwa s[38:39], sext(v52), sext(v55) src0_sel:BYTE_0 src1_sel:BYTE_0
	v_and_or_b32 v54, v51, s89, v54
	s_nop 0
	v_cndmask_b32_e64 v52, v52, v53, s[38:39]
	v_cndmask_b32_e64 v51, v51, v54, s[38:39]
	v_lshrrev_b32_e32 v53, 16, v52
	v_lshrrev_b32_e32 v54, 8, v52
	v_cmp_lt_i16_sdwa s[40:41], sext(v53), sext(v54) src0_sel:BYTE_0 src1_sel:BYTE_0
	v_perm_b32 v53, 0, v51, s92
	v_lshrrev_b32_e32 v54, 8, v51
	v_and_or_b32 v53, v51, s96, v53
	v_cmp_lt_i16_sdwa s[42:43], sext(v54), sext(v51) src0_sel:BYTE_0 src1_sel:BYTE_0
	v_perm_b32 v55, v52, v52, s94
	v_cndmask_b32_e64 v52, v52, v55, s[40:41]
	;; [unrolled: 44-line block ×3, first 2 shown]
	v_cndmask_b32_e64 v51, v51, v53, s[56:57]
	v_lshrrev_b32_e32 v53, 16, v51
	v_perm_b32 v54, 0, v53, s92
	v_lshrrev_b32_e32 v55, 24, v51
	v_lshlrev_b32_e32 v54, 16, v54
	v_and_or_b32 v54, v51, s89, v54
	v_cmp_lt_i16_sdwa s[58:59], sext(v55), sext(v53) src0_sel:BYTE_0 src1_sel:BYTE_0
	v_perm_b32 v53, v52, v52, s91
	s_nop 0
	v_cndmask_b32_e64 v51, v51, v54, s[58:59]
	v_lshrrev_b32_e32 v54, 8, v52
	v_cmp_lt_i16_sdwa s[60:61], sext(v54), sext(v52) src0_sel:BYTE_0 src1_sel:BYTE_0
	s_nop 1
	v_cndmask_b32_e64 v52, v52, v53, s[60:61]
	v_lshrrev_b32_e32 v53, 24, v52
	v_lshrrev_b32_e32 v54, 16, v52
	v_perm_b32 v55, v52, v52, s93
	v_cmp_lt_i16_sdwa s[62:63], sext(v53), sext(v54) src0_sel:BYTE_0 src1_sel:BYTE_0
	v_lshrrev_b32_e32 v54, 8, v51
	s_nop 0
	v_cndmask_b32_e64 v53, v52, v55, s[62:63]
	v_lshrrev_b32_e32 v52, 16, v51
	v_perm_b32 v55, v51, v51, s94
	v_cmp_lt_i16_sdwa s[64:65], sext(v52), sext(v54) src0_sel:BYTE_0 src1_sel:BYTE_0
	s_nop 1
	v_cndmask_b32_e64 v51, v51, v55, s[64:65]
	v_and_b32_sdwa v52, v51, s90 dst_sel:DWORD dst_unused:UNUSED_PAD src0_sel:WORD_1 src1_sel:DWORD
	v_lshlrev_b16_e32 v55, 8, v53
	v_or_b32_sdwa v52, v52, v55 dst_sel:WORD_1 dst_unused:UNUSED_PAD src0_sel:DWORD src1_sel:DWORD
	v_lshrrev_b32_e32 v55, 24, v51
	v_perm_b32 v54, v51, v53, s95
	v_and_or_b32 v52, v51, s89, v52
	v_cmp_lt_i16_sdwa s[66:67], sext(v53), sext(v55) src0_sel:BYTE_0 src1_sel:BYTE_0
	s_nop 1
	v_cndmask_b32_e64 v52, v51, v52, s[66:67]
	v_cndmask_b32_e64 v51, v53, v54, s[66:67]
	v_lshrrev_b32_e32 v53, 16, v51
	v_lshrrev_b32_e32 v54, 8, v51
	v_perm_b32 v55, v51, v51, s94
	v_cmp_lt_i16_sdwa s[68:69], sext(v53), sext(v54) src0_sel:BYTE_0 src1_sel:BYTE_0
	s_nop 1
	v_cndmask_b32_e64 v53, v51, v55, s[68:69]
	ds_write_b64 v3, v[52:53]
	v_mov_b32_e32 v52, v38
	s_waitcnt lgkmcnt(0)
	s_barrier
	s_and_saveexec_b64 s[72:73], vcc
	s_cbranch_execz .LBB59_6
; %bb.3:                                ;   in Loop: Header=BB59_2 Depth=1
	s_mov_b64 s[74:75], 0
	v_mov_b32_e32 v52, v38
	v_mov_b32_e32 v51, v33
.LBB59_4:                               ;   Parent Loop BB59_2 Depth=1
                                        ; =>  This Inner Loop Header: Depth=2
	v_sub_u32_e32 v53, v51, v52
	v_lshrrev_b32_e32 v54, 31, v53
	v_add_u32_e32 v53, v53, v54
	v_ashrrev_i32_e32 v53, 1, v53
	v_add_u32_e32 v53, v53, v52
	v_not_b32_e32 v55, v53
	v_add_u32_e32 v54, v4, v53
	v_add3_u32 v55, v5, v55, v16
	ds_read_i8 v54, v54
	ds_read_i8 v55, v55
	v_add_u32_e32 v56, 1, v53
	s_waitcnt lgkmcnt(0)
	v_cmp_lt_i16_e64 s[70:71], v55, v54
	s_nop 1
	v_cndmask_b32_e64 v51, v51, v53, s[70:71]
	v_cndmask_b32_e64 v52, v56, v52, s[70:71]
	v_cmp_ge_i32_e64 s[70:71], v52, v51
	s_or_b64 s[74:75], s[70:71], s[74:75]
	s_andn2_b64 exec, exec, s[74:75]
	s_cbranch_execnz .LBB59_4
; %bb.5:                                ;   in Loop: Header=BB59_2 Depth=1
	s_or_b64 exec, exec, s[74:75]
.LBB59_6:                               ;   in Loop: Header=BB59_2 Depth=1
	s_or_b64 exec, exec, s[72:73]
	v_add_u32_e32 v51, v52, v4
	v_sub_u32_e32 v52, v28, v52
	ds_read_u8 v53, v51
	ds_read_u8 v54, v52
	v_cmp_le_i32_e64 s[72:73], v16, v51
	v_cmp_gt_i32_e64 s[70:71], v17, v52
                                        ; implicit-def: $vgpr55
	s_waitcnt lgkmcnt(1)
	v_bfe_i32 v53, v53, 0, 8
	s_waitcnt lgkmcnt(0)
	v_bfe_i32 v54, v54, 0, 8
	v_cmp_lt_i16_e64 s[74:75], v54, v53
	s_or_b64 s[72:73], s[72:73], s[74:75]
	s_and_b64 s[70:71], s[70:71], s[72:73]
	s_xor_b64 s[72:73], s[70:71], -1
	s_and_saveexec_b64 s[74:75], s[72:73]
	s_xor_b64 s[72:73], exec, s[74:75]
	s_cbranch_execz .LBB59_8
; %bb.7:                                ;   in Loop: Header=BB59_2 Depth=1
	ds_read_u8 v55, v51 offset:1
.LBB59_8:                               ;   in Loop: Header=BB59_2 Depth=1
	s_or_saveexec_b64 s[72:73], s[72:73]
	v_mov_b32_e32 v56, v54
	s_xor_b64 exec, exec, s[72:73]
	s_cbranch_execz .LBB59_10
; %bb.9:                                ;   in Loop: Header=BB59_2 Depth=1
	ds_read_u8 v56, v52 offset:1
	s_waitcnt lgkmcnt(1)
	v_mov_b32_e32 v55, v53
.LBB59_10:                              ;   in Loop: Header=BB59_2 Depth=1
	s_or_b64 exec, exec, s[72:73]
	v_add_u32_e32 v58, 1, v51
	v_add_u32_e32 v57, 1, v52
	v_cndmask_b32_e64 v58, v58, v51, s[70:71]
	v_cndmask_b32_e64 v57, v52, v57, s[70:71]
	v_cmp_ge_i32_e64 s[74:75], v58, v16
	s_waitcnt lgkmcnt(0)
	v_cmp_lt_i16_sdwa s[76:77], sext(v56), sext(v55) src0_sel:BYTE_0 src1_sel:BYTE_0
	v_cmp_lt_i32_e64 s[72:73], v57, v17
	s_or_b64 s[74:75], s[74:75], s[76:77]
	s_and_b64 s[72:73], s[72:73], s[74:75]
	s_xor_b64 s[74:75], s[72:73], -1
                                        ; implicit-def: $vgpr59
	s_and_saveexec_b64 s[76:77], s[74:75]
	s_xor_b64 s[74:75], exec, s[76:77]
	s_cbranch_execz .LBB59_12
; %bb.11:                               ;   in Loop: Header=BB59_2 Depth=1
	ds_read_u8 v59, v58 offset:1
.LBB59_12:                              ;   in Loop: Header=BB59_2 Depth=1
	s_or_saveexec_b64 s[74:75], s[74:75]
	v_mov_b32_e32 v60, v56
	s_xor_b64 exec, exec, s[74:75]
	s_cbranch_execz .LBB59_14
; %bb.13:                               ;   in Loop: Header=BB59_2 Depth=1
	ds_read_u8 v60, v57 offset:1
	s_waitcnt lgkmcnt(1)
	v_mov_b32_e32 v59, v55
.LBB59_14:                              ;   in Loop: Header=BB59_2 Depth=1
	s_or_b64 exec, exec, s[74:75]
	v_add_u32_e32 v62, 1, v58
	v_add_u32_e32 v61, 1, v57
	v_cndmask_b32_e64 v62, v62, v58, s[72:73]
	v_cndmask_b32_e64 v61, v57, v61, s[72:73]
	v_cmp_ge_i32_e64 s[76:77], v62, v16
	s_waitcnt lgkmcnt(0)
	v_cmp_lt_i16_sdwa s[78:79], sext(v60), sext(v59) src0_sel:BYTE_0 src1_sel:BYTE_0
	v_cmp_lt_i32_e64 s[74:75], v61, v17
	s_or_b64 s[76:77], s[76:77], s[78:79]
	s_and_b64 s[74:75], s[74:75], s[76:77]
	s_xor_b64 s[76:77], s[74:75], -1
                                        ; implicit-def: $vgpr63
	s_and_saveexec_b64 s[78:79], s[76:77]
	s_xor_b64 s[76:77], exec, s[78:79]
	s_cbranch_execz .LBB59_16
; %bb.15:                               ;   in Loop: Header=BB59_2 Depth=1
	ds_read_u8 v63, v62 offset:1
.LBB59_16:                              ;   in Loop: Header=BB59_2 Depth=1
	s_or_saveexec_b64 s[76:77], s[76:77]
	v_mov_b32_e32 v64, v60
	s_xor_b64 exec, exec, s[76:77]
	s_cbranch_execz .LBB59_18
; %bb.17:                               ;   in Loop: Header=BB59_2 Depth=1
	ds_read_u8 v64, v61 offset:1
	s_waitcnt lgkmcnt(1)
	v_mov_b32_e32 v63, v59
.LBB59_18:                              ;   in Loop: Header=BB59_2 Depth=1
	s_or_b64 exec, exec, s[76:77]
	v_add_u32_e32 v66, 1, v62
	v_add_u32_e32 v65, 1, v61
	v_cndmask_b32_e64 v66, v66, v62, s[74:75]
	v_cndmask_b32_e64 v65, v61, v65, s[74:75]
	v_cmp_ge_i32_e64 s[78:79], v66, v16
	s_waitcnt lgkmcnt(0)
	v_cmp_lt_i16_sdwa s[80:81], sext(v64), sext(v63) src0_sel:BYTE_0 src1_sel:BYTE_0
	v_cmp_lt_i32_e64 s[76:77], v65, v17
	s_or_b64 s[78:79], s[78:79], s[80:81]
	s_and_b64 s[76:77], s[76:77], s[78:79]
	s_xor_b64 s[78:79], s[76:77], -1
                                        ; implicit-def: $vgpr67
	s_and_saveexec_b64 s[80:81], s[78:79]
	s_xor_b64 s[78:79], exec, s[80:81]
	s_cbranch_execz .LBB59_20
; %bb.19:                               ;   in Loop: Header=BB59_2 Depth=1
	ds_read_u8 v67, v66 offset:1
.LBB59_20:                              ;   in Loop: Header=BB59_2 Depth=1
	s_or_saveexec_b64 s[78:79], s[78:79]
	v_mov_b32_e32 v68, v64
	s_xor_b64 exec, exec, s[78:79]
	s_cbranch_execz .LBB59_22
; %bb.21:                               ;   in Loop: Header=BB59_2 Depth=1
	ds_read_u8 v68, v65 offset:1
	s_waitcnt lgkmcnt(1)
	v_mov_b32_e32 v67, v63
.LBB59_22:                              ;   in Loop: Header=BB59_2 Depth=1
	s_or_b64 exec, exec, s[78:79]
	v_add_u32_e32 v71, 1, v66
	v_add_u32_e32 v69, 1, v65
	v_cndmask_b32_e64 v71, v71, v66, s[76:77]
	v_cndmask_b32_e64 v70, v65, v69, s[76:77]
	v_cmp_ge_i32_e64 s[80:81], v71, v16
	s_waitcnt lgkmcnt(0)
	v_cmp_lt_i16_sdwa s[82:83], sext(v68), sext(v67) src0_sel:BYTE_0 src1_sel:BYTE_0
	v_cmp_lt_i32_e64 s[78:79], v70, v17
	s_or_b64 s[80:81], s[80:81], s[82:83]
	s_and_b64 s[78:79], s[78:79], s[80:81]
	s_xor_b64 s[80:81], s[78:79], -1
                                        ; implicit-def: $vgpr73
	s_and_saveexec_b64 s[82:83], s[80:81]
	s_xor_b64 s[80:81], exec, s[82:83]
	s_cbranch_execz .LBB59_24
; %bb.23:                               ;   in Loop: Header=BB59_2 Depth=1
	ds_read_u8 v73, v71 offset:1
.LBB59_24:                              ;   in Loop: Header=BB59_2 Depth=1
	s_or_saveexec_b64 s[80:81], s[80:81]
	v_mov_b32_e32 v74, v68
	s_xor_b64 exec, exec, s[80:81]
	s_cbranch_execz .LBB59_26
; %bb.25:                               ;   in Loop: Header=BB59_2 Depth=1
	ds_read_u8 v74, v70 offset:1
	s_waitcnt lgkmcnt(1)
	v_mov_b32_e32 v73, v67
.LBB59_26:                              ;   in Loop: Header=BB59_2 Depth=1
	s_or_b64 exec, exec, s[80:81]
	v_add_u32_e32 v72, 1, v71
	v_add_u32_e32 v69, 1, v70
	v_cndmask_b32_e64 v76, v72, v71, s[78:79]
	v_cndmask_b32_e64 v75, v70, v69, s[78:79]
	v_cmp_ge_i32_e64 s[82:83], v76, v16
	s_waitcnt lgkmcnt(0)
	v_cmp_lt_i16_sdwa s[84:85], sext(v74), sext(v73) src0_sel:BYTE_0 src1_sel:BYTE_0
	v_cmp_lt_i32_e64 s[80:81], v75, v17
	s_or_b64 s[82:83], s[82:83], s[84:85]
	s_and_b64 s[80:81], s[80:81], s[82:83]
	s_xor_b64 s[82:83], s[80:81], -1
                                        ; implicit-def: $vgpr77
	s_and_saveexec_b64 s[84:85], s[82:83]
	s_xor_b64 s[82:83], exec, s[84:85]
	s_cbranch_execz .LBB59_28
; %bb.27:                               ;   in Loop: Header=BB59_2 Depth=1
	ds_read_u8 v77, v76 offset:1
.LBB59_28:                              ;   in Loop: Header=BB59_2 Depth=1
	s_or_saveexec_b64 s[82:83], s[82:83]
	v_mov_b32_e32 v78, v74
	s_xor_b64 exec, exec, s[82:83]
	s_cbranch_execz .LBB59_30
; %bb.29:                               ;   in Loop: Header=BB59_2 Depth=1
	ds_read_u8 v78, v75 offset:1
	s_waitcnt lgkmcnt(1)
	v_mov_b32_e32 v77, v73
.LBB59_30:                              ;   in Loop: Header=BB59_2 Depth=1
	s_or_b64 exec, exec, s[82:83]
	v_add_u32_e32 v72, 1, v76
	v_add_u32_e32 v69, 1, v75
	v_cndmask_b32_e64 v80, v72, v76, s[80:81]
	v_cndmask_b32_e64 v79, v75, v69, s[80:81]
	v_cmp_ge_i32_e64 s[84:85], v80, v16
	s_waitcnt lgkmcnt(0)
	v_cmp_lt_i16_sdwa s[98:99], sext(v78), sext(v77) src0_sel:BYTE_0 src1_sel:BYTE_0
	v_cmp_lt_i32_e64 s[82:83], v79, v17
	s_or_b64 s[84:85], s[84:85], s[98:99]
	s_and_b64 s[82:83], s[82:83], s[84:85]
	s_xor_b64 s[84:85], s[82:83], -1
                                        ; implicit-def: $vgpr69
	s_and_saveexec_b64 s[98:99], s[84:85]
	s_xor_b64 s[84:85], exec, s[98:99]
	s_cbranch_execz .LBB59_32
; %bb.31:                               ;   in Loop: Header=BB59_2 Depth=1
	ds_read_u8 v69, v80 offset:1
.LBB59_32:                              ;   in Loop: Header=BB59_2 Depth=1
	s_or_saveexec_b64 s[84:85], s[84:85]
	v_mov_b32_e32 v72, v78
	s_xor_b64 exec, exec, s[84:85]
	s_cbranch_execz .LBB59_34
; %bb.33:                               ;   in Loop: Header=BB59_2 Depth=1
	ds_read_u8 v72, v79 offset:1
	s_waitcnt lgkmcnt(1)
	v_mov_b32_e32 v69, v77
.LBB59_34:                              ;   in Loop: Header=BB59_2 Depth=1
	s_or_b64 exec, exec, s[84:85]
	v_perm_b32 v81, 0, v49, s92
	v_and_or_b32 v81, v49, s96, v81
	v_cndmask_b32_e64 v49, v49, v81, s[12:13]
	v_cndmask_b32_e64 v52, v51, v52, s[70:71]
	v_lshrrev_b32_e32 v51, 16, v49
	v_perm_b32 v51, 0, v51, s92
	v_lshlrev_b32_e32 v51, 16, v51
	v_and_or_b32 v51, v49, s89, v51
	v_cndmask_b32_e64 v49, v49, v51, s[14:15]
	v_perm_b32 v51, v50, v50, s91
	v_cndmask_b32_e64 v50, v50, v51, s[16:17]
	v_perm_b32 v51, v50, v50, s93
	;; [unrolled: 2-line block ×3, first 2 shown]
	v_cndmask_b32_e64 v49, v49, v51, s[20:21]
	v_cndmask_b32_e64 v59, v59, v60, s[74:75]
	;; [unrolled: 1-line block ×6, first 2 shown]
	v_and_b32_sdwa v53, v49, s90 dst_sel:DWORD dst_unused:UNUSED_PAD src0_sel:WORD_1 src1_sel:DWORD
	v_lshlrev_b16_e32 v54, 8, v50
	v_or_b32_sdwa v53, v53, v54 dst_sel:WORD_1 dst_unused:UNUSED_PAD src0_sel:DWORD src1_sel:DWORD
	v_perm_b32 v51, v49, v50, s95
	v_and_or_b32 v53, v49, s89, v53
	v_cndmask_b32_e64 v49, v49, v53, s[22:23]
	v_perm_b32 v53, 0, v49, s92
	v_cndmask_b32_e64 v50, v50, v51, s[22:23]
	v_and_or_b32 v53, v49, s96, v53
	v_perm_b32 v51, v50, v50, s94
	v_cndmask_b32_e64 v49, v49, v53, s[26:27]
	v_cndmask_b32_e64 v50, v50, v51, s[24:25]
	v_lshrrev_b32_e32 v51, 16, v49
	v_perm_b32 v51, 0, v51, s92
	v_lshlrev_b32_e32 v51, 16, v51
	v_and_or_b32 v51, v49, s89, v51
	v_cndmask_b32_e64 v49, v49, v51, s[28:29]
	v_perm_b32 v51, v50, v50, s91
	v_cndmask_b32_e64 v50, v50, v51, s[30:31]
	v_perm_b32 v51, v50, v50, s93
	v_cndmask_b32_e64 v50, v50, v51, s[34:35]
	v_perm_b32 v51, v49, v49, s94
	v_cndmask_b32_e64 v49, v49, v51, s[36:37]
	v_and_b32_sdwa v53, v49, s90 dst_sel:DWORD dst_unused:UNUSED_PAD src0_sel:WORD_1 src1_sel:DWORD
	v_lshlrev_b16_e32 v54, 8, v50
	v_or_b32_sdwa v53, v53, v54 dst_sel:WORD_1 dst_unused:UNUSED_PAD src0_sel:DWORD src1_sel:DWORD
	v_perm_b32 v51, v49, v50, s95
	v_and_or_b32 v53, v49, s89, v53
	v_cndmask_b32_e64 v49, v49, v53, s[38:39]
	v_perm_b32 v53, 0, v49, s92
	v_cndmask_b32_e64 v50, v50, v51, s[38:39]
	v_and_or_b32 v53, v49, s96, v53
	v_perm_b32 v51, v50, v50, s94
	v_cndmask_b32_e64 v49, v49, v53, s[42:43]
	v_cndmask_b32_e64 v50, v50, v51, s[40:41]
	v_lshrrev_b32_e32 v51, 16, v49
	v_perm_b32 v51, 0, v51, s92
	v_lshlrev_b32_e32 v51, 16, v51
	v_and_or_b32 v51, v49, s89, v51
	v_cndmask_b32_e64 v49, v49, v51, s[44:45]
	v_perm_b32 v51, v50, v50, s91
	v_cndmask_b32_e64 v50, v50, v51, s[46:47]
	v_perm_b32 v51, v50, v50, s93
	v_cndmask_b32_e64 v50, v50, v51, s[48:49]
	v_perm_b32 v51, v49, v49, s94
	v_cndmask_b32_e64 v49, v49, v51, s[50:51]
	v_and_b32_sdwa v53, v49, s90 dst_sel:DWORD dst_unused:UNUSED_PAD src0_sel:WORD_1 src1_sel:DWORD
	v_lshlrev_b16_e32 v54, 8, v50
	v_or_b32_sdwa v53, v53, v54 dst_sel:WORD_1 dst_unused:UNUSED_PAD src0_sel:DWORD src1_sel:DWORD
	v_perm_b32 v51, v49, v50, s95
	v_and_or_b32 v53, v49, s89, v53
	v_cndmask_b32_e64 v49, v49, v53, s[52:53]
	v_perm_b32 v53, 0, v49, s92
	v_cndmask_b32_e64 v50, v50, v51, s[52:53]
	v_and_or_b32 v53, v49, s96, v53
	v_perm_b32 v51, v50, v50, s94
	v_cndmask_b32_e64 v49, v49, v53, s[56:57]
	v_cndmask_b32_e64 v50, v50, v51, s[54:55]
	v_lshrrev_b32_e32 v51, 16, v49
	v_perm_b32 v51, 0, v51, s92
	v_lshlrev_b32_e32 v51, 16, v51
	v_and_or_b32 v51, v49, s89, v51
	v_cndmask_b32_e64 v49, v49, v51, s[58:59]
	v_perm_b32 v51, v50, v50, s91
	v_cndmask_b32_e64 v50, v50, v51, s[60:61]
	v_perm_b32 v51, v50, v50, s93
	v_cndmask_b32_e64 v51, v50, v51, s[62:63]
	v_perm_b32 v50, v49, v49, s94
	v_cndmask_b32_e64 v49, v49, v50, s[64:65]
	v_add_u32_e32 v82, 1, v80
	v_and_b32_sdwa v50, v49, s90 dst_sel:DWORD dst_unused:UNUSED_PAD src0_sel:WORD_1 src1_sel:DWORD
	v_lshlrev_b16_e32 v54, 8, v51
	v_cndmask_b32_e64 v77, v77, v78, s[82:83]
	v_add_u32_e32 v78, 1, v79
	v_cndmask_b32_e64 v82, v82, v80, s[82:83]
	v_or_b32_sdwa v50, v50, v54 dst_sel:WORD_1 dst_unused:UNUSED_PAD src0_sel:DWORD src1_sel:DWORD
	v_cndmask_b32_e64 v78, v79, v78, s[82:83]
	v_perm_b32 v53, v49, v51, s95
	v_and_or_b32 v50, v49, s89, v50
	v_cmp_ge_i32_e64 s[14:15], v82, v16
	s_waitcnt lgkmcnt(0)
	v_cmp_lt_i16_sdwa s[16:17], sext(v72), sext(v69) src0_sel:BYTE_0 src1_sel:BYTE_0
	v_cndmask_b32_e64 v50, v49, v50, s[66:67]
	v_cndmask_b32_e64 v49, v51, v53, s[66:67]
	v_cmp_lt_i32_e64 s[12:13], v78, v17
	s_or_b64 s[14:15], s[14:15], s[16:17]
	v_perm_b32 v51, v49, v49, s94
	s_and_b64 s[12:13], s[12:13], s[14:15]
	v_cndmask_b32_e64 v51, v49, v51, s[68:69]
	v_cndmask_b32_e64 v49, v82, v78, s[12:13]
	;; [unrolled: 1-line block ×9, first 2 shown]
	s_barrier
	ds_write_b64 v3, v[50:51]
	s_waitcnt lgkmcnt(0)
	s_barrier
	ds_read_u8 v53, v49
	ds_read_u8 v49, v52
	;; [unrolled: 1-line block ×8, first 2 shown]
	v_lshlrev_b16_e32 v58, 8, v61
	v_or_b32_sdwa v57, v57, v58 dst_sel:DWORD dst_unused:UNUSED_PAD src0_sel:BYTE_0 src1_sel:DWORD
	v_lshlrev_b16_e32 v58, 8, v63
	v_cndmask_b32_e64 v62, v69, v72, s[12:13]
	v_or_b32_sdwa v58, v59, v58 dst_sel:WORD_1 dst_unused:UNUSED_PAD src0_sel:BYTE_0 src1_sel:DWORD
	v_lshlrev_b16_e32 v59, 8, v62
	v_or_b32_sdwa v58, v57, v58 dst_sel:DWORD dst_unused:UNUSED_PAD src0_sel:WORD_0 src1_sel:DWORD
	v_lshlrev_b16_e32 v57, 8, v73
	v_or_b32_sdwa v57, v67, v57 dst_sel:DWORD dst_unused:UNUSED_PAD src0_sel:BYTE_0 src1_sel:DWORD
	v_or_b32_sdwa v59, v77, v59 dst_sel:WORD_1 dst_unused:UNUSED_PAD src0_sel:BYTE_0 src1_sel:DWORD
	s_waitcnt lgkmcnt(0)
	v_or_b32_sdwa v59, v57, v59 dst_sel:DWORD dst_unused:UNUSED_PAD src0_sel:WORD_0 src1_sel:DWORD
	s_barrier
	ds_write_b64 v3, v[58:59]
	v_mov_b32_e32 v58, v39
	s_waitcnt lgkmcnt(0)
	s_barrier
	s_and_saveexec_b64 s[14:15], s[0:1]
	s_cbranch_execz .LBB59_38
; %bb.35:                               ;   in Loop: Header=BB59_2 Depth=1
	s_mov_b64 s[16:17], 0
	v_mov_b32_e32 v58, v39
	v_mov_b32_e32 v57, v34
.LBB59_36:                              ;   Parent Loop BB59_2 Depth=1
                                        ; =>  This Inner Loop Header: Depth=2
	v_sub_u32_e32 v59, v57, v58
	v_lshrrev_b32_e32 v60, 31, v59
	v_add_u32_e32 v59, v59, v60
	v_ashrrev_i32_e32 v59, 1, v59
	v_add_u32_e32 v59, v59, v58
	v_not_b32_e32 v61, v59
	v_add_u32_e32 v60, v6, v59
	v_add3_u32 v61, v7, v61, v18
	ds_read_i8 v60, v60
	ds_read_i8 v61, v61
	v_add_u32_e32 v62, 1, v59
	s_waitcnt lgkmcnt(0)
	v_cmp_lt_i16_e64 s[12:13], v61, v60
	s_nop 1
	v_cndmask_b32_e64 v57, v57, v59, s[12:13]
	v_cndmask_b32_e64 v58, v62, v58, s[12:13]
	v_cmp_ge_i32_e64 s[12:13], v58, v57
	s_or_b64 s[16:17], s[12:13], s[16:17]
	s_andn2_b64 exec, exec, s[16:17]
	s_cbranch_execnz .LBB59_36
; %bb.37:                               ;   in Loop: Header=BB59_2 Depth=1
	s_or_b64 exec, exec, s[16:17]
.LBB59_38:                              ;   in Loop: Header=BB59_2 Depth=1
	s_or_b64 exec, exec, s[14:15]
	v_add_u32_e32 v57, v58, v6
	v_sub_u32_e32 v58, v29, v58
	ds_read_u8 v59, v57
	ds_read_u8 v60, v58
	v_cmp_le_i32_e64 s[14:15], v18, v57
	v_cmp_gt_i32_e64 s[12:13], v19, v58
                                        ; implicit-def: $vgpr61
	s_waitcnt lgkmcnt(1)
	v_bfe_i32 v59, v59, 0, 8
	s_waitcnt lgkmcnt(0)
	v_bfe_i32 v60, v60, 0, 8
	v_cmp_lt_i16_e64 s[16:17], v60, v59
	s_or_b64 s[14:15], s[14:15], s[16:17]
	s_and_b64 s[12:13], s[12:13], s[14:15]
	s_xor_b64 s[14:15], s[12:13], -1
	s_and_saveexec_b64 s[16:17], s[14:15]
	s_xor_b64 s[14:15], exec, s[16:17]
	s_cbranch_execz .LBB59_40
; %bb.39:                               ;   in Loop: Header=BB59_2 Depth=1
	ds_read_u8 v61, v57 offset:1
.LBB59_40:                              ;   in Loop: Header=BB59_2 Depth=1
	s_or_saveexec_b64 s[14:15], s[14:15]
	v_mov_b32_e32 v62, v60
	s_xor_b64 exec, exec, s[14:15]
	s_cbranch_execz .LBB59_42
; %bb.41:                               ;   in Loop: Header=BB59_2 Depth=1
	ds_read_u8 v62, v58 offset:1
	s_waitcnt lgkmcnt(1)
	v_mov_b32_e32 v61, v59
.LBB59_42:                              ;   in Loop: Header=BB59_2 Depth=1
	s_or_b64 exec, exec, s[14:15]
	v_add_u32_e32 v64, 1, v57
	v_add_u32_e32 v63, 1, v58
	v_cndmask_b32_e64 v64, v64, v57, s[12:13]
	v_cndmask_b32_e64 v63, v58, v63, s[12:13]
	v_cmp_ge_i32_e64 s[16:17], v64, v18
	s_waitcnt lgkmcnt(0)
	v_cmp_lt_i16_sdwa s[18:19], sext(v62), sext(v61) src0_sel:BYTE_0 src1_sel:BYTE_0
	v_cmp_lt_i32_e64 s[14:15], v63, v19
	s_or_b64 s[16:17], s[16:17], s[18:19]
	s_and_b64 s[14:15], s[14:15], s[16:17]
	s_xor_b64 s[16:17], s[14:15], -1
                                        ; implicit-def: $vgpr65
	s_and_saveexec_b64 s[18:19], s[16:17]
	s_xor_b64 s[16:17], exec, s[18:19]
	s_cbranch_execz .LBB59_44
; %bb.43:                               ;   in Loop: Header=BB59_2 Depth=1
	ds_read_u8 v65, v64 offset:1
.LBB59_44:                              ;   in Loop: Header=BB59_2 Depth=1
	s_or_saveexec_b64 s[16:17], s[16:17]
	v_mov_b32_e32 v66, v62
	s_xor_b64 exec, exec, s[16:17]
	s_cbranch_execz .LBB59_46
; %bb.45:                               ;   in Loop: Header=BB59_2 Depth=1
	ds_read_u8 v66, v63 offset:1
	s_waitcnt lgkmcnt(1)
	v_mov_b32_e32 v65, v61
.LBB59_46:                              ;   in Loop: Header=BB59_2 Depth=1
	s_or_b64 exec, exec, s[16:17]
	v_add_u32_e32 v68, 1, v64
	v_add_u32_e32 v67, 1, v63
	v_cndmask_b32_e64 v68, v68, v64, s[14:15]
	v_cndmask_b32_e64 v67, v63, v67, s[14:15]
	v_cmp_ge_i32_e64 s[18:19], v68, v18
	s_waitcnt lgkmcnt(0)
	v_cmp_lt_i16_sdwa s[20:21], sext(v66), sext(v65) src0_sel:BYTE_0 src1_sel:BYTE_0
	v_cmp_lt_i32_e64 s[16:17], v67, v19
	s_or_b64 s[18:19], s[18:19], s[20:21]
	s_and_b64 s[16:17], s[16:17], s[18:19]
	s_xor_b64 s[18:19], s[16:17], -1
                                        ; implicit-def: $vgpr69
	s_and_saveexec_b64 s[20:21], s[18:19]
	s_xor_b64 s[18:19], exec, s[20:21]
	s_cbranch_execz .LBB59_48
; %bb.47:                               ;   in Loop: Header=BB59_2 Depth=1
	ds_read_u8 v69, v68 offset:1
.LBB59_48:                              ;   in Loop: Header=BB59_2 Depth=1
	s_or_saveexec_b64 s[18:19], s[18:19]
	v_mov_b32_e32 v70, v66
	s_xor_b64 exec, exec, s[18:19]
	s_cbranch_execz .LBB59_50
; %bb.49:                               ;   in Loop: Header=BB59_2 Depth=1
	ds_read_u8 v70, v67 offset:1
	s_waitcnt lgkmcnt(1)
	v_mov_b32_e32 v69, v65
.LBB59_50:                              ;   in Loop: Header=BB59_2 Depth=1
	s_or_b64 exec, exec, s[18:19]
	v_add_u32_e32 v72, 1, v68
	v_add_u32_e32 v71, 1, v67
	v_cndmask_b32_e64 v72, v72, v68, s[16:17]
	v_cndmask_b32_e64 v71, v67, v71, s[16:17]
	v_cmp_ge_i32_e64 s[20:21], v72, v18
	s_waitcnt lgkmcnt(0)
	v_cmp_lt_i16_sdwa s[22:23], sext(v70), sext(v69) src0_sel:BYTE_0 src1_sel:BYTE_0
	v_cmp_lt_i32_e64 s[18:19], v71, v19
	s_or_b64 s[20:21], s[20:21], s[22:23]
	s_and_b64 s[18:19], s[18:19], s[20:21]
	s_xor_b64 s[20:21], s[18:19], -1
                                        ; implicit-def: $vgpr73
	s_and_saveexec_b64 s[22:23], s[20:21]
	s_xor_b64 s[20:21], exec, s[22:23]
	s_cbranch_execz .LBB59_52
; %bb.51:                               ;   in Loop: Header=BB59_2 Depth=1
	ds_read_u8 v73, v72 offset:1
.LBB59_52:                              ;   in Loop: Header=BB59_2 Depth=1
	s_or_saveexec_b64 s[20:21], s[20:21]
	v_mov_b32_e32 v74, v70
	s_xor_b64 exec, exec, s[20:21]
	s_cbranch_execz .LBB59_54
; %bb.53:                               ;   in Loop: Header=BB59_2 Depth=1
	ds_read_u8 v74, v71 offset:1
	s_waitcnt lgkmcnt(1)
	v_mov_b32_e32 v73, v69
.LBB59_54:                              ;   in Loop: Header=BB59_2 Depth=1
	s_or_b64 exec, exec, s[20:21]
	v_add_u32_e32 v76, 1, v72
	v_add_u32_e32 v75, 1, v71
	v_cndmask_b32_e64 v76, v76, v72, s[18:19]
	v_cndmask_b32_e64 v75, v71, v75, s[18:19]
	v_cmp_ge_i32_e64 s[22:23], v76, v18
	s_waitcnt lgkmcnt(0)
	v_cmp_lt_i16_sdwa s[24:25], sext(v74), sext(v73) src0_sel:BYTE_0 src1_sel:BYTE_0
	v_cmp_lt_i32_e64 s[20:21], v75, v19
	s_or_b64 s[22:23], s[22:23], s[24:25]
	s_and_b64 s[20:21], s[20:21], s[22:23]
	s_xor_b64 s[22:23], s[20:21], -1
                                        ; implicit-def: $vgpr77
	s_and_saveexec_b64 s[24:25], s[22:23]
	s_xor_b64 s[22:23], exec, s[24:25]
	s_cbranch_execz .LBB59_56
; %bb.55:                               ;   in Loop: Header=BB59_2 Depth=1
	ds_read_u8 v77, v76 offset:1
.LBB59_56:                              ;   in Loop: Header=BB59_2 Depth=1
	s_or_saveexec_b64 s[22:23], s[22:23]
	v_mov_b32_e32 v78, v74
	s_xor_b64 exec, exec, s[22:23]
	s_cbranch_execz .LBB59_58
; %bb.57:                               ;   in Loop: Header=BB59_2 Depth=1
	ds_read_u8 v78, v75 offset:1
	s_waitcnt lgkmcnt(1)
	v_mov_b32_e32 v77, v73
.LBB59_58:                              ;   in Loop: Header=BB59_2 Depth=1
	s_or_b64 exec, exec, s[22:23]
	v_add_u32_e32 v80, 1, v76
	v_add_u32_e32 v79, 1, v75
	v_cndmask_b32_e64 v80, v80, v76, s[20:21]
	v_cndmask_b32_e64 v79, v75, v79, s[20:21]
	v_cmp_ge_i32_e64 s[24:25], v80, v18
	s_waitcnt lgkmcnt(0)
	v_cmp_lt_i16_sdwa s[26:27], sext(v78), sext(v77) src0_sel:BYTE_0 src1_sel:BYTE_0
	v_cmp_lt_i32_e64 s[22:23], v79, v19
	s_or_b64 s[24:25], s[24:25], s[26:27]
	s_and_b64 s[22:23], s[22:23], s[24:25]
	s_xor_b64 s[24:25], s[22:23], -1
                                        ; implicit-def: $vgpr81
	s_and_saveexec_b64 s[26:27], s[24:25]
	s_xor_b64 s[24:25], exec, s[26:27]
	s_cbranch_execz .LBB59_60
; %bb.59:                               ;   in Loop: Header=BB59_2 Depth=1
	ds_read_u8 v81, v80 offset:1
.LBB59_60:                              ;   in Loop: Header=BB59_2 Depth=1
	s_or_saveexec_b64 s[24:25], s[24:25]
	v_mov_b32_e32 v82, v78
	s_xor_b64 exec, exec, s[24:25]
	s_cbranch_execz .LBB59_62
; %bb.61:                               ;   in Loop: Header=BB59_2 Depth=1
	ds_read_u8 v82, v79 offset:1
	s_waitcnt lgkmcnt(1)
	v_mov_b32_e32 v81, v77
.LBB59_62:                              ;   in Loop: Header=BB59_2 Depth=1
	s_or_b64 exec, exec, s[24:25]
	v_add_u32_e32 v85, 1, v80
	v_add_u32_e32 v83, 1, v79
	v_cndmask_b32_e64 v85, v85, v80, s[22:23]
	v_cndmask_b32_e64 v84, v79, v83, s[22:23]
	v_cmp_ge_i32_e64 s[26:27], v85, v18
	s_waitcnt lgkmcnt(0)
	v_cmp_lt_i16_sdwa s[28:29], sext(v82), sext(v81) src0_sel:BYTE_0 src1_sel:BYTE_0
	v_cmp_lt_i32_e64 s[24:25], v84, v19
	s_or_b64 s[26:27], s[26:27], s[28:29]
	s_and_b64 s[24:25], s[24:25], s[26:27]
	s_xor_b64 s[26:27], s[24:25], -1
                                        ; implicit-def: $vgpr83
	s_and_saveexec_b64 s[28:29], s[26:27]
	s_xor_b64 s[26:27], exec, s[28:29]
	s_cbranch_execz .LBB59_64
; %bb.63:                               ;   in Loop: Header=BB59_2 Depth=1
	ds_read_u8 v83, v85 offset:1
.LBB59_64:                              ;   in Loop: Header=BB59_2 Depth=1
	s_or_saveexec_b64 s[26:27], s[26:27]
	v_mov_b32_e32 v86, v82
	s_xor_b64 exec, exec, s[26:27]
	s_cbranch_execz .LBB59_66
; %bb.65:                               ;   in Loop: Header=BB59_2 Depth=1
	ds_read_u8 v86, v84 offset:1
	s_waitcnt lgkmcnt(1)
	v_mov_b32_e32 v83, v81
.LBB59_66:                              ;   in Loop: Header=BB59_2 Depth=1
	s_or_b64 exec, exec, s[26:27]
	v_add_u32_e32 v87, 1, v85
	v_cndmask_b32_e64 v81, v81, v82, s[24:25]
	v_add_u32_e32 v82, 1, v84
	v_cndmask_b32_e64 v87, v87, v85, s[24:25]
	v_cndmask_b32_e64 v82, v84, v82, s[24:25]
	;; [unrolled: 1-line block ×6, first 2 shown]
	v_cmp_ge_i32_e64 s[14:15], v87, v18
	s_waitcnt lgkmcnt(0)
	v_cmp_lt_i16_sdwa s[16:17], sext(v86), sext(v83) src0_sel:BYTE_0 src1_sel:BYTE_0
	v_lshlrev_b16_e32 v51, 8, v51
	v_cndmask_b32_e64 v59, v59, v60, s[12:13]
	v_cndmask_b32_e64 v57, v57, v58, s[12:13]
	v_cmp_lt_i32_e64 s[12:13], v82, v19
	s_or_b64 s[14:15], s[14:15], s[16:17]
	v_lshlrev_b16_e32 v56, 8, v56
	v_lshlrev_b16_e32 v53, 8, v53
	v_or_b32_sdwa v49, v49, v51 dst_sel:DWORD dst_unused:UNUSED_PAD src0_sel:BYTE_0 src1_sel:DWORD
	v_lshlrev_b16_e32 v51, 8, v52
	s_and_b64 s[12:13], s[12:13], s[14:15]
	v_or_b32_sdwa v54, v54, v56 dst_sel:DWORD dst_unused:UNUSED_PAD src0_sel:BYTE_0 src1_sel:DWORD
	v_or_b32_sdwa v53, v55, v53 dst_sel:WORD_1 dst_unused:UNUSED_PAD src0_sel:BYTE_0 src1_sel:DWORD
	v_or_b32_sdwa v50, v50, v51 dst_sel:WORD_1 dst_unused:UNUSED_PAD src0_sel:BYTE_0 src1_sel:DWORD
	v_cndmask_b32_e64 v58, v87, v82, s[12:13]
	v_or_b32_sdwa v53, v54, v53 dst_sel:DWORD dst_unused:UNUSED_PAD src0_sel:WORD_0 src1_sel:DWORD
	v_or_b32_sdwa v52, v49, v50 dst_sel:DWORD dst_unused:UNUSED_PAD src0_sel:WORD_0 src1_sel:DWORD
	v_cndmask_b32_e64 v84, v85, v84, s[24:25]
	v_cndmask_b32_e64 v77, v77, v78, s[22:23]
	v_cndmask_b32_e64 v78, v80, v79, s[22:23]
	v_cndmask_b32_e64 v73, v73, v74, s[20:21]
	v_cndmask_b32_e64 v74, v76, v75, s[20:21]
	v_cndmask_b32_e64 v69, v69, v70, s[18:19]
	v_cndmask_b32_e64 v70, v72, v71, s[18:19]
	s_barrier
	ds_write_b64 v3, v[52:53]
	s_waitcnt lgkmcnt(0)
	s_barrier
	ds_read_u8 v53, v58
	ds_read_u8 v49, v57
	;; [unrolled: 1-line block ×8, first 2 shown]
	v_lshlrev_b16_e32 v57, 8, v61
	v_lshlrev_b16_e32 v58, 8, v69
	v_cndmask_b32_e64 v60, v83, v86, s[12:13]
	v_or_b32_sdwa v57, v59, v57 dst_sel:DWORD dst_unused:UNUSED_PAD src0_sel:BYTE_0 src1_sel:DWORD
	v_or_b32_sdwa v58, v65, v58 dst_sel:WORD_1 dst_unused:UNUSED_PAD src0_sel:BYTE_0 src1_sel:DWORD
	v_lshlrev_b16_e32 v59, 8, v60
	v_or_b32_sdwa v58, v57, v58 dst_sel:DWORD dst_unused:UNUSED_PAD src0_sel:WORD_0 src1_sel:DWORD
	v_lshlrev_b16_e32 v57, 8, v77
	v_or_b32_sdwa v57, v73, v57 dst_sel:DWORD dst_unused:UNUSED_PAD src0_sel:BYTE_0 src1_sel:DWORD
	v_or_b32_sdwa v59, v81, v59 dst_sel:WORD_1 dst_unused:UNUSED_PAD src0_sel:BYTE_0 src1_sel:DWORD
	s_waitcnt lgkmcnt(0)
	v_or_b32_sdwa v59, v57, v59 dst_sel:DWORD dst_unused:UNUSED_PAD src0_sel:WORD_0 src1_sel:DWORD
	s_barrier
	ds_write_b64 v3, v[58:59]
	v_mov_b32_e32 v58, v40
	s_waitcnt lgkmcnt(0)
	s_barrier
	s_and_saveexec_b64 s[14:15], s[2:3]
	s_cbranch_execz .LBB59_70
; %bb.67:                               ;   in Loop: Header=BB59_2 Depth=1
	s_mov_b64 s[16:17], 0
	v_mov_b32_e32 v58, v40
	v_mov_b32_e32 v57, v35
.LBB59_68:                              ;   Parent Loop BB59_2 Depth=1
                                        ; =>  This Inner Loop Header: Depth=2
	v_sub_u32_e32 v59, v57, v58
	v_lshrrev_b32_e32 v60, 31, v59
	v_add_u32_e32 v59, v59, v60
	v_ashrrev_i32_e32 v59, 1, v59
	v_add_u32_e32 v59, v59, v58
	v_not_b32_e32 v61, v59
	v_add_u32_e32 v60, v8, v59
	v_add3_u32 v61, v9, v61, v20
	ds_read_i8 v60, v60
	ds_read_i8 v61, v61
	v_add_u32_e32 v62, 1, v59
	s_waitcnt lgkmcnt(0)
	v_cmp_lt_i16_e64 s[12:13], v61, v60
	s_nop 1
	v_cndmask_b32_e64 v57, v57, v59, s[12:13]
	v_cndmask_b32_e64 v58, v62, v58, s[12:13]
	v_cmp_ge_i32_e64 s[12:13], v58, v57
	s_or_b64 s[16:17], s[12:13], s[16:17]
	s_andn2_b64 exec, exec, s[16:17]
	s_cbranch_execnz .LBB59_68
; %bb.69:                               ;   in Loop: Header=BB59_2 Depth=1
	s_or_b64 exec, exec, s[16:17]
.LBB59_70:                              ;   in Loop: Header=BB59_2 Depth=1
	s_or_b64 exec, exec, s[14:15]
	v_add_u32_e32 v57, v58, v8
	v_sub_u32_e32 v58, v30, v58
	ds_read_u8 v59, v57
	ds_read_u8 v60, v58
	v_cmp_le_i32_e64 s[14:15], v20, v57
	v_cmp_gt_i32_e64 s[12:13], v21, v58
                                        ; implicit-def: $vgpr61
	s_waitcnt lgkmcnt(1)
	v_bfe_i32 v59, v59, 0, 8
	s_waitcnt lgkmcnt(0)
	v_bfe_i32 v60, v60, 0, 8
	v_cmp_lt_i16_e64 s[16:17], v60, v59
	s_or_b64 s[14:15], s[14:15], s[16:17]
	s_and_b64 s[12:13], s[12:13], s[14:15]
	s_xor_b64 s[14:15], s[12:13], -1
	s_and_saveexec_b64 s[16:17], s[14:15]
	s_xor_b64 s[14:15], exec, s[16:17]
	s_cbranch_execz .LBB59_72
; %bb.71:                               ;   in Loop: Header=BB59_2 Depth=1
	ds_read_u8 v61, v57 offset:1
.LBB59_72:                              ;   in Loop: Header=BB59_2 Depth=1
	s_or_saveexec_b64 s[14:15], s[14:15]
	v_mov_b32_e32 v62, v60
	s_xor_b64 exec, exec, s[14:15]
	s_cbranch_execz .LBB59_74
; %bb.73:                               ;   in Loop: Header=BB59_2 Depth=1
	ds_read_u8 v62, v58 offset:1
	s_waitcnt lgkmcnt(1)
	v_mov_b32_e32 v61, v59
.LBB59_74:                              ;   in Loop: Header=BB59_2 Depth=1
	s_or_b64 exec, exec, s[14:15]
	v_add_u32_e32 v64, 1, v57
	v_add_u32_e32 v63, 1, v58
	v_cndmask_b32_e64 v64, v64, v57, s[12:13]
	v_cndmask_b32_e64 v63, v58, v63, s[12:13]
	v_cmp_ge_i32_e64 s[16:17], v64, v20
	s_waitcnt lgkmcnt(0)
	v_cmp_lt_i16_sdwa s[18:19], sext(v62), sext(v61) src0_sel:BYTE_0 src1_sel:BYTE_0
	v_cmp_lt_i32_e64 s[14:15], v63, v21
	s_or_b64 s[16:17], s[16:17], s[18:19]
	s_and_b64 s[14:15], s[14:15], s[16:17]
	s_xor_b64 s[16:17], s[14:15], -1
                                        ; implicit-def: $vgpr65
	s_and_saveexec_b64 s[18:19], s[16:17]
	s_xor_b64 s[16:17], exec, s[18:19]
	s_cbranch_execz .LBB59_76
; %bb.75:                               ;   in Loop: Header=BB59_2 Depth=1
	ds_read_u8 v65, v64 offset:1
.LBB59_76:                              ;   in Loop: Header=BB59_2 Depth=1
	s_or_saveexec_b64 s[16:17], s[16:17]
	v_mov_b32_e32 v66, v62
	s_xor_b64 exec, exec, s[16:17]
	s_cbranch_execz .LBB59_78
; %bb.77:                               ;   in Loop: Header=BB59_2 Depth=1
	ds_read_u8 v66, v63 offset:1
	s_waitcnt lgkmcnt(1)
	v_mov_b32_e32 v65, v61
.LBB59_78:                              ;   in Loop: Header=BB59_2 Depth=1
	s_or_b64 exec, exec, s[16:17]
	v_add_u32_e32 v68, 1, v64
	v_add_u32_e32 v67, 1, v63
	v_cndmask_b32_e64 v68, v68, v64, s[14:15]
	v_cndmask_b32_e64 v67, v63, v67, s[14:15]
	v_cmp_ge_i32_e64 s[18:19], v68, v20
	s_waitcnt lgkmcnt(0)
	v_cmp_lt_i16_sdwa s[20:21], sext(v66), sext(v65) src0_sel:BYTE_0 src1_sel:BYTE_0
	v_cmp_lt_i32_e64 s[16:17], v67, v21
	s_or_b64 s[18:19], s[18:19], s[20:21]
	s_and_b64 s[16:17], s[16:17], s[18:19]
	s_xor_b64 s[18:19], s[16:17], -1
                                        ; implicit-def: $vgpr69
	s_and_saveexec_b64 s[20:21], s[18:19]
	s_xor_b64 s[18:19], exec, s[20:21]
	s_cbranch_execz .LBB59_80
; %bb.79:                               ;   in Loop: Header=BB59_2 Depth=1
	ds_read_u8 v69, v68 offset:1
.LBB59_80:                              ;   in Loop: Header=BB59_2 Depth=1
	s_or_saveexec_b64 s[18:19], s[18:19]
	v_mov_b32_e32 v70, v66
	s_xor_b64 exec, exec, s[18:19]
	s_cbranch_execz .LBB59_82
; %bb.81:                               ;   in Loop: Header=BB59_2 Depth=1
	ds_read_u8 v70, v67 offset:1
	s_waitcnt lgkmcnt(1)
	v_mov_b32_e32 v69, v65
.LBB59_82:                              ;   in Loop: Header=BB59_2 Depth=1
	s_or_b64 exec, exec, s[18:19]
	v_add_u32_e32 v72, 1, v68
	v_add_u32_e32 v71, 1, v67
	v_cndmask_b32_e64 v72, v72, v68, s[16:17]
	v_cndmask_b32_e64 v71, v67, v71, s[16:17]
	v_cmp_ge_i32_e64 s[20:21], v72, v20
	s_waitcnt lgkmcnt(0)
	v_cmp_lt_i16_sdwa s[22:23], sext(v70), sext(v69) src0_sel:BYTE_0 src1_sel:BYTE_0
	v_cmp_lt_i32_e64 s[18:19], v71, v21
	s_or_b64 s[20:21], s[20:21], s[22:23]
	s_and_b64 s[18:19], s[18:19], s[20:21]
	s_xor_b64 s[20:21], s[18:19], -1
                                        ; implicit-def: $vgpr73
	s_and_saveexec_b64 s[22:23], s[20:21]
	s_xor_b64 s[20:21], exec, s[22:23]
	s_cbranch_execz .LBB59_84
; %bb.83:                               ;   in Loop: Header=BB59_2 Depth=1
	ds_read_u8 v73, v72 offset:1
.LBB59_84:                              ;   in Loop: Header=BB59_2 Depth=1
	s_or_saveexec_b64 s[20:21], s[20:21]
	v_mov_b32_e32 v74, v70
	s_xor_b64 exec, exec, s[20:21]
	s_cbranch_execz .LBB59_86
; %bb.85:                               ;   in Loop: Header=BB59_2 Depth=1
	ds_read_u8 v74, v71 offset:1
	s_waitcnt lgkmcnt(1)
	v_mov_b32_e32 v73, v69
.LBB59_86:                              ;   in Loop: Header=BB59_2 Depth=1
	s_or_b64 exec, exec, s[20:21]
	v_add_u32_e32 v76, 1, v72
	v_add_u32_e32 v75, 1, v71
	v_cndmask_b32_e64 v76, v76, v72, s[18:19]
	v_cndmask_b32_e64 v75, v71, v75, s[18:19]
	v_cmp_ge_i32_e64 s[22:23], v76, v20
	s_waitcnt lgkmcnt(0)
	v_cmp_lt_i16_sdwa s[24:25], sext(v74), sext(v73) src0_sel:BYTE_0 src1_sel:BYTE_0
	v_cmp_lt_i32_e64 s[20:21], v75, v21
	s_or_b64 s[22:23], s[22:23], s[24:25]
	s_and_b64 s[20:21], s[20:21], s[22:23]
	s_xor_b64 s[22:23], s[20:21], -1
                                        ; implicit-def: $vgpr77
	s_and_saveexec_b64 s[24:25], s[22:23]
	s_xor_b64 s[22:23], exec, s[24:25]
	s_cbranch_execz .LBB59_88
; %bb.87:                               ;   in Loop: Header=BB59_2 Depth=1
	ds_read_u8 v77, v76 offset:1
.LBB59_88:                              ;   in Loop: Header=BB59_2 Depth=1
	s_or_saveexec_b64 s[22:23], s[22:23]
	v_mov_b32_e32 v78, v74
	s_xor_b64 exec, exec, s[22:23]
	s_cbranch_execz .LBB59_90
; %bb.89:                               ;   in Loop: Header=BB59_2 Depth=1
	ds_read_u8 v78, v75 offset:1
	s_waitcnt lgkmcnt(1)
	v_mov_b32_e32 v77, v73
.LBB59_90:                              ;   in Loop: Header=BB59_2 Depth=1
	s_or_b64 exec, exec, s[22:23]
	v_add_u32_e32 v80, 1, v76
	v_add_u32_e32 v79, 1, v75
	v_cndmask_b32_e64 v80, v80, v76, s[20:21]
	v_cndmask_b32_e64 v79, v75, v79, s[20:21]
	v_cmp_ge_i32_e64 s[24:25], v80, v20
	s_waitcnt lgkmcnt(0)
	v_cmp_lt_i16_sdwa s[26:27], sext(v78), sext(v77) src0_sel:BYTE_0 src1_sel:BYTE_0
	v_cmp_lt_i32_e64 s[22:23], v79, v21
	s_or_b64 s[24:25], s[24:25], s[26:27]
	s_and_b64 s[22:23], s[22:23], s[24:25]
	s_xor_b64 s[24:25], s[22:23], -1
                                        ; implicit-def: $vgpr81
	s_and_saveexec_b64 s[26:27], s[24:25]
	s_xor_b64 s[24:25], exec, s[26:27]
	s_cbranch_execz .LBB59_92
; %bb.91:                               ;   in Loop: Header=BB59_2 Depth=1
	ds_read_u8 v81, v80 offset:1
.LBB59_92:                              ;   in Loop: Header=BB59_2 Depth=1
	s_or_saveexec_b64 s[24:25], s[24:25]
	v_mov_b32_e32 v82, v78
	s_xor_b64 exec, exec, s[24:25]
	s_cbranch_execz .LBB59_94
; %bb.93:                               ;   in Loop: Header=BB59_2 Depth=1
	ds_read_u8 v82, v79 offset:1
	s_waitcnt lgkmcnt(1)
	v_mov_b32_e32 v81, v77
.LBB59_94:                              ;   in Loop: Header=BB59_2 Depth=1
	s_or_b64 exec, exec, s[24:25]
	v_add_u32_e32 v85, 1, v80
	v_add_u32_e32 v83, 1, v79
	v_cndmask_b32_e64 v85, v85, v80, s[22:23]
	v_cndmask_b32_e64 v84, v79, v83, s[22:23]
	v_cmp_ge_i32_e64 s[26:27], v85, v20
	s_waitcnt lgkmcnt(0)
	v_cmp_lt_i16_sdwa s[28:29], sext(v82), sext(v81) src0_sel:BYTE_0 src1_sel:BYTE_0
	v_cmp_lt_i32_e64 s[24:25], v84, v21
	s_or_b64 s[26:27], s[26:27], s[28:29]
	s_and_b64 s[24:25], s[24:25], s[26:27]
	s_xor_b64 s[26:27], s[24:25], -1
                                        ; implicit-def: $vgpr83
	s_and_saveexec_b64 s[28:29], s[26:27]
	s_xor_b64 s[26:27], exec, s[28:29]
	s_cbranch_execz .LBB59_96
; %bb.95:                               ;   in Loop: Header=BB59_2 Depth=1
	ds_read_u8 v83, v85 offset:1
.LBB59_96:                              ;   in Loop: Header=BB59_2 Depth=1
	s_or_saveexec_b64 s[26:27], s[26:27]
	v_mov_b32_e32 v86, v82
	s_xor_b64 exec, exec, s[26:27]
	s_cbranch_execz .LBB59_98
; %bb.97:                               ;   in Loop: Header=BB59_2 Depth=1
	ds_read_u8 v86, v84 offset:1
	s_waitcnt lgkmcnt(1)
	v_mov_b32_e32 v83, v81
.LBB59_98:                              ;   in Loop: Header=BB59_2 Depth=1
	s_or_b64 exec, exec, s[26:27]
	v_add_u32_e32 v87, 1, v85
	v_cndmask_b32_e64 v81, v81, v82, s[24:25]
	v_add_u32_e32 v82, 1, v84
	v_cndmask_b32_e64 v87, v87, v85, s[24:25]
	v_cndmask_b32_e64 v82, v84, v82, s[24:25]
	;; [unrolled: 1-line block ×6, first 2 shown]
	v_cmp_ge_i32_e64 s[14:15], v87, v20
	s_waitcnt lgkmcnt(0)
	v_cmp_lt_i16_sdwa s[16:17], sext(v86), sext(v83) src0_sel:BYTE_0 src1_sel:BYTE_0
	v_lshlrev_b16_e32 v51, 8, v51
	v_cndmask_b32_e64 v59, v59, v60, s[12:13]
	v_cndmask_b32_e64 v57, v57, v58, s[12:13]
	v_cmp_lt_i32_e64 s[12:13], v82, v21
	s_or_b64 s[14:15], s[14:15], s[16:17]
	v_lshlrev_b16_e32 v56, 8, v56
	v_lshlrev_b16_e32 v53, 8, v53
	v_or_b32_sdwa v49, v49, v51 dst_sel:DWORD dst_unused:UNUSED_PAD src0_sel:BYTE_0 src1_sel:DWORD
	v_lshlrev_b16_e32 v51, 8, v52
	s_and_b64 s[12:13], s[12:13], s[14:15]
	v_or_b32_sdwa v54, v54, v56 dst_sel:DWORD dst_unused:UNUSED_PAD src0_sel:BYTE_0 src1_sel:DWORD
	v_or_b32_sdwa v53, v55, v53 dst_sel:WORD_1 dst_unused:UNUSED_PAD src0_sel:BYTE_0 src1_sel:DWORD
	v_or_b32_sdwa v50, v50, v51 dst_sel:WORD_1 dst_unused:UNUSED_PAD src0_sel:BYTE_0 src1_sel:DWORD
	v_cndmask_b32_e64 v58, v87, v82, s[12:13]
	v_or_b32_sdwa v53, v54, v53 dst_sel:DWORD dst_unused:UNUSED_PAD src0_sel:WORD_0 src1_sel:DWORD
	v_or_b32_sdwa v52, v49, v50 dst_sel:DWORD dst_unused:UNUSED_PAD src0_sel:WORD_0 src1_sel:DWORD
	v_cndmask_b32_e64 v84, v85, v84, s[24:25]
	v_cndmask_b32_e64 v77, v77, v78, s[22:23]
	;; [unrolled: 1-line block ×7, first 2 shown]
	s_barrier
	ds_write_b64 v3, v[52:53]
	s_waitcnt lgkmcnt(0)
	s_barrier
	ds_read_u8 v53, v58
	ds_read_u8 v49, v57
	;; [unrolled: 1-line block ×8, first 2 shown]
	v_lshlrev_b16_e32 v57, 8, v61
	v_lshlrev_b16_e32 v58, 8, v69
	v_cndmask_b32_e64 v60, v83, v86, s[12:13]
	v_or_b32_sdwa v57, v59, v57 dst_sel:DWORD dst_unused:UNUSED_PAD src0_sel:BYTE_0 src1_sel:DWORD
	v_or_b32_sdwa v58, v65, v58 dst_sel:WORD_1 dst_unused:UNUSED_PAD src0_sel:BYTE_0 src1_sel:DWORD
	v_lshlrev_b16_e32 v59, 8, v60
	v_or_b32_sdwa v58, v57, v58 dst_sel:DWORD dst_unused:UNUSED_PAD src0_sel:WORD_0 src1_sel:DWORD
	v_lshlrev_b16_e32 v57, 8, v77
	v_or_b32_sdwa v57, v73, v57 dst_sel:DWORD dst_unused:UNUSED_PAD src0_sel:BYTE_0 src1_sel:DWORD
	v_or_b32_sdwa v59, v81, v59 dst_sel:WORD_1 dst_unused:UNUSED_PAD src0_sel:BYTE_0 src1_sel:DWORD
	s_waitcnt lgkmcnt(0)
	v_or_b32_sdwa v59, v57, v59 dst_sel:DWORD dst_unused:UNUSED_PAD src0_sel:WORD_0 src1_sel:DWORD
	s_barrier
	ds_write_b64 v3, v[58:59]
	v_mov_b32_e32 v58, v41
	s_waitcnt lgkmcnt(0)
	s_barrier
	s_and_saveexec_b64 s[14:15], s[4:5]
	s_cbranch_execz .LBB59_102
; %bb.99:                               ;   in Loop: Header=BB59_2 Depth=1
	s_mov_b64 s[16:17], 0
	v_mov_b32_e32 v58, v41
	v_mov_b32_e32 v57, v36
.LBB59_100:                             ;   Parent Loop BB59_2 Depth=1
                                        ; =>  This Inner Loop Header: Depth=2
	v_sub_u32_e32 v59, v57, v58
	v_lshrrev_b32_e32 v60, 31, v59
	v_add_u32_e32 v59, v59, v60
	v_ashrrev_i32_e32 v59, 1, v59
	v_add_u32_e32 v59, v59, v58
	v_not_b32_e32 v61, v59
	v_add_u32_e32 v60, v10, v59
	v_add3_u32 v61, v11, v61, v22
	ds_read_i8 v60, v60
	ds_read_i8 v61, v61
	v_add_u32_e32 v62, 1, v59
	s_waitcnt lgkmcnt(0)
	v_cmp_lt_i16_e64 s[12:13], v61, v60
	s_nop 1
	v_cndmask_b32_e64 v57, v57, v59, s[12:13]
	v_cndmask_b32_e64 v58, v62, v58, s[12:13]
	v_cmp_ge_i32_e64 s[12:13], v58, v57
	s_or_b64 s[16:17], s[12:13], s[16:17]
	s_andn2_b64 exec, exec, s[16:17]
	s_cbranch_execnz .LBB59_100
; %bb.101:                              ;   in Loop: Header=BB59_2 Depth=1
	s_or_b64 exec, exec, s[16:17]
.LBB59_102:                             ;   in Loop: Header=BB59_2 Depth=1
	s_or_b64 exec, exec, s[14:15]
	v_add_u32_e32 v57, v58, v10
	v_sub_u32_e32 v58, v31, v58
	ds_read_u8 v59, v57
	ds_read_u8 v60, v58
	v_cmp_le_i32_e64 s[14:15], v22, v57
	v_cmp_gt_i32_e64 s[12:13], v23, v58
                                        ; implicit-def: $vgpr61
	s_waitcnt lgkmcnt(1)
	v_bfe_i32 v59, v59, 0, 8
	s_waitcnt lgkmcnt(0)
	v_bfe_i32 v60, v60, 0, 8
	v_cmp_lt_i16_e64 s[16:17], v60, v59
	s_or_b64 s[14:15], s[14:15], s[16:17]
	s_and_b64 s[12:13], s[12:13], s[14:15]
	s_xor_b64 s[14:15], s[12:13], -1
	s_and_saveexec_b64 s[16:17], s[14:15]
	s_xor_b64 s[14:15], exec, s[16:17]
	s_cbranch_execz .LBB59_104
; %bb.103:                              ;   in Loop: Header=BB59_2 Depth=1
	ds_read_u8 v61, v57 offset:1
.LBB59_104:                             ;   in Loop: Header=BB59_2 Depth=1
	s_or_saveexec_b64 s[14:15], s[14:15]
	v_mov_b32_e32 v62, v60
	s_xor_b64 exec, exec, s[14:15]
	s_cbranch_execz .LBB59_106
; %bb.105:                              ;   in Loop: Header=BB59_2 Depth=1
	ds_read_u8 v62, v58 offset:1
	s_waitcnt lgkmcnt(1)
	v_mov_b32_e32 v61, v59
.LBB59_106:                             ;   in Loop: Header=BB59_2 Depth=1
	s_or_b64 exec, exec, s[14:15]
	v_add_u32_e32 v64, 1, v57
	v_add_u32_e32 v63, 1, v58
	v_cndmask_b32_e64 v64, v64, v57, s[12:13]
	v_cndmask_b32_e64 v63, v58, v63, s[12:13]
	v_cmp_ge_i32_e64 s[16:17], v64, v22
	s_waitcnt lgkmcnt(0)
	v_cmp_lt_i16_sdwa s[18:19], sext(v62), sext(v61) src0_sel:BYTE_0 src1_sel:BYTE_0
	v_cmp_lt_i32_e64 s[14:15], v63, v23
	s_or_b64 s[16:17], s[16:17], s[18:19]
	s_and_b64 s[14:15], s[14:15], s[16:17]
	s_xor_b64 s[16:17], s[14:15], -1
                                        ; implicit-def: $vgpr65
	s_and_saveexec_b64 s[18:19], s[16:17]
	s_xor_b64 s[16:17], exec, s[18:19]
	s_cbranch_execz .LBB59_108
; %bb.107:                              ;   in Loop: Header=BB59_2 Depth=1
	ds_read_u8 v65, v64 offset:1
.LBB59_108:                             ;   in Loop: Header=BB59_2 Depth=1
	s_or_saveexec_b64 s[16:17], s[16:17]
	v_mov_b32_e32 v66, v62
	s_xor_b64 exec, exec, s[16:17]
	s_cbranch_execz .LBB59_110
; %bb.109:                              ;   in Loop: Header=BB59_2 Depth=1
	ds_read_u8 v66, v63 offset:1
	s_waitcnt lgkmcnt(1)
	v_mov_b32_e32 v65, v61
.LBB59_110:                             ;   in Loop: Header=BB59_2 Depth=1
	s_or_b64 exec, exec, s[16:17]
	v_add_u32_e32 v68, 1, v64
	v_add_u32_e32 v67, 1, v63
	v_cndmask_b32_e64 v68, v68, v64, s[14:15]
	v_cndmask_b32_e64 v67, v63, v67, s[14:15]
	v_cmp_ge_i32_e64 s[18:19], v68, v22
	s_waitcnt lgkmcnt(0)
	v_cmp_lt_i16_sdwa s[20:21], sext(v66), sext(v65) src0_sel:BYTE_0 src1_sel:BYTE_0
	v_cmp_lt_i32_e64 s[16:17], v67, v23
	s_or_b64 s[18:19], s[18:19], s[20:21]
	s_and_b64 s[16:17], s[16:17], s[18:19]
	s_xor_b64 s[18:19], s[16:17], -1
                                        ; implicit-def: $vgpr69
	s_and_saveexec_b64 s[20:21], s[18:19]
	s_xor_b64 s[18:19], exec, s[20:21]
	s_cbranch_execz .LBB59_112
; %bb.111:                              ;   in Loop: Header=BB59_2 Depth=1
	ds_read_u8 v69, v68 offset:1
.LBB59_112:                             ;   in Loop: Header=BB59_2 Depth=1
	s_or_saveexec_b64 s[18:19], s[18:19]
	v_mov_b32_e32 v70, v66
	s_xor_b64 exec, exec, s[18:19]
	s_cbranch_execz .LBB59_114
; %bb.113:                              ;   in Loop: Header=BB59_2 Depth=1
	ds_read_u8 v70, v67 offset:1
	s_waitcnt lgkmcnt(1)
	v_mov_b32_e32 v69, v65
.LBB59_114:                             ;   in Loop: Header=BB59_2 Depth=1
	s_or_b64 exec, exec, s[18:19]
	v_add_u32_e32 v72, 1, v68
	v_add_u32_e32 v71, 1, v67
	v_cndmask_b32_e64 v72, v72, v68, s[16:17]
	v_cndmask_b32_e64 v71, v67, v71, s[16:17]
	v_cmp_ge_i32_e64 s[20:21], v72, v22
	s_waitcnt lgkmcnt(0)
	v_cmp_lt_i16_sdwa s[22:23], sext(v70), sext(v69) src0_sel:BYTE_0 src1_sel:BYTE_0
	v_cmp_lt_i32_e64 s[18:19], v71, v23
	s_or_b64 s[20:21], s[20:21], s[22:23]
	s_and_b64 s[18:19], s[18:19], s[20:21]
	s_xor_b64 s[20:21], s[18:19], -1
                                        ; implicit-def: $vgpr73
	s_and_saveexec_b64 s[22:23], s[20:21]
	s_xor_b64 s[20:21], exec, s[22:23]
	s_cbranch_execz .LBB59_116
; %bb.115:                              ;   in Loop: Header=BB59_2 Depth=1
	ds_read_u8 v73, v72 offset:1
.LBB59_116:                             ;   in Loop: Header=BB59_2 Depth=1
	s_or_saveexec_b64 s[20:21], s[20:21]
	v_mov_b32_e32 v74, v70
	s_xor_b64 exec, exec, s[20:21]
	s_cbranch_execz .LBB59_118
; %bb.117:                              ;   in Loop: Header=BB59_2 Depth=1
	ds_read_u8 v74, v71 offset:1
	s_waitcnt lgkmcnt(1)
	v_mov_b32_e32 v73, v69
.LBB59_118:                             ;   in Loop: Header=BB59_2 Depth=1
	s_or_b64 exec, exec, s[20:21]
	v_add_u32_e32 v76, 1, v72
	v_add_u32_e32 v75, 1, v71
	v_cndmask_b32_e64 v76, v76, v72, s[18:19]
	v_cndmask_b32_e64 v75, v71, v75, s[18:19]
	v_cmp_ge_i32_e64 s[22:23], v76, v22
	s_waitcnt lgkmcnt(0)
	v_cmp_lt_i16_sdwa s[24:25], sext(v74), sext(v73) src0_sel:BYTE_0 src1_sel:BYTE_0
	v_cmp_lt_i32_e64 s[20:21], v75, v23
	s_or_b64 s[22:23], s[22:23], s[24:25]
	s_and_b64 s[20:21], s[20:21], s[22:23]
	s_xor_b64 s[22:23], s[20:21], -1
                                        ; implicit-def: $vgpr77
	s_and_saveexec_b64 s[24:25], s[22:23]
	s_xor_b64 s[22:23], exec, s[24:25]
	s_cbranch_execz .LBB59_120
; %bb.119:                              ;   in Loop: Header=BB59_2 Depth=1
	ds_read_u8 v77, v76 offset:1
.LBB59_120:                             ;   in Loop: Header=BB59_2 Depth=1
	s_or_saveexec_b64 s[22:23], s[22:23]
	v_mov_b32_e32 v78, v74
	s_xor_b64 exec, exec, s[22:23]
	s_cbranch_execz .LBB59_122
; %bb.121:                              ;   in Loop: Header=BB59_2 Depth=1
	ds_read_u8 v78, v75 offset:1
	s_waitcnt lgkmcnt(1)
	v_mov_b32_e32 v77, v73
.LBB59_122:                             ;   in Loop: Header=BB59_2 Depth=1
	s_or_b64 exec, exec, s[22:23]
	v_add_u32_e32 v80, 1, v76
	v_add_u32_e32 v79, 1, v75
	v_cndmask_b32_e64 v80, v80, v76, s[20:21]
	v_cndmask_b32_e64 v79, v75, v79, s[20:21]
	v_cmp_ge_i32_e64 s[24:25], v80, v22
	s_waitcnt lgkmcnt(0)
	v_cmp_lt_i16_sdwa s[26:27], sext(v78), sext(v77) src0_sel:BYTE_0 src1_sel:BYTE_0
	v_cmp_lt_i32_e64 s[22:23], v79, v23
	s_or_b64 s[24:25], s[24:25], s[26:27]
	s_and_b64 s[22:23], s[22:23], s[24:25]
	s_xor_b64 s[24:25], s[22:23], -1
                                        ; implicit-def: $vgpr81
	s_and_saveexec_b64 s[26:27], s[24:25]
	s_xor_b64 s[24:25], exec, s[26:27]
	s_cbranch_execz .LBB59_124
; %bb.123:                              ;   in Loop: Header=BB59_2 Depth=1
	ds_read_u8 v81, v80 offset:1
.LBB59_124:                             ;   in Loop: Header=BB59_2 Depth=1
	s_or_saveexec_b64 s[24:25], s[24:25]
	v_mov_b32_e32 v82, v78
	s_xor_b64 exec, exec, s[24:25]
	s_cbranch_execz .LBB59_126
; %bb.125:                              ;   in Loop: Header=BB59_2 Depth=1
	ds_read_u8 v82, v79 offset:1
	s_waitcnt lgkmcnt(1)
	v_mov_b32_e32 v81, v77
.LBB59_126:                             ;   in Loop: Header=BB59_2 Depth=1
	s_or_b64 exec, exec, s[24:25]
	v_add_u32_e32 v85, 1, v80
	v_add_u32_e32 v83, 1, v79
	v_cndmask_b32_e64 v85, v85, v80, s[22:23]
	v_cndmask_b32_e64 v84, v79, v83, s[22:23]
	v_cmp_ge_i32_e64 s[26:27], v85, v22
	s_waitcnt lgkmcnt(0)
	v_cmp_lt_i16_sdwa s[28:29], sext(v82), sext(v81) src0_sel:BYTE_0 src1_sel:BYTE_0
	v_cmp_lt_i32_e64 s[24:25], v84, v23
	s_or_b64 s[26:27], s[26:27], s[28:29]
	s_and_b64 s[24:25], s[24:25], s[26:27]
	s_xor_b64 s[26:27], s[24:25], -1
                                        ; implicit-def: $vgpr83
	s_and_saveexec_b64 s[28:29], s[26:27]
	s_xor_b64 s[26:27], exec, s[28:29]
	s_cbranch_execz .LBB59_128
; %bb.127:                              ;   in Loop: Header=BB59_2 Depth=1
	ds_read_u8 v83, v85 offset:1
.LBB59_128:                             ;   in Loop: Header=BB59_2 Depth=1
	s_or_saveexec_b64 s[26:27], s[26:27]
	v_mov_b32_e32 v86, v82
	s_xor_b64 exec, exec, s[26:27]
	s_cbranch_execz .LBB59_130
; %bb.129:                              ;   in Loop: Header=BB59_2 Depth=1
	ds_read_u8 v86, v84 offset:1
	s_waitcnt lgkmcnt(1)
	v_mov_b32_e32 v83, v81
.LBB59_130:                             ;   in Loop: Header=BB59_2 Depth=1
	s_or_b64 exec, exec, s[26:27]
	v_add_u32_e32 v87, 1, v85
	v_cndmask_b32_e64 v81, v81, v82, s[24:25]
	v_add_u32_e32 v82, 1, v84
	v_cndmask_b32_e64 v87, v87, v85, s[24:25]
	v_cndmask_b32_e64 v82, v84, v82, s[24:25]
	;; [unrolled: 1-line block ×6, first 2 shown]
	v_cmp_ge_i32_e64 s[14:15], v87, v22
	s_waitcnt lgkmcnt(0)
	v_cmp_lt_i16_sdwa s[16:17], sext(v86), sext(v83) src0_sel:BYTE_0 src1_sel:BYTE_0
	v_lshlrev_b16_e32 v51, 8, v51
	v_cndmask_b32_e64 v59, v59, v60, s[12:13]
	v_cndmask_b32_e64 v57, v57, v58, s[12:13]
	v_cmp_lt_i32_e64 s[12:13], v82, v23
	s_or_b64 s[14:15], s[14:15], s[16:17]
	v_lshlrev_b16_e32 v56, 8, v56
	v_lshlrev_b16_e32 v53, 8, v53
	v_or_b32_sdwa v49, v49, v51 dst_sel:DWORD dst_unused:UNUSED_PAD src0_sel:BYTE_0 src1_sel:DWORD
	v_lshlrev_b16_e32 v51, 8, v52
	s_and_b64 s[12:13], s[12:13], s[14:15]
	v_or_b32_sdwa v54, v54, v56 dst_sel:DWORD dst_unused:UNUSED_PAD src0_sel:BYTE_0 src1_sel:DWORD
	v_or_b32_sdwa v53, v55, v53 dst_sel:WORD_1 dst_unused:UNUSED_PAD src0_sel:BYTE_0 src1_sel:DWORD
	v_or_b32_sdwa v50, v50, v51 dst_sel:WORD_1 dst_unused:UNUSED_PAD src0_sel:BYTE_0 src1_sel:DWORD
	v_cndmask_b32_e64 v58, v87, v82, s[12:13]
	v_or_b32_sdwa v53, v54, v53 dst_sel:DWORD dst_unused:UNUSED_PAD src0_sel:WORD_0 src1_sel:DWORD
	v_or_b32_sdwa v52, v49, v50 dst_sel:DWORD dst_unused:UNUSED_PAD src0_sel:WORD_0 src1_sel:DWORD
	v_cndmask_b32_e64 v84, v85, v84, s[24:25]
	v_cndmask_b32_e64 v77, v77, v78, s[22:23]
	;; [unrolled: 1-line block ×7, first 2 shown]
	s_barrier
	ds_write_b64 v3, v[52:53]
	s_waitcnt lgkmcnt(0)
	s_barrier
	ds_read_u8 v53, v58
	ds_read_u8 v49, v57
	;; [unrolled: 1-line block ×8, first 2 shown]
	v_lshlrev_b16_e32 v57, 8, v61
	v_lshlrev_b16_e32 v58, 8, v69
	v_cndmask_b32_e64 v60, v83, v86, s[12:13]
	v_or_b32_sdwa v57, v59, v57 dst_sel:DWORD dst_unused:UNUSED_PAD src0_sel:BYTE_0 src1_sel:DWORD
	v_or_b32_sdwa v58, v65, v58 dst_sel:WORD_1 dst_unused:UNUSED_PAD src0_sel:BYTE_0 src1_sel:DWORD
	v_lshlrev_b16_e32 v59, 8, v60
	v_or_b32_sdwa v58, v57, v58 dst_sel:DWORD dst_unused:UNUSED_PAD src0_sel:WORD_0 src1_sel:DWORD
	v_lshlrev_b16_e32 v57, 8, v77
	v_or_b32_sdwa v57, v73, v57 dst_sel:DWORD dst_unused:UNUSED_PAD src0_sel:BYTE_0 src1_sel:DWORD
	v_or_b32_sdwa v59, v81, v59 dst_sel:WORD_1 dst_unused:UNUSED_PAD src0_sel:BYTE_0 src1_sel:DWORD
	s_waitcnt lgkmcnt(0)
	v_or_b32_sdwa v59, v57, v59 dst_sel:DWORD dst_unused:UNUSED_PAD src0_sel:WORD_0 src1_sel:DWORD
	s_barrier
	ds_write_b64 v3, v[58:59]
	v_mov_b32_e32 v58, v42
	s_waitcnt lgkmcnt(0)
	s_barrier
	s_and_saveexec_b64 s[14:15], s[6:7]
	s_cbranch_execz .LBB59_134
; %bb.131:                              ;   in Loop: Header=BB59_2 Depth=1
	s_mov_b64 s[16:17], 0
	v_mov_b32_e32 v58, v42
	v_mov_b32_e32 v57, v37
.LBB59_132:                             ;   Parent Loop BB59_2 Depth=1
                                        ; =>  This Inner Loop Header: Depth=2
	v_sub_u32_e32 v59, v57, v58
	v_lshrrev_b32_e32 v60, 31, v59
	v_add_u32_e32 v59, v59, v60
	v_ashrrev_i32_e32 v59, 1, v59
	v_add_u32_e32 v59, v59, v58
	v_not_b32_e32 v61, v59
	v_add_u32_e32 v60, v12, v59
	v_add3_u32 v61, v13, v61, v24
	ds_read_i8 v60, v60
	ds_read_i8 v61, v61
	v_add_u32_e32 v62, 1, v59
	s_waitcnt lgkmcnt(0)
	v_cmp_lt_i16_e64 s[12:13], v61, v60
	s_nop 1
	v_cndmask_b32_e64 v57, v57, v59, s[12:13]
	v_cndmask_b32_e64 v58, v62, v58, s[12:13]
	v_cmp_ge_i32_e64 s[12:13], v58, v57
	s_or_b64 s[16:17], s[12:13], s[16:17]
	s_andn2_b64 exec, exec, s[16:17]
	s_cbranch_execnz .LBB59_132
; %bb.133:                              ;   in Loop: Header=BB59_2 Depth=1
	s_or_b64 exec, exec, s[16:17]
.LBB59_134:                             ;   in Loop: Header=BB59_2 Depth=1
	s_or_b64 exec, exec, s[14:15]
	v_add_u32_e32 v57, v58, v12
	v_sub_u32_e32 v58, v32, v58
	ds_read_u8 v59, v57
	ds_read_u8 v60, v58
	v_cmp_le_i32_e64 s[14:15], v24, v57
	v_cmp_gt_i32_e64 s[12:13], v25, v58
                                        ; implicit-def: $vgpr61
	s_waitcnt lgkmcnt(1)
	v_bfe_i32 v59, v59, 0, 8
	s_waitcnt lgkmcnt(0)
	v_bfe_i32 v60, v60, 0, 8
	v_cmp_lt_i16_e64 s[16:17], v60, v59
	s_or_b64 s[14:15], s[14:15], s[16:17]
	s_and_b64 s[12:13], s[12:13], s[14:15]
	s_xor_b64 s[14:15], s[12:13], -1
	s_and_saveexec_b64 s[16:17], s[14:15]
	s_xor_b64 s[14:15], exec, s[16:17]
	s_cbranch_execz .LBB59_136
; %bb.135:                              ;   in Loop: Header=BB59_2 Depth=1
	ds_read_u8 v61, v57 offset:1
.LBB59_136:                             ;   in Loop: Header=BB59_2 Depth=1
	s_or_saveexec_b64 s[14:15], s[14:15]
	v_mov_b32_e32 v62, v60
	s_xor_b64 exec, exec, s[14:15]
	s_cbranch_execz .LBB59_138
; %bb.137:                              ;   in Loop: Header=BB59_2 Depth=1
	ds_read_u8 v62, v58 offset:1
	s_waitcnt lgkmcnt(1)
	v_mov_b32_e32 v61, v59
.LBB59_138:                             ;   in Loop: Header=BB59_2 Depth=1
	s_or_b64 exec, exec, s[14:15]
	v_add_u32_e32 v64, 1, v57
	v_add_u32_e32 v63, 1, v58
	v_cndmask_b32_e64 v64, v64, v57, s[12:13]
	v_cndmask_b32_e64 v63, v58, v63, s[12:13]
	v_cmp_ge_i32_e64 s[16:17], v64, v24
	s_waitcnt lgkmcnt(0)
	v_cmp_lt_i16_sdwa s[18:19], sext(v62), sext(v61) src0_sel:BYTE_0 src1_sel:BYTE_0
	v_cmp_lt_i32_e64 s[14:15], v63, v25
	s_or_b64 s[16:17], s[16:17], s[18:19]
	s_and_b64 s[14:15], s[14:15], s[16:17]
	s_xor_b64 s[16:17], s[14:15], -1
                                        ; implicit-def: $vgpr65
	s_and_saveexec_b64 s[18:19], s[16:17]
	s_xor_b64 s[16:17], exec, s[18:19]
	s_cbranch_execz .LBB59_140
; %bb.139:                              ;   in Loop: Header=BB59_2 Depth=1
	ds_read_u8 v65, v64 offset:1
.LBB59_140:                             ;   in Loop: Header=BB59_2 Depth=1
	s_or_saveexec_b64 s[16:17], s[16:17]
	v_mov_b32_e32 v66, v62
	s_xor_b64 exec, exec, s[16:17]
	s_cbranch_execz .LBB59_142
; %bb.141:                              ;   in Loop: Header=BB59_2 Depth=1
	ds_read_u8 v66, v63 offset:1
	s_waitcnt lgkmcnt(1)
	v_mov_b32_e32 v65, v61
.LBB59_142:                             ;   in Loop: Header=BB59_2 Depth=1
	s_or_b64 exec, exec, s[16:17]
	v_add_u32_e32 v68, 1, v64
	v_add_u32_e32 v67, 1, v63
	v_cndmask_b32_e64 v68, v68, v64, s[14:15]
	v_cndmask_b32_e64 v67, v63, v67, s[14:15]
	v_cmp_ge_i32_e64 s[18:19], v68, v24
	s_waitcnt lgkmcnt(0)
	v_cmp_lt_i16_sdwa s[20:21], sext(v66), sext(v65) src0_sel:BYTE_0 src1_sel:BYTE_0
	v_cmp_lt_i32_e64 s[16:17], v67, v25
	s_or_b64 s[18:19], s[18:19], s[20:21]
	s_and_b64 s[16:17], s[16:17], s[18:19]
	s_xor_b64 s[18:19], s[16:17], -1
                                        ; implicit-def: $vgpr69
	s_and_saveexec_b64 s[20:21], s[18:19]
	s_xor_b64 s[18:19], exec, s[20:21]
	s_cbranch_execz .LBB59_144
; %bb.143:                              ;   in Loop: Header=BB59_2 Depth=1
	ds_read_u8 v69, v68 offset:1
.LBB59_144:                             ;   in Loop: Header=BB59_2 Depth=1
	s_or_saveexec_b64 s[18:19], s[18:19]
	v_mov_b32_e32 v70, v66
	s_xor_b64 exec, exec, s[18:19]
	s_cbranch_execz .LBB59_146
; %bb.145:                              ;   in Loop: Header=BB59_2 Depth=1
	ds_read_u8 v70, v67 offset:1
	s_waitcnt lgkmcnt(1)
	v_mov_b32_e32 v69, v65
.LBB59_146:                             ;   in Loop: Header=BB59_2 Depth=1
	s_or_b64 exec, exec, s[18:19]
	v_add_u32_e32 v72, 1, v68
	v_add_u32_e32 v71, 1, v67
	v_cndmask_b32_e64 v72, v72, v68, s[16:17]
	v_cndmask_b32_e64 v71, v67, v71, s[16:17]
	v_cmp_ge_i32_e64 s[20:21], v72, v24
	s_waitcnt lgkmcnt(0)
	v_cmp_lt_i16_sdwa s[22:23], sext(v70), sext(v69) src0_sel:BYTE_0 src1_sel:BYTE_0
	v_cmp_lt_i32_e64 s[18:19], v71, v25
	s_or_b64 s[20:21], s[20:21], s[22:23]
	s_and_b64 s[18:19], s[18:19], s[20:21]
	s_xor_b64 s[20:21], s[18:19], -1
                                        ; implicit-def: $vgpr73
	s_and_saveexec_b64 s[22:23], s[20:21]
	s_xor_b64 s[20:21], exec, s[22:23]
	s_cbranch_execz .LBB59_148
; %bb.147:                              ;   in Loop: Header=BB59_2 Depth=1
	ds_read_u8 v73, v72 offset:1
.LBB59_148:                             ;   in Loop: Header=BB59_2 Depth=1
	s_or_saveexec_b64 s[20:21], s[20:21]
	v_mov_b32_e32 v74, v70
	s_xor_b64 exec, exec, s[20:21]
	s_cbranch_execz .LBB59_150
; %bb.149:                              ;   in Loop: Header=BB59_2 Depth=1
	ds_read_u8 v74, v71 offset:1
	s_waitcnt lgkmcnt(1)
	v_mov_b32_e32 v73, v69
.LBB59_150:                             ;   in Loop: Header=BB59_2 Depth=1
	s_or_b64 exec, exec, s[20:21]
	v_add_u32_e32 v76, 1, v72
	v_add_u32_e32 v75, 1, v71
	v_cndmask_b32_e64 v76, v76, v72, s[18:19]
	v_cndmask_b32_e64 v75, v71, v75, s[18:19]
	v_cmp_ge_i32_e64 s[22:23], v76, v24
	s_waitcnt lgkmcnt(0)
	v_cmp_lt_i16_sdwa s[24:25], sext(v74), sext(v73) src0_sel:BYTE_0 src1_sel:BYTE_0
	v_cmp_lt_i32_e64 s[20:21], v75, v25
	s_or_b64 s[22:23], s[22:23], s[24:25]
	s_and_b64 s[20:21], s[20:21], s[22:23]
	s_xor_b64 s[22:23], s[20:21], -1
                                        ; implicit-def: $vgpr77
	s_and_saveexec_b64 s[24:25], s[22:23]
	s_xor_b64 s[22:23], exec, s[24:25]
	s_cbranch_execz .LBB59_152
; %bb.151:                              ;   in Loop: Header=BB59_2 Depth=1
	ds_read_u8 v77, v76 offset:1
.LBB59_152:                             ;   in Loop: Header=BB59_2 Depth=1
	s_or_saveexec_b64 s[22:23], s[22:23]
	v_mov_b32_e32 v78, v74
	s_xor_b64 exec, exec, s[22:23]
	s_cbranch_execz .LBB59_154
; %bb.153:                              ;   in Loop: Header=BB59_2 Depth=1
	ds_read_u8 v78, v75 offset:1
	s_waitcnt lgkmcnt(1)
	v_mov_b32_e32 v77, v73
.LBB59_154:                             ;   in Loop: Header=BB59_2 Depth=1
	s_or_b64 exec, exec, s[22:23]
	v_add_u32_e32 v80, 1, v76
	v_add_u32_e32 v79, 1, v75
	v_cndmask_b32_e64 v80, v80, v76, s[20:21]
	v_cndmask_b32_e64 v79, v75, v79, s[20:21]
	v_cmp_ge_i32_e64 s[24:25], v80, v24
	s_waitcnt lgkmcnt(0)
	v_cmp_lt_i16_sdwa s[26:27], sext(v78), sext(v77) src0_sel:BYTE_0 src1_sel:BYTE_0
	v_cmp_lt_i32_e64 s[22:23], v79, v25
	s_or_b64 s[24:25], s[24:25], s[26:27]
	s_and_b64 s[22:23], s[22:23], s[24:25]
	s_xor_b64 s[24:25], s[22:23], -1
                                        ; implicit-def: $vgpr81
	s_and_saveexec_b64 s[26:27], s[24:25]
	s_xor_b64 s[24:25], exec, s[26:27]
	s_cbranch_execz .LBB59_156
; %bb.155:                              ;   in Loop: Header=BB59_2 Depth=1
	ds_read_u8 v81, v80 offset:1
.LBB59_156:                             ;   in Loop: Header=BB59_2 Depth=1
	s_or_saveexec_b64 s[24:25], s[24:25]
	v_mov_b32_e32 v82, v78
	s_xor_b64 exec, exec, s[24:25]
	s_cbranch_execz .LBB59_158
; %bb.157:                              ;   in Loop: Header=BB59_2 Depth=1
	ds_read_u8 v82, v79 offset:1
	s_waitcnt lgkmcnt(1)
	v_mov_b32_e32 v81, v77
.LBB59_158:                             ;   in Loop: Header=BB59_2 Depth=1
	s_or_b64 exec, exec, s[24:25]
	v_add_u32_e32 v85, 1, v80
	v_add_u32_e32 v83, 1, v79
	v_cndmask_b32_e64 v85, v85, v80, s[22:23]
	v_cndmask_b32_e64 v84, v79, v83, s[22:23]
	v_cmp_ge_i32_e64 s[26:27], v85, v24
	s_waitcnt lgkmcnt(0)
	v_cmp_lt_i16_sdwa s[28:29], sext(v82), sext(v81) src0_sel:BYTE_0 src1_sel:BYTE_0
	v_cmp_lt_i32_e64 s[24:25], v84, v25
	s_or_b64 s[26:27], s[26:27], s[28:29]
	s_and_b64 s[24:25], s[24:25], s[26:27]
	s_xor_b64 s[26:27], s[24:25], -1
                                        ; implicit-def: $vgpr83
	s_and_saveexec_b64 s[28:29], s[26:27]
	s_xor_b64 s[26:27], exec, s[28:29]
	s_cbranch_execz .LBB59_160
; %bb.159:                              ;   in Loop: Header=BB59_2 Depth=1
	ds_read_u8 v83, v85 offset:1
.LBB59_160:                             ;   in Loop: Header=BB59_2 Depth=1
	s_or_saveexec_b64 s[26:27], s[26:27]
	v_mov_b32_e32 v86, v82
	s_xor_b64 exec, exec, s[26:27]
	s_cbranch_execz .LBB59_162
; %bb.161:                              ;   in Loop: Header=BB59_2 Depth=1
	ds_read_u8 v86, v84 offset:1
	s_waitcnt lgkmcnt(1)
	v_mov_b32_e32 v83, v81
.LBB59_162:                             ;   in Loop: Header=BB59_2 Depth=1
	s_or_b64 exec, exec, s[26:27]
	v_add_u32_e32 v87, 1, v85
	v_cndmask_b32_e64 v81, v81, v82, s[24:25]
	v_add_u32_e32 v82, 1, v84
	v_cndmask_b32_e64 v87, v87, v85, s[24:25]
	v_cndmask_b32_e64 v82, v84, v82, s[24:25]
	;; [unrolled: 1-line block ×6, first 2 shown]
	v_cmp_ge_i32_e64 s[14:15], v87, v24
	s_waitcnt lgkmcnt(0)
	v_cmp_lt_i16_sdwa s[16:17], sext(v86), sext(v83) src0_sel:BYTE_0 src1_sel:BYTE_0
	v_lshlrev_b16_e32 v51, 8, v51
	v_cndmask_b32_e64 v59, v59, v60, s[12:13]
	v_cndmask_b32_e64 v57, v57, v58, s[12:13]
	v_cmp_lt_i32_e64 s[12:13], v82, v25
	s_or_b64 s[14:15], s[14:15], s[16:17]
	v_lshlrev_b16_e32 v56, 8, v56
	v_lshlrev_b16_e32 v53, 8, v53
	v_or_b32_sdwa v49, v49, v51 dst_sel:DWORD dst_unused:UNUSED_PAD src0_sel:BYTE_0 src1_sel:DWORD
	v_lshlrev_b16_e32 v51, 8, v52
	s_and_b64 s[12:13], s[12:13], s[14:15]
	v_or_b32_sdwa v54, v54, v56 dst_sel:DWORD dst_unused:UNUSED_PAD src0_sel:BYTE_0 src1_sel:DWORD
	v_or_b32_sdwa v53, v55, v53 dst_sel:WORD_1 dst_unused:UNUSED_PAD src0_sel:BYTE_0 src1_sel:DWORD
	v_or_b32_sdwa v50, v50, v51 dst_sel:WORD_1 dst_unused:UNUSED_PAD src0_sel:BYTE_0 src1_sel:DWORD
	v_cndmask_b32_e64 v58, v87, v82, s[12:13]
	v_or_b32_sdwa v53, v54, v53 dst_sel:DWORD dst_unused:UNUSED_PAD src0_sel:WORD_0 src1_sel:DWORD
	v_or_b32_sdwa v52, v49, v50 dst_sel:DWORD dst_unused:UNUSED_PAD src0_sel:WORD_0 src1_sel:DWORD
	v_cndmask_b32_e64 v84, v85, v84, s[24:25]
	v_cndmask_b32_e64 v77, v77, v78, s[22:23]
	;; [unrolled: 1-line block ×7, first 2 shown]
	s_barrier
	ds_write_b64 v3, v[52:53]
	s_waitcnt lgkmcnt(0)
	s_barrier
	ds_read_u8 v53, v58
	ds_read_u8 v49, v57
	;; [unrolled: 1-line block ×8, first 2 shown]
	v_lshlrev_b16_e32 v57, 8, v61
	v_lshlrev_b16_e32 v58, 8, v69
	v_cndmask_b32_e64 v60, v83, v86, s[12:13]
	v_or_b32_sdwa v57, v59, v57 dst_sel:DWORD dst_unused:UNUSED_PAD src0_sel:BYTE_0 src1_sel:DWORD
	v_or_b32_sdwa v58, v65, v58 dst_sel:WORD_1 dst_unused:UNUSED_PAD src0_sel:BYTE_0 src1_sel:DWORD
	v_lshlrev_b16_e32 v59, 8, v60
	v_or_b32_sdwa v58, v57, v58 dst_sel:DWORD dst_unused:UNUSED_PAD src0_sel:WORD_0 src1_sel:DWORD
	v_lshlrev_b16_e32 v57, 8, v77
	v_or_b32_sdwa v57, v73, v57 dst_sel:DWORD dst_unused:UNUSED_PAD src0_sel:BYTE_0 src1_sel:DWORD
	v_or_b32_sdwa v59, v81, v59 dst_sel:WORD_1 dst_unused:UNUSED_PAD src0_sel:BYTE_0 src1_sel:DWORD
	s_waitcnt lgkmcnt(0)
	v_or_b32_sdwa v59, v57, v59 dst_sel:DWORD dst_unused:UNUSED_PAD src0_sel:WORD_0 src1_sel:DWORD
	s_barrier
	ds_write_b64 v3, v[58:59]
	v_mov_b32_e32 v58, v43
	s_waitcnt lgkmcnt(0)
	s_barrier
	s_and_saveexec_b64 s[14:15], s[8:9]
	s_cbranch_execz .LBB59_166
; %bb.163:                              ;   in Loop: Header=BB59_2 Depth=1
	s_mov_b64 s[16:17], 0
	v_mov_b32_e32 v58, v43
	v_mov_b32_e32 v57, v44
.LBB59_164:                             ;   Parent Loop BB59_2 Depth=1
                                        ; =>  This Inner Loop Header: Depth=2
	v_sub_u32_e32 v59, v57, v58
	v_lshrrev_b32_e32 v60, 31, v59
	v_add_u32_e32 v59, v59, v60
	v_ashrrev_i32_e32 v59, 1, v59
	v_add_u32_e32 v59, v59, v58
	v_not_b32_e32 v61, v59
	v_add_u32_e32 v60, v14, v59
	v_add3_u32 v61, v15, v61, v26
	ds_read_i8 v60, v60
	ds_read_i8 v61, v61
	v_add_u32_e32 v62, 1, v59
	s_waitcnt lgkmcnt(0)
	v_cmp_lt_i16_e64 s[12:13], v61, v60
	s_nop 1
	v_cndmask_b32_e64 v57, v57, v59, s[12:13]
	v_cndmask_b32_e64 v58, v62, v58, s[12:13]
	v_cmp_ge_i32_e64 s[12:13], v58, v57
	s_or_b64 s[16:17], s[12:13], s[16:17]
	s_andn2_b64 exec, exec, s[16:17]
	s_cbranch_execnz .LBB59_164
; %bb.165:                              ;   in Loop: Header=BB59_2 Depth=1
	s_or_b64 exec, exec, s[16:17]
.LBB59_166:                             ;   in Loop: Header=BB59_2 Depth=1
	s_or_b64 exec, exec, s[14:15]
	v_add_u32_e32 v57, v58, v14
	v_sub_u32_e32 v58, v45, v58
	ds_read_u8 v59, v57
	ds_read_u8 v60, v58
	v_cmp_le_i32_e64 s[14:15], v26, v57
	v_cmp_gt_i32_e64 s[12:13], v27, v58
                                        ; implicit-def: $vgpr61
	s_waitcnt lgkmcnt(1)
	v_bfe_i32 v59, v59, 0, 8
	s_waitcnt lgkmcnt(0)
	v_bfe_i32 v60, v60, 0, 8
	v_cmp_lt_i16_e64 s[16:17], v60, v59
	s_or_b64 s[14:15], s[14:15], s[16:17]
	s_and_b64 s[12:13], s[12:13], s[14:15]
	s_xor_b64 s[14:15], s[12:13], -1
	s_and_saveexec_b64 s[16:17], s[14:15]
	s_xor_b64 s[14:15], exec, s[16:17]
	s_cbranch_execz .LBB59_168
; %bb.167:                              ;   in Loop: Header=BB59_2 Depth=1
	ds_read_u8 v61, v57 offset:1
.LBB59_168:                             ;   in Loop: Header=BB59_2 Depth=1
	s_or_saveexec_b64 s[14:15], s[14:15]
	v_mov_b32_e32 v62, v60
	s_xor_b64 exec, exec, s[14:15]
	s_cbranch_execz .LBB59_170
; %bb.169:                              ;   in Loop: Header=BB59_2 Depth=1
	ds_read_u8 v62, v58 offset:1
	s_waitcnt lgkmcnt(1)
	v_mov_b32_e32 v61, v59
.LBB59_170:                             ;   in Loop: Header=BB59_2 Depth=1
	s_or_b64 exec, exec, s[14:15]
	v_add_u32_e32 v64, 1, v57
	v_add_u32_e32 v63, 1, v58
	v_cndmask_b32_e64 v64, v64, v57, s[12:13]
	v_cndmask_b32_e64 v63, v58, v63, s[12:13]
	v_cmp_ge_i32_e64 s[16:17], v64, v26
	s_waitcnt lgkmcnt(0)
	v_cmp_lt_i16_sdwa s[18:19], sext(v62), sext(v61) src0_sel:BYTE_0 src1_sel:BYTE_0
	v_cmp_lt_i32_e64 s[14:15], v63, v27
	s_or_b64 s[16:17], s[16:17], s[18:19]
	s_and_b64 s[14:15], s[14:15], s[16:17]
	s_xor_b64 s[16:17], s[14:15], -1
                                        ; implicit-def: $vgpr65
	s_and_saveexec_b64 s[18:19], s[16:17]
	s_xor_b64 s[16:17], exec, s[18:19]
	s_cbranch_execz .LBB59_172
; %bb.171:                              ;   in Loop: Header=BB59_2 Depth=1
	ds_read_u8 v65, v64 offset:1
.LBB59_172:                             ;   in Loop: Header=BB59_2 Depth=1
	s_or_saveexec_b64 s[16:17], s[16:17]
	v_mov_b32_e32 v66, v62
	s_xor_b64 exec, exec, s[16:17]
	s_cbranch_execz .LBB59_174
; %bb.173:                              ;   in Loop: Header=BB59_2 Depth=1
	ds_read_u8 v66, v63 offset:1
	s_waitcnt lgkmcnt(1)
	v_mov_b32_e32 v65, v61
.LBB59_174:                             ;   in Loop: Header=BB59_2 Depth=1
	s_or_b64 exec, exec, s[16:17]
	v_add_u32_e32 v68, 1, v64
	v_add_u32_e32 v67, 1, v63
	v_cndmask_b32_e64 v68, v68, v64, s[14:15]
	v_cndmask_b32_e64 v67, v63, v67, s[14:15]
	v_cmp_ge_i32_e64 s[18:19], v68, v26
	s_waitcnt lgkmcnt(0)
	v_cmp_lt_i16_sdwa s[20:21], sext(v66), sext(v65) src0_sel:BYTE_0 src1_sel:BYTE_0
	v_cmp_lt_i32_e64 s[16:17], v67, v27
	s_or_b64 s[18:19], s[18:19], s[20:21]
	s_and_b64 s[16:17], s[16:17], s[18:19]
	s_xor_b64 s[18:19], s[16:17], -1
                                        ; implicit-def: $vgpr69
	s_and_saveexec_b64 s[20:21], s[18:19]
	s_xor_b64 s[18:19], exec, s[20:21]
	s_cbranch_execz .LBB59_176
; %bb.175:                              ;   in Loop: Header=BB59_2 Depth=1
	ds_read_u8 v69, v68 offset:1
.LBB59_176:                             ;   in Loop: Header=BB59_2 Depth=1
	s_or_saveexec_b64 s[18:19], s[18:19]
	v_mov_b32_e32 v70, v66
	s_xor_b64 exec, exec, s[18:19]
	s_cbranch_execz .LBB59_178
; %bb.177:                              ;   in Loop: Header=BB59_2 Depth=1
	ds_read_u8 v70, v67 offset:1
	s_waitcnt lgkmcnt(1)
	v_mov_b32_e32 v69, v65
.LBB59_178:                             ;   in Loop: Header=BB59_2 Depth=1
	s_or_b64 exec, exec, s[18:19]
	v_add_u32_e32 v72, 1, v68
	v_add_u32_e32 v71, 1, v67
	v_cndmask_b32_e64 v72, v72, v68, s[16:17]
	v_cndmask_b32_e64 v71, v67, v71, s[16:17]
	v_cmp_ge_i32_e64 s[20:21], v72, v26
	s_waitcnt lgkmcnt(0)
	v_cmp_lt_i16_sdwa s[22:23], sext(v70), sext(v69) src0_sel:BYTE_0 src1_sel:BYTE_0
	v_cmp_lt_i32_e64 s[18:19], v71, v27
	s_or_b64 s[20:21], s[20:21], s[22:23]
	s_and_b64 s[18:19], s[18:19], s[20:21]
	s_xor_b64 s[20:21], s[18:19], -1
                                        ; implicit-def: $vgpr73
	s_and_saveexec_b64 s[22:23], s[20:21]
	s_xor_b64 s[20:21], exec, s[22:23]
	s_cbranch_execz .LBB59_180
; %bb.179:                              ;   in Loop: Header=BB59_2 Depth=1
	ds_read_u8 v73, v72 offset:1
.LBB59_180:                             ;   in Loop: Header=BB59_2 Depth=1
	s_or_saveexec_b64 s[20:21], s[20:21]
	v_mov_b32_e32 v74, v70
	s_xor_b64 exec, exec, s[20:21]
	s_cbranch_execz .LBB59_182
; %bb.181:                              ;   in Loop: Header=BB59_2 Depth=1
	ds_read_u8 v74, v71 offset:1
	s_waitcnt lgkmcnt(1)
	v_mov_b32_e32 v73, v69
.LBB59_182:                             ;   in Loop: Header=BB59_2 Depth=1
	s_or_b64 exec, exec, s[20:21]
	v_add_u32_e32 v76, 1, v72
	v_add_u32_e32 v75, 1, v71
	v_cndmask_b32_e64 v76, v76, v72, s[18:19]
	v_cndmask_b32_e64 v75, v71, v75, s[18:19]
	v_cmp_ge_i32_e64 s[22:23], v76, v26
	s_waitcnt lgkmcnt(0)
	v_cmp_lt_i16_sdwa s[24:25], sext(v74), sext(v73) src0_sel:BYTE_0 src1_sel:BYTE_0
	v_cmp_lt_i32_e64 s[20:21], v75, v27
	s_or_b64 s[22:23], s[22:23], s[24:25]
	s_and_b64 s[20:21], s[20:21], s[22:23]
	s_xor_b64 s[22:23], s[20:21], -1
                                        ; implicit-def: $vgpr77
	s_and_saveexec_b64 s[24:25], s[22:23]
	s_xor_b64 s[22:23], exec, s[24:25]
	s_cbranch_execz .LBB59_184
; %bb.183:                              ;   in Loop: Header=BB59_2 Depth=1
	ds_read_u8 v77, v76 offset:1
.LBB59_184:                             ;   in Loop: Header=BB59_2 Depth=1
	s_or_saveexec_b64 s[22:23], s[22:23]
	v_mov_b32_e32 v78, v74
	s_xor_b64 exec, exec, s[22:23]
	s_cbranch_execz .LBB59_186
; %bb.185:                              ;   in Loop: Header=BB59_2 Depth=1
	ds_read_u8 v78, v75 offset:1
	s_waitcnt lgkmcnt(1)
	v_mov_b32_e32 v77, v73
.LBB59_186:                             ;   in Loop: Header=BB59_2 Depth=1
	s_or_b64 exec, exec, s[22:23]
	v_add_u32_e32 v80, 1, v76
	v_add_u32_e32 v79, 1, v75
	v_cndmask_b32_e64 v80, v80, v76, s[20:21]
	v_cndmask_b32_e64 v79, v75, v79, s[20:21]
	v_cmp_ge_i32_e64 s[24:25], v80, v26
	s_waitcnt lgkmcnt(0)
	v_cmp_lt_i16_sdwa s[26:27], sext(v78), sext(v77) src0_sel:BYTE_0 src1_sel:BYTE_0
	v_cmp_lt_i32_e64 s[22:23], v79, v27
	s_or_b64 s[24:25], s[24:25], s[26:27]
	s_and_b64 s[22:23], s[22:23], s[24:25]
	s_xor_b64 s[24:25], s[22:23], -1
                                        ; implicit-def: $vgpr81
	s_and_saveexec_b64 s[26:27], s[24:25]
	s_xor_b64 s[24:25], exec, s[26:27]
	s_cbranch_execz .LBB59_188
; %bb.187:                              ;   in Loop: Header=BB59_2 Depth=1
	ds_read_u8 v81, v80 offset:1
.LBB59_188:                             ;   in Loop: Header=BB59_2 Depth=1
	s_or_saveexec_b64 s[24:25], s[24:25]
	v_mov_b32_e32 v82, v78
	s_xor_b64 exec, exec, s[24:25]
	s_cbranch_execz .LBB59_190
; %bb.189:                              ;   in Loop: Header=BB59_2 Depth=1
	ds_read_u8 v82, v79 offset:1
	s_waitcnt lgkmcnt(1)
	v_mov_b32_e32 v81, v77
.LBB59_190:                             ;   in Loop: Header=BB59_2 Depth=1
	s_or_b64 exec, exec, s[24:25]
	v_add_u32_e32 v85, 1, v80
	v_add_u32_e32 v83, 1, v79
	v_cndmask_b32_e64 v85, v85, v80, s[22:23]
	v_cndmask_b32_e64 v84, v79, v83, s[22:23]
	v_cmp_ge_i32_e64 s[26:27], v85, v26
	s_waitcnt lgkmcnt(0)
	v_cmp_lt_i16_sdwa s[28:29], sext(v82), sext(v81) src0_sel:BYTE_0 src1_sel:BYTE_0
	v_cmp_lt_i32_e64 s[24:25], v84, v27
	s_or_b64 s[26:27], s[26:27], s[28:29]
	s_and_b64 s[24:25], s[24:25], s[26:27]
	s_xor_b64 s[26:27], s[24:25], -1
                                        ; implicit-def: $vgpr83
	s_and_saveexec_b64 s[28:29], s[26:27]
	s_xor_b64 s[26:27], exec, s[28:29]
	s_cbranch_execz .LBB59_192
; %bb.191:                              ;   in Loop: Header=BB59_2 Depth=1
	ds_read_u8 v83, v85 offset:1
.LBB59_192:                             ;   in Loop: Header=BB59_2 Depth=1
	s_or_saveexec_b64 s[26:27], s[26:27]
	v_mov_b32_e32 v86, v82
	s_xor_b64 exec, exec, s[26:27]
	s_cbranch_execz .LBB59_194
; %bb.193:                              ;   in Loop: Header=BB59_2 Depth=1
	ds_read_u8 v86, v84 offset:1
	s_waitcnt lgkmcnt(1)
	v_mov_b32_e32 v83, v81
.LBB59_194:                             ;   in Loop: Header=BB59_2 Depth=1
	s_or_b64 exec, exec, s[26:27]
	v_add_u32_e32 v87, 1, v85
	v_cndmask_b32_e64 v81, v81, v82, s[24:25]
	v_add_u32_e32 v82, 1, v84
	v_cndmask_b32_e64 v87, v87, v85, s[24:25]
	v_cndmask_b32_e64 v82, v84, v82, s[24:25]
	;; [unrolled: 1-line block ×6, first 2 shown]
	v_cmp_ge_i32_e64 s[14:15], v87, v26
	s_waitcnt lgkmcnt(0)
	v_cmp_lt_i16_sdwa s[16:17], sext(v86), sext(v83) src0_sel:BYTE_0 src1_sel:BYTE_0
	v_lshlrev_b16_e32 v51, 8, v51
	v_cndmask_b32_e64 v59, v59, v60, s[12:13]
	v_cndmask_b32_e64 v57, v57, v58, s[12:13]
	v_cmp_lt_i32_e64 s[12:13], v82, v27
	s_or_b64 s[14:15], s[14:15], s[16:17]
	v_lshlrev_b16_e32 v56, 8, v56
	v_lshlrev_b16_e32 v53, 8, v53
	v_or_b32_sdwa v49, v49, v51 dst_sel:DWORD dst_unused:UNUSED_PAD src0_sel:BYTE_0 src1_sel:DWORD
	v_lshlrev_b16_e32 v51, 8, v52
	s_and_b64 s[12:13], s[12:13], s[14:15]
	v_or_b32_sdwa v54, v54, v56 dst_sel:DWORD dst_unused:UNUSED_PAD src0_sel:BYTE_0 src1_sel:DWORD
	v_or_b32_sdwa v53, v55, v53 dst_sel:WORD_1 dst_unused:UNUSED_PAD src0_sel:BYTE_0 src1_sel:DWORD
	v_or_b32_sdwa v50, v50, v51 dst_sel:WORD_1 dst_unused:UNUSED_PAD src0_sel:BYTE_0 src1_sel:DWORD
	v_cndmask_b32_e64 v58, v87, v82, s[12:13]
	v_or_b32_sdwa v53, v54, v53 dst_sel:DWORD dst_unused:UNUSED_PAD src0_sel:WORD_0 src1_sel:DWORD
	v_or_b32_sdwa v52, v49, v50 dst_sel:DWORD dst_unused:UNUSED_PAD src0_sel:WORD_0 src1_sel:DWORD
	v_cndmask_b32_e64 v84, v85, v84, s[24:25]
	v_cndmask_b32_e64 v77, v77, v78, s[22:23]
	;; [unrolled: 1-line block ×7, first 2 shown]
	s_barrier
	ds_write_b64 v3, v[52:53]
	s_waitcnt lgkmcnt(0)
	s_barrier
	ds_read_u8 v53, v58
	ds_read_u8 v49, v57
	;; [unrolled: 1-line block ×8, first 2 shown]
	v_lshlrev_b16_e32 v57, 8, v61
	v_lshlrev_b16_e32 v58, 8, v69
	v_cndmask_b32_e64 v60, v83, v86, s[12:13]
	v_or_b32_sdwa v57, v59, v57 dst_sel:DWORD dst_unused:UNUSED_PAD src0_sel:BYTE_0 src1_sel:DWORD
	v_or_b32_sdwa v58, v65, v58 dst_sel:WORD_1 dst_unused:UNUSED_PAD src0_sel:BYTE_0 src1_sel:DWORD
	v_lshlrev_b16_e32 v59, 8, v60
	v_or_b32_sdwa v58, v57, v58 dst_sel:DWORD dst_unused:UNUSED_PAD src0_sel:WORD_0 src1_sel:DWORD
	v_lshlrev_b16_e32 v57, 8, v77
	v_or_b32_sdwa v57, v73, v57 dst_sel:DWORD dst_unused:UNUSED_PAD src0_sel:BYTE_0 src1_sel:DWORD
	v_or_b32_sdwa v59, v81, v59 dst_sel:WORD_1 dst_unused:UNUSED_PAD src0_sel:BYTE_0 src1_sel:DWORD
	s_waitcnt lgkmcnt(0)
	v_or_b32_sdwa v59, v57, v59 dst_sel:DWORD dst_unused:UNUSED_PAD src0_sel:WORD_0 src1_sel:DWORD
	v_mov_b32_e32 v57, v46
	s_barrier
	ds_write_b64 v3, v[58:59]
	s_waitcnt lgkmcnt(0)
	s_barrier
	s_and_saveexec_b64 s[14:15], s[10:11]
	s_cbranch_execz .LBB59_198
; %bb.195:                              ;   in Loop: Header=BB59_2 Depth=1
	s_mov_b64 s[16:17], 0
	v_mov_b32_e32 v57, v46
	v_mov_b32_e32 v58, v47
.LBB59_196:                             ;   Parent Loop BB59_2 Depth=1
                                        ; =>  This Inner Loop Header: Depth=2
	v_sub_u32_e32 v59, v58, v57
	v_lshrrev_b32_e32 v60, 31, v59
	v_add_u32_e32 v59, v59, v60
	v_ashrrev_i32_e32 v59, 1, v59
	v_add_u32_e32 v59, v59, v57
	v_not_b32_e32 v60, v59
	v_add3_u32 v60, v3, v60, v2
	ds_read_i8 v61, v59
	ds_read_i8 v60, v60
	v_add_u32_e32 v62, 1, v59
	s_waitcnt lgkmcnt(0)
	v_cmp_lt_i16_e64 s[12:13], v60, v61
	s_nop 1
	v_cndmask_b32_e64 v58, v58, v59, s[12:13]
	v_cndmask_b32_e64 v57, v62, v57, s[12:13]
	v_cmp_ge_i32_e64 s[12:13], v57, v58
	s_or_b64 s[16:17], s[12:13], s[16:17]
	s_andn2_b64 exec, exec, s[16:17]
	s_cbranch_execnz .LBB59_196
; %bb.197:                              ;   in Loop: Header=BB59_2 Depth=1
	s_or_b64 exec, exec, s[16:17]
.LBB59_198:                             ;   in Loop: Header=BB59_2 Depth=1
	s_or_b64 exec, exec, s[14:15]
	v_sub_u32_e32 v58, v48, v57
	ds_read_u8 v59, v57
	ds_read_u8 v60, v58
	v_cmp_le_i32_e64 s[14:15], v2, v57
	v_cmp_gt_i32_e64 s[12:13], s97, v58
                                        ; implicit-def: $vgpr61
	s_waitcnt lgkmcnt(1)
	v_bfe_i32 v59, v59, 0, 8
	s_waitcnt lgkmcnt(0)
	v_bfe_i32 v60, v60, 0, 8
	v_cmp_lt_i16_e64 s[16:17], v60, v59
	s_or_b64 s[14:15], s[14:15], s[16:17]
	s_and_b64 s[12:13], s[12:13], s[14:15]
	s_xor_b64 s[14:15], s[12:13], -1
	s_and_saveexec_b64 s[16:17], s[14:15]
	s_xor_b64 s[14:15], exec, s[16:17]
	s_cbranch_execz .LBB59_200
; %bb.199:                              ;   in Loop: Header=BB59_2 Depth=1
	ds_read_u8 v61, v57 offset:1
.LBB59_200:                             ;   in Loop: Header=BB59_2 Depth=1
	s_or_saveexec_b64 s[14:15], s[14:15]
	v_mov_b32_e32 v62, v60
	s_xor_b64 exec, exec, s[14:15]
	s_cbranch_execz .LBB59_202
; %bb.201:                              ;   in Loop: Header=BB59_2 Depth=1
	ds_read_u8 v62, v58 offset:1
	s_waitcnt lgkmcnt(1)
	v_mov_b32_e32 v61, v59
.LBB59_202:                             ;   in Loop: Header=BB59_2 Depth=1
	s_or_b64 exec, exec, s[14:15]
	v_add_u32_e32 v64, 1, v57
	v_add_u32_e32 v63, 1, v58
	v_cndmask_b32_e64 v64, v64, v57, s[12:13]
	v_cndmask_b32_e64 v63, v58, v63, s[12:13]
	v_cmp_ge_i32_e64 s[16:17], v64, v2
	s_waitcnt lgkmcnt(0)
	v_cmp_lt_i16_sdwa s[18:19], sext(v62), sext(v61) src0_sel:BYTE_0 src1_sel:BYTE_0
	v_cmp_gt_i32_e64 s[14:15], s97, v63
	s_or_b64 s[16:17], s[16:17], s[18:19]
	s_and_b64 s[14:15], s[14:15], s[16:17]
	s_xor_b64 s[16:17], s[14:15], -1
                                        ; implicit-def: $vgpr65
	s_and_saveexec_b64 s[18:19], s[16:17]
	s_xor_b64 s[16:17], exec, s[18:19]
	s_cbranch_execz .LBB59_204
; %bb.203:                              ;   in Loop: Header=BB59_2 Depth=1
	ds_read_u8 v65, v64 offset:1
.LBB59_204:                             ;   in Loop: Header=BB59_2 Depth=1
	s_or_saveexec_b64 s[16:17], s[16:17]
	v_mov_b32_e32 v66, v62
	s_xor_b64 exec, exec, s[16:17]
	s_cbranch_execz .LBB59_206
; %bb.205:                              ;   in Loop: Header=BB59_2 Depth=1
	ds_read_u8 v66, v63 offset:1
	s_waitcnt lgkmcnt(1)
	v_mov_b32_e32 v65, v61
.LBB59_206:                             ;   in Loop: Header=BB59_2 Depth=1
	s_or_b64 exec, exec, s[16:17]
	v_add_u32_e32 v68, 1, v64
	v_add_u32_e32 v67, 1, v63
	v_cndmask_b32_e64 v68, v68, v64, s[14:15]
	v_cndmask_b32_e64 v67, v63, v67, s[14:15]
	v_cmp_ge_i32_e64 s[18:19], v68, v2
	s_waitcnt lgkmcnt(0)
	v_cmp_lt_i16_sdwa s[20:21], sext(v66), sext(v65) src0_sel:BYTE_0 src1_sel:BYTE_0
	v_cmp_gt_i32_e64 s[16:17], s97, v67
	s_or_b64 s[18:19], s[18:19], s[20:21]
	s_and_b64 s[16:17], s[16:17], s[18:19]
	s_xor_b64 s[18:19], s[16:17], -1
                                        ; implicit-def: $vgpr69
	s_and_saveexec_b64 s[20:21], s[18:19]
	s_xor_b64 s[18:19], exec, s[20:21]
	s_cbranch_execz .LBB59_208
; %bb.207:                              ;   in Loop: Header=BB59_2 Depth=1
	ds_read_u8 v69, v68 offset:1
.LBB59_208:                             ;   in Loop: Header=BB59_2 Depth=1
	s_or_saveexec_b64 s[18:19], s[18:19]
	v_mov_b32_e32 v70, v66
	s_xor_b64 exec, exec, s[18:19]
	s_cbranch_execz .LBB59_210
; %bb.209:                              ;   in Loop: Header=BB59_2 Depth=1
	ds_read_u8 v70, v67 offset:1
	s_waitcnt lgkmcnt(1)
	v_mov_b32_e32 v69, v65
.LBB59_210:                             ;   in Loop: Header=BB59_2 Depth=1
	s_or_b64 exec, exec, s[18:19]
	v_add_u32_e32 v72, 1, v68
	v_add_u32_e32 v71, 1, v67
	v_cndmask_b32_e64 v72, v72, v68, s[16:17]
	v_cndmask_b32_e64 v71, v67, v71, s[16:17]
	v_cmp_ge_i32_e64 s[20:21], v72, v2
	s_waitcnt lgkmcnt(0)
	v_cmp_lt_i16_sdwa s[22:23], sext(v70), sext(v69) src0_sel:BYTE_0 src1_sel:BYTE_0
	v_cmp_gt_i32_e64 s[18:19], s97, v71
	s_or_b64 s[20:21], s[20:21], s[22:23]
	s_and_b64 s[18:19], s[18:19], s[20:21]
	s_xor_b64 s[20:21], s[18:19], -1
                                        ; implicit-def: $vgpr73
	s_and_saveexec_b64 s[22:23], s[20:21]
	s_xor_b64 s[20:21], exec, s[22:23]
	s_cbranch_execz .LBB59_212
; %bb.211:                              ;   in Loop: Header=BB59_2 Depth=1
	ds_read_u8 v73, v72 offset:1
.LBB59_212:                             ;   in Loop: Header=BB59_2 Depth=1
	s_or_saveexec_b64 s[20:21], s[20:21]
	v_mov_b32_e32 v74, v70
	s_xor_b64 exec, exec, s[20:21]
	s_cbranch_execz .LBB59_214
; %bb.213:                              ;   in Loop: Header=BB59_2 Depth=1
	ds_read_u8 v74, v71 offset:1
	s_waitcnt lgkmcnt(1)
	v_mov_b32_e32 v73, v69
.LBB59_214:                             ;   in Loop: Header=BB59_2 Depth=1
	s_or_b64 exec, exec, s[20:21]
	v_add_u32_e32 v76, 1, v72
	v_add_u32_e32 v75, 1, v71
	v_cndmask_b32_e64 v76, v76, v72, s[18:19]
	v_cndmask_b32_e64 v75, v71, v75, s[18:19]
	v_cmp_ge_i32_e64 s[22:23], v76, v2
	s_waitcnt lgkmcnt(0)
	v_cmp_lt_i16_sdwa s[24:25], sext(v74), sext(v73) src0_sel:BYTE_0 src1_sel:BYTE_0
	v_cmp_gt_i32_e64 s[20:21], s97, v75
	s_or_b64 s[22:23], s[22:23], s[24:25]
	s_and_b64 s[20:21], s[20:21], s[22:23]
	s_xor_b64 s[22:23], s[20:21], -1
                                        ; implicit-def: $vgpr77
	s_and_saveexec_b64 s[24:25], s[22:23]
	s_xor_b64 s[22:23], exec, s[24:25]
	s_cbranch_execz .LBB59_216
; %bb.215:                              ;   in Loop: Header=BB59_2 Depth=1
	ds_read_u8 v77, v76 offset:1
.LBB59_216:                             ;   in Loop: Header=BB59_2 Depth=1
	s_or_saveexec_b64 s[22:23], s[22:23]
	v_mov_b32_e32 v78, v74
	s_xor_b64 exec, exec, s[22:23]
	s_cbranch_execz .LBB59_218
; %bb.217:                              ;   in Loop: Header=BB59_2 Depth=1
	ds_read_u8 v78, v75 offset:1
	s_waitcnt lgkmcnt(1)
	v_mov_b32_e32 v77, v73
.LBB59_218:                             ;   in Loop: Header=BB59_2 Depth=1
	s_or_b64 exec, exec, s[22:23]
	v_add_u32_e32 v80, 1, v76
	v_add_u32_e32 v79, 1, v75
	v_cndmask_b32_e64 v80, v80, v76, s[20:21]
	v_cndmask_b32_e64 v79, v75, v79, s[20:21]
	v_cmp_ge_i32_e64 s[24:25], v80, v2
	s_waitcnt lgkmcnt(0)
	v_cmp_lt_i16_sdwa s[26:27], sext(v78), sext(v77) src0_sel:BYTE_0 src1_sel:BYTE_0
	v_cmp_gt_i32_e64 s[22:23], s97, v79
	s_or_b64 s[24:25], s[24:25], s[26:27]
	s_and_b64 s[22:23], s[22:23], s[24:25]
	s_xor_b64 s[24:25], s[22:23], -1
                                        ; implicit-def: $vgpr81
	s_and_saveexec_b64 s[26:27], s[24:25]
	s_xor_b64 s[24:25], exec, s[26:27]
	s_cbranch_execz .LBB59_220
; %bb.219:                              ;   in Loop: Header=BB59_2 Depth=1
	ds_read_u8 v81, v80 offset:1
.LBB59_220:                             ;   in Loop: Header=BB59_2 Depth=1
	s_or_saveexec_b64 s[24:25], s[24:25]
	v_mov_b32_e32 v82, v78
	s_xor_b64 exec, exec, s[24:25]
	s_cbranch_execz .LBB59_222
; %bb.221:                              ;   in Loop: Header=BB59_2 Depth=1
	ds_read_u8 v82, v79 offset:1
	s_waitcnt lgkmcnt(1)
	v_mov_b32_e32 v81, v77
.LBB59_222:                             ;   in Loop: Header=BB59_2 Depth=1
	s_or_b64 exec, exec, s[24:25]
	v_add_u32_e32 v84, 1, v80
	v_add_u32_e32 v83, 1, v79
	v_cndmask_b32_e64 v87, v84, v80, s[22:23]
	v_cndmask_b32_e64 v83, v79, v83, s[22:23]
	v_cmp_ge_i32_e64 s[26:27], v87, v2
	s_waitcnt lgkmcnt(0)
	v_cmp_lt_i16_sdwa s[28:29], sext(v82), sext(v81) src0_sel:BYTE_0 src1_sel:BYTE_0
	v_cmp_gt_i32_e64 s[24:25], s97, v83
	s_or_b64 s[26:27], s[26:27], s[28:29]
	s_and_b64 s[24:25], s[24:25], s[26:27]
	s_xor_b64 s[26:27], s[24:25], -1
                                        ; implicit-def: $vgpr86
                                        ; implicit-def: $vgpr85
	s_and_saveexec_b64 s[28:29], s[26:27]
	s_xor_b64 s[26:27], exec, s[28:29]
	s_cbranch_execz .LBB59_224
; %bb.223:                              ;   in Loop: Header=BB59_2 Depth=1
	ds_read_u8 v86, v87 offset:1
	v_add_u32_e32 v85, 1, v87
.LBB59_224:                             ;   in Loop: Header=BB59_2 Depth=1
	s_or_saveexec_b64 s[26:27], s[26:27]
	v_mov_b32_e32 v84, v87
	v_mov_b32_e32 v88, v82
	s_xor_b64 exec, exec, s[26:27]
	s_cbranch_execz .LBB59_1
; %bb.225:                              ;   in Loop: Header=BB59_2 Depth=1
	ds_read_u8 v88, v83 offset:1
	s_waitcnt lgkmcnt(1)
	v_add_u32_e32 v86, 1, v83
	v_mov_b32_e32 v84, v83
	v_mov_b32_e32 v85, v87
	v_mov_b32_e32 v83, v86
	v_mov_b32_e32 v86, v81
	s_branch .LBB59_1
.LBB59_226:
	v_readlane_b32 s0, v89, 0
	v_readlane_b32 s2, v89, 2
	;; [unrolled: 1-line block ×4, first 2 shown]
	s_add_u32 s0, s2, s33
	s_addc_u32 s1, s3, 0
	v_add_u16_e32 v2, v59, v55
	v_lshl_add_u64 v[0:1], s[0:1], 0, v[0:1]
	v_add_u16_e32 v3, v60, v56
	v_add_u16_e32 v4, v61, v58
	;; [unrolled: 1-line block ×7, first 2 shown]
	global_store_byte v[0:1], v2, off
	global_store_byte v[0:1], v3, off offset:128
	global_store_byte v[0:1], v4, off offset:256
	;; [unrolled: 1-line block ×7, first 2 shown]
	s_endpgm
	.section	.rodata,"a",@progbits
	.p2align	6, 0x0
	.amdhsa_kernel _Z17sort_pairs_kernelIaLj128ELj8EN10test_utils4lessELj10EEvPKT_PS2_T2_
		.amdhsa_group_segment_fixed_size 1025
		.amdhsa_private_segment_fixed_size 0
		.amdhsa_kernarg_size 20
		.amdhsa_user_sgpr_count 2
		.amdhsa_user_sgpr_dispatch_ptr 0
		.amdhsa_user_sgpr_queue_ptr 0
		.amdhsa_user_sgpr_kernarg_segment_ptr 1
		.amdhsa_user_sgpr_dispatch_id 0
		.amdhsa_user_sgpr_kernarg_preload_length 0
		.amdhsa_user_sgpr_kernarg_preload_offset 0
		.amdhsa_user_sgpr_private_segment_size 0
		.amdhsa_uses_dynamic_stack 0
		.amdhsa_enable_private_segment 0
		.amdhsa_system_sgpr_workgroup_id_x 1
		.amdhsa_system_sgpr_workgroup_id_y 0
		.amdhsa_system_sgpr_workgroup_id_z 0
		.amdhsa_system_sgpr_workgroup_info 0
		.amdhsa_system_vgpr_workitem_id 0
		.amdhsa_next_free_vgpr 90
		.amdhsa_next_free_sgpr 100
		.amdhsa_accum_offset 92
		.amdhsa_reserve_vcc 1
		.amdhsa_float_round_mode_32 0
		.amdhsa_float_round_mode_16_64 0
		.amdhsa_float_denorm_mode_32 3
		.amdhsa_float_denorm_mode_16_64 3
		.amdhsa_dx10_clamp 1
		.amdhsa_ieee_mode 1
		.amdhsa_fp16_overflow 0
		.amdhsa_tg_split 0
		.amdhsa_exception_fp_ieee_invalid_op 0
		.amdhsa_exception_fp_denorm_src 0
		.amdhsa_exception_fp_ieee_div_zero 0
		.amdhsa_exception_fp_ieee_overflow 0
		.amdhsa_exception_fp_ieee_underflow 0
		.amdhsa_exception_fp_ieee_inexact 0
		.amdhsa_exception_int_div_zero 0
	.end_amdhsa_kernel
	.section	.text._Z17sort_pairs_kernelIaLj128ELj8EN10test_utils4lessELj10EEvPKT_PS2_T2_,"axG",@progbits,_Z17sort_pairs_kernelIaLj128ELj8EN10test_utils4lessELj10EEvPKT_PS2_T2_,comdat
.Lfunc_end59:
	.size	_Z17sort_pairs_kernelIaLj128ELj8EN10test_utils4lessELj10EEvPKT_PS2_T2_, .Lfunc_end59-_Z17sort_pairs_kernelIaLj128ELj8EN10test_utils4lessELj10EEvPKT_PS2_T2_
                                        ; -- End function
	.section	.AMDGPU.csdata,"",@progbits
; Kernel info:
; codeLenInByte = 12732
; NumSgprs: 106
; NumVgprs: 90
; NumAgprs: 0
; TotalNumVgprs: 90
; ScratchSize: 0
; MemoryBound: 0
; FloatMode: 240
; IeeeMode: 1
; LDSByteSize: 1025 bytes/workgroup (compile time only)
; SGPRBlocks: 13
; VGPRBlocks: 11
; NumSGPRsForWavesPerEU: 106
; NumVGPRsForWavesPerEU: 90
; AccumOffset: 92
; Occupancy: 5
; WaveLimiterHint : 1
; COMPUTE_PGM_RSRC2:SCRATCH_EN: 0
; COMPUTE_PGM_RSRC2:USER_SGPR: 2
; COMPUTE_PGM_RSRC2:TRAP_HANDLER: 0
; COMPUTE_PGM_RSRC2:TGID_X_EN: 1
; COMPUTE_PGM_RSRC2:TGID_Y_EN: 0
; COMPUTE_PGM_RSRC2:TGID_Z_EN: 0
; COMPUTE_PGM_RSRC2:TIDIG_COMP_CNT: 0
; COMPUTE_PGM_RSRC3_GFX90A:ACCUM_OFFSET: 22
; COMPUTE_PGM_RSRC3_GFX90A:TG_SPLIT: 0
	.section	.text._Z16sort_keys_kernelIaLj256ELj1EN10test_utils4lessELj10EEvPKT_PS2_T2_,"axG",@progbits,_Z16sort_keys_kernelIaLj256ELj1EN10test_utils4lessELj10EEvPKT_PS2_T2_,comdat
	.protected	_Z16sort_keys_kernelIaLj256ELj1EN10test_utils4lessELj10EEvPKT_PS2_T2_ ; -- Begin function _Z16sort_keys_kernelIaLj256ELj1EN10test_utils4lessELj10EEvPKT_PS2_T2_
	.globl	_Z16sort_keys_kernelIaLj256ELj1EN10test_utils4lessELj10EEvPKT_PS2_T2_
	.p2align	8
	.type	_Z16sort_keys_kernelIaLj256ELj1EN10test_utils4lessELj10EEvPKT_PS2_T2_,@function
_Z16sort_keys_kernelIaLj256ELj1EN10test_utils4lessELj10EEvPKT_PS2_T2_: ; @_Z16sort_keys_kernelIaLj256ELj1EN10test_utils4lessELj10EEvPKT_PS2_T2_
; %bb.0:
	s_load_dwordx4 s[16:19], s[0:1], 0x0
	s_lshl_b32 s22, s2, 8
	v_and_b32_e32 v9, 0xfc, v0
	v_and_b32_e32 v17, 0xf8, v0
	;; [unrolled: 1-line block ×3, first 2 shown]
	s_waitcnt lgkmcnt(0)
	s_add_u32 s0, s16, s22
	s_addc_u32 s1, s17, 0
	global_load_ubyte v61, v0, s[0:1]
	v_and_b32_e32 v33, 0xe0, v0
	v_and_b32_e32 v41, 0xc0, v0
	v_and_b32_e32 v50, 0x80, v0
	v_and_b32_e32 v2, 0xfe, v0
	v_or_b32_e32 v11, 2, v9
	v_add_u32_e32 v12, 4, v9
	v_or_b32_e32 v19, 4, v17
	v_add_u32_e32 v20, 8, v17
	;; [unrolled: 2-line block ×6, first 2 shown]
	v_and_b32_e32 v3, 1, v0
	v_or_b32_e32 v4, 1, v2
	v_and_b32_e32 v10, 3, v0
	v_sub_u32_e32 v14, v12, v11
	v_and_b32_e32 v18, 7, v0
	v_sub_u32_e32 v22, v20, v19
	;; [unrolled: 2-line block ×6, first 2 shown]
	v_sub_u32_e32 v5, v4, v2
	v_add_u32_e32 v6, -1, v3
	v_cmp_lt_i32_e32 vcc, 0, v3
	v_sub_u32_e32 v13, v11, v9
	v_sub_u32_e32 v15, v10, v14
	v_cmp_ge_i32_e64 s[0:1], v10, v14
	v_sub_u32_e32 v21, v19, v17
	v_sub_u32_e32 v23, v18, v22
	v_cmp_ge_i32_e64 s[2:3], v18, v22
	;; [unrolled: 3-line block ×5, first 2 shown]
	v_mov_b32_e32 v49, 0x80
	v_sub_u32_e32 v54, v52, v50
	v_sub_u32_e32 v56, v51, v55
	v_cmp_ge_i32_e64 s[10:11], v51, v55
	v_cndmask_b32_e32 v6, 0, v6, vcc
	v_min_i32_e32 v7, v3, v5
	v_cndmask_b32_e64 v14, 0, v15, s[0:1]
	v_min_i32_e32 v15, v10, v13
	v_cndmask_b32_e64 v22, 0, v23, s[2:3]
	;; [unrolled: 2-line block ×6, first 2 shown]
	v_min_i32_e32 v56, v51, v54
	v_sub_u32_e64 v57, v0, v49 clamp
	v_min_i32_e32 v58, 0x80, v0
	s_mov_b32 s23, 0
	v_mov_b32_e32 v1, 0
	v_cmp_lt_i32_e32 vcc, v6, v7
	v_add_u32_e32 v8, v4, v3
	v_cmp_lt_i32_e64 s[0:1], v14, v15
	v_add_u32_e32 v16, v11, v10
	v_cmp_lt_i32_e64 s[2:3], v22, v23
	v_add_u32_e32 v24, v19, v18
	v_cmp_lt_i32_e64 s[4:5], v30, v31
	v_add_u32_e32 v32, v27, v26
	v_cmp_lt_i32_e64 s[6:7], v38, v39
	v_add_u32_e32 v40, v35, v34
	v_cmp_lt_i32_e64 s[8:9], v46, v47
	v_add_u32_e32 v48, v43, v42
	v_cmp_lt_i32_e64 s[10:11], v55, v56
	v_cmp_lt_i32_e64 s[12:13], v57, v58
	s_movk_i32 s24, 0x100
	v_add_u32_e32 v59, v52, v51
	v_add_u32_e32 v60, 0x80, v0
	s_branch .LBB60_2
.LBB60_1:                               ;   in Loop: Header=BB60_2 Depth=1
	s_or_b64 exec, exec, s[16:17]
	v_sub_u32_e32 v62, v60, v61
	ds_read_u8 v63, v61
	ds_read_u8 v64, v62
	v_cmp_ge_i32_e64 s[14:15], v61, v49
	v_cmp_gt_i32_e64 s[16:17], s24, v62
	s_add_i32 s23, s23, 1
	s_waitcnt lgkmcnt(0)
	v_cmp_lt_i16_sdwa s[20:21], sext(v64), sext(v63) src0_sel:BYTE_0 src1_sel:BYTE_0
	s_or_b64 s[14:15], s[14:15], s[20:21]
	s_and_b64 s[14:15], s[16:17], s[14:15]
	s_cmp_eq_u32 s23, 10
	v_cndmask_b32_e64 v61, v63, v64, s[14:15]
	s_cbranch_scc1 .LBB60_34
.LBB60_2:                               ; =>This Loop Header: Depth=1
                                        ;     Child Loop BB60_4 Depth 2
                                        ;     Child Loop BB60_8 Depth 2
	;; [unrolled: 1-line block ×8, first 2 shown]
	s_barrier
	s_waitcnt vmcnt(0)
	ds_write_b8 v0, v61
	v_mov_b32_e32 v61, v6
	s_waitcnt lgkmcnt(0)
	s_barrier
	s_and_saveexec_b64 s[16:17], vcc
	s_cbranch_execz .LBB60_6
; %bb.3:                                ;   in Loop: Header=BB60_2 Depth=1
	s_mov_b64 s[20:21], 0
	v_mov_b32_e32 v61, v6
	v_mov_b32_e32 v62, v7
.LBB60_4:                               ;   Parent Loop BB60_2 Depth=1
                                        ; =>  This Inner Loop Header: Depth=2
	v_sub_u32_e32 v63, v62, v61
	v_lshrrev_b32_e32 v64, 31, v63
	v_add_u32_e32 v63, v63, v64
	v_ashrrev_i32_e32 v63, 1, v63
	v_add_u32_e32 v63, v63, v61
	v_not_b32_e32 v65, v63
	v_add_u32_e32 v64, v2, v63
	v_add3_u32 v65, v3, v65, v4
	ds_read_i8 v64, v64
	ds_read_i8 v65, v65
	v_add_u32_e32 v66, 1, v63
	s_waitcnt lgkmcnt(0)
	v_cmp_lt_i16_e64 s[14:15], v65, v64
	s_nop 1
	v_cndmask_b32_e64 v62, v62, v63, s[14:15]
	v_cndmask_b32_e64 v61, v66, v61, s[14:15]
	v_cmp_ge_i32_e64 s[14:15], v61, v62
	s_or_b64 s[20:21], s[14:15], s[20:21]
	s_andn2_b64 exec, exec, s[20:21]
	s_cbranch_execnz .LBB60_4
; %bb.5:                                ;   in Loop: Header=BB60_2 Depth=1
	s_or_b64 exec, exec, s[20:21]
.LBB60_6:                               ;   in Loop: Header=BB60_2 Depth=1
	s_or_b64 exec, exec, s[16:17]
	v_add_u32_e32 v63, v2, v61
	v_sub_u32_e32 v62, v8, v61
	ds_read_u8 v63, v63
	ds_read_u8 v64, v62
	v_cmp_ge_i32_e64 s[14:15], v61, v5
	v_cmp_ge_i32_e64 s[16:17], v4, v62
	s_waitcnt lgkmcnt(0)
	s_barrier
	v_cmp_lt_i16_sdwa s[20:21], sext(v64), sext(v63) src0_sel:BYTE_0 src1_sel:BYTE_0
	s_or_b64 s[14:15], s[14:15], s[20:21]
	s_and_b64 s[14:15], s[16:17], s[14:15]
	v_cndmask_b32_e64 v61, v63, v64, s[14:15]
	ds_write_b8 v0, v61
	v_mov_b32_e32 v61, v14
	s_waitcnt lgkmcnt(0)
	s_barrier
	s_and_saveexec_b64 s[16:17], s[0:1]
	s_cbranch_execz .LBB60_10
; %bb.7:                                ;   in Loop: Header=BB60_2 Depth=1
	s_mov_b64 s[20:21], 0
	v_mov_b32_e32 v61, v14
	v_mov_b32_e32 v62, v15
.LBB60_8:                               ;   Parent Loop BB60_2 Depth=1
                                        ; =>  This Inner Loop Header: Depth=2
	v_sub_u32_e32 v63, v62, v61
	v_lshrrev_b32_e32 v64, 31, v63
	v_add_u32_e32 v63, v63, v64
	v_ashrrev_i32_e32 v63, 1, v63
	v_add_u32_e32 v63, v63, v61
	v_not_b32_e32 v65, v63
	v_add_u32_e32 v64, v9, v63
	v_add3_u32 v65, v10, v65, v11
	ds_read_i8 v64, v64
	ds_read_i8 v65, v65
	v_add_u32_e32 v66, 1, v63
	s_waitcnt lgkmcnt(0)
	v_cmp_lt_i16_e64 s[14:15], v65, v64
	s_nop 1
	v_cndmask_b32_e64 v62, v62, v63, s[14:15]
	v_cndmask_b32_e64 v61, v66, v61, s[14:15]
	v_cmp_ge_i32_e64 s[14:15], v61, v62
	s_or_b64 s[20:21], s[14:15], s[20:21]
	s_andn2_b64 exec, exec, s[20:21]
	s_cbranch_execnz .LBB60_8
; %bb.9:                                ;   in Loop: Header=BB60_2 Depth=1
	s_or_b64 exec, exec, s[20:21]
.LBB60_10:                              ;   in Loop: Header=BB60_2 Depth=1
	s_or_b64 exec, exec, s[16:17]
	v_add_u32_e32 v63, v9, v61
	v_sub_u32_e32 v62, v16, v61
	ds_read_u8 v63, v63
	ds_read_u8 v64, v62
	v_cmp_ge_i32_e64 s[14:15], v61, v13
	v_cmp_gt_i32_e64 s[16:17], v12, v62
	s_waitcnt lgkmcnt(0)
	s_barrier
	v_cmp_lt_i16_sdwa s[20:21], sext(v64), sext(v63) src0_sel:BYTE_0 src1_sel:BYTE_0
	s_or_b64 s[14:15], s[14:15], s[20:21]
	s_and_b64 s[14:15], s[16:17], s[14:15]
	v_cndmask_b32_e64 v61, v63, v64, s[14:15]
	ds_write_b8 v0, v61
	v_mov_b32_e32 v61, v22
	s_waitcnt lgkmcnt(0)
	s_barrier
	s_and_saveexec_b64 s[16:17], s[2:3]
	s_cbranch_execz .LBB60_14
; %bb.11:                               ;   in Loop: Header=BB60_2 Depth=1
	s_mov_b64 s[20:21], 0
	v_mov_b32_e32 v61, v22
	v_mov_b32_e32 v62, v23
.LBB60_12:                              ;   Parent Loop BB60_2 Depth=1
                                        ; =>  This Inner Loop Header: Depth=2
	v_sub_u32_e32 v63, v62, v61
	v_lshrrev_b32_e32 v64, 31, v63
	v_add_u32_e32 v63, v63, v64
	v_ashrrev_i32_e32 v63, 1, v63
	v_add_u32_e32 v63, v63, v61
	v_not_b32_e32 v65, v63
	v_add_u32_e32 v64, v17, v63
	v_add3_u32 v65, v18, v65, v19
	ds_read_i8 v64, v64
	ds_read_i8 v65, v65
	v_add_u32_e32 v66, 1, v63
	s_waitcnt lgkmcnt(0)
	v_cmp_lt_i16_e64 s[14:15], v65, v64
	s_nop 1
	v_cndmask_b32_e64 v62, v62, v63, s[14:15]
	v_cndmask_b32_e64 v61, v66, v61, s[14:15]
	v_cmp_ge_i32_e64 s[14:15], v61, v62
	s_or_b64 s[20:21], s[14:15], s[20:21]
	s_andn2_b64 exec, exec, s[20:21]
	s_cbranch_execnz .LBB60_12
; %bb.13:                               ;   in Loop: Header=BB60_2 Depth=1
	s_or_b64 exec, exec, s[20:21]
.LBB60_14:                              ;   in Loop: Header=BB60_2 Depth=1
	s_or_b64 exec, exec, s[16:17]
	v_add_u32_e32 v63, v17, v61
	v_sub_u32_e32 v62, v24, v61
	ds_read_u8 v63, v63
	ds_read_u8 v64, v62
	v_cmp_ge_i32_e64 s[14:15], v61, v21
	v_cmp_gt_i32_e64 s[16:17], v20, v62
	s_waitcnt lgkmcnt(0)
	s_barrier
	v_cmp_lt_i16_sdwa s[20:21], sext(v64), sext(v63) src0_sel:BYTE_0 src1_sel:BYTE_0
	s_or_b64 s[14:15], s[14:15], s[20:21]
	s_and_b64 s[14:15], s[16:17], s[14:15]
	v_cndmask_b32_e64 v61, v63, v64, s[14:15]
	ds_write_b8 v0, v61
	v_mov_b32_e32 v61, v30
	s_waitcnt lgkmcnt(0)
	s_barrier
	s_and_saveexec_b64 s[16:17], s[4:5]
	s_cbranch_execz .LBB60_18
; %bb.15:                               ;   in Loop: Header=BB60_2 Depth=1
	s_mov_b64 s[20:21], 0
	v_mov_b32_e32 v61, v30
	v_mov_b32_e32 v62, v31
.LBB60_16:                              ;   Parent Loop BB60_2 Depth=1
                                        ; =>  This Inner Loop Header: Depth=2
	v_sub_u32_e32 v63, v62, v61
	v_lshrrev_b32_e32 v64, 31, v63
	v_add_u32_e32 v63, v63, v64
	v_ashrrev_i32_e32 v63, 1, v63
	v_add_u32_e32 v63, v63, v61
	v_not_b32_e32 v65, v63
	v_add_u32_e32 v64, v25, v63
	v_add3_u32 v65, v26, v65, v27
	ds_read_i8 v64, v64
	ds_read_i8 v65, v65
	v_add_u32_e32 v66, 1, v63
	s_waitcnt lgkmcnt(0)
	v_cmp_lt_i16_e64 s[14:15], v65, v64
	s_nop 1
	v_cndmask_b32_e64 v62, v62, v63, s[14:15]
	v_cndmask_b32_e64 v61, v66, v61, s[14:15]
	v_cmp_ge_i32_e64 s[14:15], v61, v62
	s_or_b64 s[20:21], s[14:15], s[20:21]
	s_andn2_b64 exec, exec, s[20:21]
	s_cbranch_execnz .LBB60_16
; %bb.17:                               ;   in Loop: Header=BB60_2 Depth=1
	s_or_b64 exec, exec, s[20:21]
.LBB60_18:                              ;   in Loop: Header=BB60_2 Depth=1
	;; [unrolled: 48-line block ×5, first 2 shown]
	s_or_b64 exec, exec, s[16:17]
	v_add_u32_e32 v63, v50, v61
	v_sub_u32_e32 v62, v59, v61
	ds_read_u8 v63, v63
	ds_read_u8 v64, v62
	v_cmp_ge_i32_e64 s[14:15], v61, v54
	v_cmp_gt_i32_e64 s[16:17], v53, v62
	s_waitcnt lgkmcnt(0)
	s_barrier
	v_cmp_lt_i16_sdwa s[20:21], sext(v64), sext(v63) src0_sel:BYTE_0 src1_sel:BYTE_0
	s_or_b64 s[14:15], s[14:15], s[20:21]
	s_and_b64 s[14:15], s[16:17], s[14:15]
	v_cndmask_b32_e64 v61, v63, v64, s[14:15]
	ds_write_b8 v0, v61
	v_mov_b32_e32 v61, v57
	s_waitcnt lgkmcnt(0)
	s_barrier
	s_and_saveexec_b64 s[16:17], s[12:13]
	s_cbranch_execz .LBB60_1
; %bb.31:                               ;   in Loop: Header=BB60_2 Depth=1
	s_mov_b64 s[20:21], 0
	v_mov_b32_e32 v61, v57
	v_mov_b32_e32 v62, v58
.LBB60_32:                              ;   Parent Loop BB60_2 Depth=1
                                        ; =>  This Inner Loop Header: Depth=2
	v_sub_u32_e32 v63, v62, v61
	v_lshrrev_b32_e32 v64, 31, v63
	v_add_u32_e32 v63, v63, v64
	v_ashrrev_i32_e32 v63, 1, v63
	v_add_u32_e32 v63, v63, v61
	v_not_b32_e32 v64, v63
	v_add3_u32 v64, v0, v64, v49
	ds_read_i8 v65, v63
	ds_read_i8 v64, v64
	v_add_u32_e32 v66, 1, v63
	s_waitcnt lgkmcnt(0)
	v_cmp_lt_i16_e64 s[14:15], v64, v65
	s_nop 1
	v_cndmask_b32_e64 v62, v62, v63, s[14:15]
	v_cndmask_b32_e64 v61, v66, v61, s[14:15]
	v_cmp_ge_i32_e64 s[14:15], v61, v62
	s_or_b64 s[20:21], s[14:15], s[20:21]
	s_andn2_b64 exec, exec, s[20:21]
	s_cbranch_execnz .LBB60_32
; %bb.33:                               ;   in Loop: Header=BB60_2 Depth=1
	s_or_b64 exec, exec, s[20:21]
	s_branch .LBB60_1
.LBB60_34:
	s_add_u32 s0, s18, s22
	s_addc_u32 s1, s19, 0
	v_lshl_add_u64 v[0:1], s[0:1], 0, v[0:1]
	global_store_byte v[0:1], v61, off
	s_endpgm
	.section	.rodata,"a",@progbits
	.p2align	6, 0x0
	.amdhsa_kernel _Z16sort_keys_kernelIaLj256ELj1EN10test_utils4lessELj10EEvPKT_PS2_T2_
		.amdhsa_group_segment_fixed_size 257
		.amdhsa_private_segment_fixed_size 0
		.amdhsa_kernarg_size 20
		.amdhsa_user_sgpr_count 2
		.amdhsa_user_sgpr_dispatch_ptr 0
		.amdhsa_user_sgpr_queue_ptr 0
		.amdhsa_user_sgpr_kernarg_segment_ptr 1
		.amdhsa_user_sgpr_dispatch_id 0
		.amdhsa_user_sgpr_kernarg_preload_length 0
		.amdhsa_user_sgpr_kernarg_preload_offset 0
		.amdhsa_user_sgpr_private_segment_size 0
		.amdhsa_uses_dynamic_stack 0
		.amdhsa_enable_private_segment 0
		.amdhsa_system_sgpr_workgroup_id_x 1
		.amdhsa_system_sgpr_workgroup_id_y 0
		.amdhsa_system_sgpr_workgroup_id_z 0
		.amdhsa_system_sgpr_workgroup_info 0
		.amdhsa_system_vgpr_workitem_id 0
		.amdhsa_next_free_vgpr 67
		.amdhsa_next_free_sgpr 25
		.amdhsa_accum_offset 68
		.amdhsa_reserve_vcc 1
		.amdhsa_float_round_mode_32 0
		.amdhsa_float_round_mode_16_64 0
		.amdhsa_float_denorm_mode_32 3
		.amdhsa_float_denorm_mode_16_64 3
		.amdhsa_dx10_clamp 1
		.amdhsa_ieee_mode 1
		.amdhsa_fp16_overflow 0
		.amdhsa_tg_split 0
		.amdhsa_exception_fp_ieee_invalid_op 0
		.amdhsa_exception_fp_denorm_src 0
		.amdhsa_exception_fp_ieee_div_zero 0
		.amdhsa_exception_fp_ieee_overflow 0
		.amdhsa_exception_fp_ieee_underflow 0
		.amdhsa_exception_fp_ieee_inexact 0
		.amdhsa_exception_int_div_zero 0
	.end_amdhsa_kernel
	.section	.text._Z16sort_keys_kernelIaLj256ELj1EN10test_utils4lessELj10EEvPKT_PS2_T2_,"axG",@progbits,_Z16sort_keys_kernelIaLj256ELj1EN10test_utils4lessELj10EEvPKT_PS2_T2_,comdat
.Lfunc_end60:
	.size	_Z16sort_keys_kernelIaLj256ELj1EN10test_utils4lessELj10EEvPKT_PS2_T2_, .Lfunc_end60-_Z16sort_keys_kernelIaLj256ELj1EN10test_utils4lessELj10EEvPKT_PS2_T2_
                                        ; -- End function
	.section	.AMDGPU.csdata,"",@progbits
; Kernel info:
; codeLenInByte = 2388
; NumSgprs: 31
; NumVgprs: 67
; NumAgprs: 0
; TotalNumVgprs: 67
; ScratchSize: 0
; MemoryBound: 0
; FloatMode: 240
; IeeeMode: 1
; LDSByteSize: 257 bytes/workgroup (compile time only)
; SGPRBlocks: 3
; VGPRBlocks: 8
; NumSGPRsForWavesPerEU: 31
; NumVGPRsForWavesPerEU: 67
; AccumOffset: 68
; Occupancy: 7
; WaveLimiterHint : 0
; COMPUTE_PGM_RSRC2:SCRATCH_EN: 0
; COMPUTE_PGM_RSRC2:USER_SGPR: 2
; COMPUTE_PGM_RSRC2:TRAP_HANDLER: 0
; COMPUTE_PGM_RSRC2:TGID_X_EN: 1
; COMPUTE_PGM_RSRC2:TGID_Y_EN: 0
; COMPUTE_PGM_RSRC2:TGID_Z_EN: 0
; COMPUTE_PGM_RSRC2:TIDIG_COMP_CNT: 0
; COMPUTE_PGM_RSRC3_GFX90A:ACCUM_OFFSET: 16
; COMPUTE_PGM_RSRC3_GFX90A:TG_SPLIT: 0
	.section	.text._Z17sort_pairs_kernelIaLj256ELj1EN10test_utils4lessELj10EEvPKT_PS2_T2_,"axG",@progbits,_Z17sort_pairs_kernelIaLj256ELj1EN10test_utils4lessELj10EEvPKT_PS2_T2_,comdat
	.protected	_Z17sort_pairs_kernelIaLj256ELj1EN10test_utils4lessELj10EEvPKT_PS2_T2_ ; -- Begin function _Z17sort_pairs_kernelIaLj256ELj1EN10test_utils4lessELj10EEvPKT_PS2_T2_
	.globl	_Z17sort_pairs_kernelIaLj256ELj1EN10test_utils4lessELj10EEvPKT_PS2_T2_
	.p2align	8
	.type	_Z17sort_pairs_kernelIaLj256ELj1EN10test_utils4lessELj10EEvPKT_PS2_T2_,@function
_Z17sort_pairs_kernelIaLj256ELj1EN10test_utils4lessELj10EEvPKT_PS2_T2_: ; @_Z17sort_pairs_kernelIaLj256ELj1EN10test_utils4lessELj10EEvPKT_PS2_T2_
; %bb.0:
	s_load_dwordx4 s[16:19], s[0:1], 0x0
	s_lshl_b32 s22, s2, 8
	v_and_b32_e32 v5, 0xfc, v0
	v_and_b32_e32 v7, 0xf8, v0
	v_or_b32_e32 v18, 2, v5
	s_waitcnt lgkmcnt(0)
	s_add_u32 s0, s16, s22
	s_addc_u32 s1, s17, 0
	global_load_ubyte v54, v0, s[0:1]
	v_add_u32_e32 v19, 4, v5
	v_and_b32_e32 v6, 3, v0
	v_and_b32_e32 v9, 0xf0, v0
	v_or_b32_e32 v20, 4, v7
	v_add_u32_e32 v21, 8, v7
	v_sub_u32_e32 v43, v19, v18
	v_and_b32_e32 v8, 7, v0
	v_and_b32_e32 v11, 0xe0, v0
	v_or_b32_e32 v22, 8, v9
	v_add_u32_e32 v23, 16, v9
	v_sub_u32_e32 v44, v21, v20
	v_sub_u32_e32 v50, v6, v43
	v_cmp_ge_i32_e64 s[0:1], v6, v43
	v_and_b32_e32 v10, 15, v0
	v_and_b32_e32 v13, 0xc0, v0
	;; [unrolled: 1-line block ×3, first 2 shown]
	v_or_b32_e32 v24, 16, v11
	v_add_u32_e32 v25, 32, v11
	v_sub_u32_e32 v45, v23, v22
	v_sub_u32_e32 v51, v8, v44
	v_cndmask_b32_e64 v43, 0, v50, s[0:1]
	v_cmp_ge_i32_e64 s[0:1], v8, v44
	v_and_b32_e32 v3, 0xfe, v0
	v_and_b32_e32 v12, 31, v0
	v_or_b32_e32 v26, 32, v13
	v_add_u32_e32 v27, 64, v13
	v_or_b32_e32 v28, 64, v15
	v_add_u32_e32 v29, 0x80, v15
	v_sub_u32_e32 v46, v25, v24
	v_sub_u32_e32 v52, v10, v45
	v_cndmask_b32_e64 v44, 0, v51, s[0:1]
	v_cmp_ge_i32_e64 s[0:1], v10, v45
	v_and_b32_e32 v4, 1, v0
	v_and_b32_e32 v14, 63, v0
	;; [unrolled: 1-line block ×3, first 2 shown]
	v_or_b32_e32 v17, 1, v3
	v_sub_u32_e32 v47, v27, v26
	v_sub_u32_e32 v48, v29, v28
	;; [unrolled: 1-line block ×3, first 2 shown]
	v_cndmask_b32_e64 v45, 0, v52, s[0:1]
	v_cmp_ge_i32_e64 s[0:1], v12, v46
	v_mov_b32_e32 v2, 0x80
	v_add_u32_e32 v30, -1, v4
	v_sub_u32_e32 v37, v17, v3
	v_cmp_lt_i32_e32 vcc, 0, v4
	v_sub_u32_e32 v38, v18, v5
	v_sub_u32_e32 v39, v20, v7
	;; [unrolled: 1-line block ×8, first 2 shown]
	v_cndmask_b32_e64 v46, 0, v53, s[0:1]
	v_cmp_ge_i32_e64 s[0:1], v14, v47
	v_cmp_ge_i32_e64 s[10:11], v16, v48
	v_cndmask_b32_e32 v30, 0, v30, vcc
	v_min_i32_e32 v37, v4, v37
	v_min_i32_e32 v38, v6, v38
	;; [unrolled: 1-line block ×6, first 2 shown]
	v_cndmask_b32_e64 v47, 0, v55, s[0:1]
	v_cndmask_b32_e64 v48, 0, v56, s[10:11]
	v_min_i32_e32 v49, v16, v49
	v_sub_u32_e64 v51, v0, v2 clamp
	v_min_i32_e32 v52, 0x80, v0
	s_mov_b32 s23, 0
	v_mov_b32_e32 v1, 0
	v_add_u32_e32 v31, v17, v4
	v_add_u32_e32 v32, v18, v6
	;; [unrolled: 1-line block ×6, first 2 shown]
	v_cmp_lt_i32_e32 vcc, v30, v37
	v_cmp_lt_i32_e64 s[0:1], v43, v38
	v_cmp_lt_i32_e64 s[2:3], v44, v39
	;; [unrolled: 1-line block ×5, first 2 shown]
	s_waitcnt vmcnt(0)
	v_add_u16_e32 v55, 1, v54
	v_cmp_lt_i32_e64 s[10:11], v48, v49
	v_add_u32_e32 v50, v28, v16
	v_cmp_lt_i32_e64 s[12:13], v51, v52
	v_add_u32_e32 v53, 0x80, v0
	s_movk_i32 s24, 0x100
	s_branch .LBB61_2
.LBB61_1:                               ;   in Loop: Header=BB61_2 Depth=1
	s_or_b64 exec, exec, s[16:17]
	v_sub_u32_e32 v57, v53, v56
	ds_read_u8 v54, v56
	ds_read_u8 v58, v57
	v_cmp_le_i32_e64 s[14:15], v2, v56
	v_cmp_gt_i32_e64 s[16:17], s24, v57
	s_waitcnt lgkmcnt(0)
	s_barrier
	v_cmp_lt_i16_sdwa s[20:21], sext(v58), sext(v54) src0_sel:BYTE_0 src1_sel:BYTE_0
	s_or_b64 s[14:15], s[14:15], s[20:21]
	s_and_b64 s[14:15], s[16:17], s[14:15]
	v_cndmask_b32_e64 v56, v56, v57, s[14:15]
	ds_write_b8 v0, v55
	s_waitcnt lgkmcnt(0)
	s_barrier
	ds_read_u8 v55, v56
	s_add_i32 s23, s23, 1
	v_cndmask_b32_e64 v54, v54, v58, s[14:15]
	s_cmp_lg_u32 s23, 10
	s_cbranch_scc0 .LBB61_34
.LBB61_2:                               ; =>This Loop Header: Depth=1
                                        ;     Child Loop BB61_4 Depth 2
                                        ;     Child Loop BB61_8 Depth 2
	;; [unrolled: 1-line block ×8, first 2 shown]
	s_barrier
	ds_write_b8 v0, v54
	v_mov_b32_e32 v54, v30
	s_waitcnt lgkmcnt(0)
	s_barrier
	s_and_saveexec_b64 s[16:17], vcc
	s_cbranch_execz .LBB61_6
; %bb.3:                                ;   in Loop: Header=BB61_2 Depth=1
	s_mov_b64 s[20:21], 0
	v_mov_b32_e32 v54, v30
	v_mov_b32_e32 v56, v37
.LBB61_4:                               ;   Parent Loop BB61_2 Depth=1
                                        ; =>  This Inner Loop Header: Depth=2
	v_sub_u32_e32 v57, v56, v54
	v_lshrrev_b32_e32 v58, 31, v57
	v_add_u32_e32 v57, v57, v58
	v_ashrrev_i32_e32 v57, 1, v57
	v_add_u32_e32 v57, v57, v54
	v_not_b32_e32 v59, v57
	v_add_u32_e32 v58, v3, v57
	v_add3_u32 v59, v4, v59, v17
	ds_read_i8 v58, v58
	ds_read_i8 v59, v59
	v_add_u32_e32 v60, 1, v57
	s_waitcnt lgkmcnt(0)
	v_cmp_lt_i16_e64 s[14:15], v59, v58
	s_nop 1
	v_cndmask_b32_e64 v56, v56, v57, s[14:15]
	v_cndmask_b32_e64 v54, v60, v54, s[14:15]
	v_cmp_ge_i32_e64 s[14:15], v54, v56
	s_or_b64 s[20:21], s[14:15], s[20:21]
	s_andn2_b64 exec, exec, s[20:21]
	s_cbranch_execnz .LBB61_4
; %bb.5:                                ;   in Loop: Header=BB61_2 Depth=1
	s_or_b64 exec, exec, s[20:21]
.LBB61_6:                               ;   in Loop: Header=BB61_2 Depth=1
	s_or_b64 exec, exec, s[16:17]
	v_add_u32_e32 v56, v54, v3
	v_sub_u32_e32 v54, v31, v54
	ds_read_u8 v57, v56
	ds_read_u8 v58, v54
	v_cmp_le_i32_e64 s[16:17], v17, v56
	v_cmp_ge_i32_e64 s[14:15], v17, v54
	s_waitcnt lgkmcnt(0)
	s_barrier
	v_cmp_lt_i16_sdwa s[20:21], sext(v58), sext(v57) src0_sel:BYTE_0 src1_sel:BYTE_0
	s_or_b64 s[16:17], s[16:17], s[20:21]
	s_and_b64 s[14:15], s[14:15], s[16:17]
	v_cndmask_b32_e64 v54, v56, v54, s[14:15]
	ds_write_b8 v0, v55
	s_waitcnt lgkmcnt(0)
	s_barrier
	ds_read_u8 v54, v54
	v_cndmask_b32_e64 v57, v57, v58, s[14:15]
	v_mov_b32_e32 v55, v43
	s_waitcnt lgkmcnt(0)
	s_barrier
	ds_write_b8 v0, v57
	s_waitcnt lgkmcnt(0)
	s_barrier
	s_and_saveexec_b64 s[16:17], s[0:1]
	s_cbranch_execz .LBB61_10
; %bb.7:                                ;   in Loop: Header=BB61_2 Depth=1
	s_mov_b64 s[20:21], 0
	v_mov_b32_e32 v55, v43
	v_mov_b32_e32 v56, v38
.LBB61_8:                               ;   Parent Loop BB61_2 Depth=1
                                        ; =>  This Inner Loop Header: Depth=2
	v_sub_u32_e32 v57, v56, v55
	v_lshrrev_b32_e32 v58, 31, v57
	v_add_u32_e32 v57, v57, v58
	v_ashrrev_i32_e32 v57, 1, v57
	v_add_u32_e32 v57, v57, v55
	v_not_b32_e32 v59, v57
	v_add_u32_e32 v58, v5, v57
	v_add3_u32 v59, v6, v59, v18
	ds_read_i8 v58, v58
	ds_read_i8 v59, v59
	v_add_u32_e32 v60, 1, v57
	s_waitcnt lgkmcnt(0)
	v_cmp_lt_i16_e64 s[14:15], v59, v58
	s_nop 1
	v_cndmask_b32_e64 v56, v56, v57, s[14:15]
	v_cndmask_b32_e64 v55, v60, v55, s[14:15]
	v_cmp_ge_i32_e64 s[14:15], v55, v56
	s_or_b64 s[20:21], s[14:15], s[20:21]
	s_andn2_b64 exec, exec, s[20:21]
	s_cbranch_execnz .LBB61_8
; %bb.9:                                ;   in Loop: Header=BB61_2 Depth=1
	s_or_b64 exec, exec, s[20:21]
.LBB61_10:                              ;   in Loop: Header=BB61_2 Depth=1
	s_or_b64 exec, exec, s[16:17]
	v_add_u32_e32 v56, v55, v5
	v_sub_u32_e32 v55, v32, v55
	ds_read_u8 v57, v56
	ds_read_u8 v58, v55
	v_cmp_le_i32_e64 s[16:17], v18, v56
	v_cmp_gt_i32_e64 s[14:15], v19, v55
	s_waitcnt lgkmcnt(0)
	s_barrier
	v_cmp_lt_i16_sdwa s[20:21], sext(v58), sext(v57) src0_sel:BYTE_0 src1_sel:BYTE_0
	s_or_b64 s[16:17], s[16:17], s[20:21]
	s_and_b64 s[14:15], s[14:15], s[16:17]
	v_cndmask_b32_e64 v55, v56, v55, s[14:15]
	ds_write_b8 v0, v54
	s_waitcnt lgkmcnt(0)
	s_barrier
	ds_read_u8 v54, v55
	v_cndmask_b32_e64 v57, v57, v58, s[14:15]
	v_mov_b32_e32 v55, v44
	s_waitcnt lgkmcnt(0)
	s_barrier
	ds_write_b8 v0, v57
	s_waitcnt lgkmcnt(0)
	s_barrier
	s_and_saveexec_b64 s[16:17], s[2:3]
	s_cbranch_execz .LBB61_14
; %bb.11:                               ;   in Loop: Header=BB61_2 Depth=1
	s_mov_b64 s[20:21], 0
	v_mov_b32_e32 v55, v44
	v_mov_b32_e32 v56, v39
.LBB61_12:                              ;   Parent Loop BB61_2 Depth=1
                                        ; =>  This Inner Loop Header: Depth=2
	v_sub_u32_e32 v57, v56, v55
	v_lshrrev_b32_e32 v58, 31, v57
	v_add_u32_e32 v57, v57, v58
	v_ashrrev_i32_e32 v57, 1, v57
	v_add_u32_e32 v57, v57, v55
	v_not_b32_e32 v59, v57
	v_add_u32_e32 v58, v7, v57
	v_add3_u32 v59, v8, v59, v20
	ds_read_i8 v58, v58
	ds_read_i8 v59, v59
	v_add_u32_e32 v60, 1, v57
	s_waitcnt lgkmcnt(0)
	v_cmp_lt_i16_e64 s[14:15], v59, v58
	s_nop 1
	v_cndmask_b32_e64 v56, v56, v57, s[14:15]
	v_cndmask_b32_e64 v55, v60, v55, s[14:15]
	v_cmp_ge_i32_e64 s[14:15], v55, v56
	s_or_b64 s[20:21], s[14:15], s[20:21]
	s_andn2_b64 exec, exec, s[20:21]
	s_cbranch_execnz .LBB61_12
; %bb.13:                               ;   in Loop: Header=BB61_2 Depth=1
	s_or_b64 exec, exec, s[20:21]
.LBB61_14:                              ;   in Loop: Header=BB61_2 Depth=1
	s_or_b64 exec, exec, s[16:17]
	v_add_u32_e32 v56, v55, v7
	v_sub_u32_e32 v55, v33, v55
	ds_read_u8 v57, v56
	ds_read_u8 v58, v55
	v_cmp_le_i32_e64 s[16:17], v20, v56
	v_cmp_gt_i32_e64 s[14:15], v21, v55
	s_waitcnt lgkmcnt(0)
	s_barrier
	v_cmp_lt_i16_sdwa s[20:21], sext(v58), sext(v57) src0_sel:BYTE_0 src1_sel:BYTE_0
	s_or_b64 s[16:17], s[16:17], s[20:21]
	s_and_b64 s[14:15], s[14:15], s[16:17]
	v_cndmask_b32_e64 v55, v56, v55, s[14:15]
	ds_write_b8 v0, v54
	s_waitcnt lgkmcnt(0)
	s_barrier
	ds_read_u8 v54, v55
	v_cndmask_b32_e64 v57, v57, v58, s[14:15]
	v_mov_b32_e32 v55, v45
	s_waitcnt lgkmcnt(0)
	s_barrier
	ds_write_b8 v0, v57
	s_waitcnt lgkmcnt(0)
	s_barrier
	s_and_saveexec_b64 s[16:17], s[4:5]
	s_cbranch_execz .LBB61_18
; %bb.15:                               ;   in Loop: Header=BB61_2 Depth=1
	s_mov_b64 s[20:21], 0
	v_mov_b32_e32 v55, v45
	v_mov_b32_e32 v56, v40
.LBB61_16:                              ;   Parent Loop BB61_2 Depth=1
                                        ; =>  This Inner Loop Header: Depth=2
	v_sub_u32_e32 v57, v56, v55
	v_lshrrev_b32_e32 v58, 31, v57
	v_add_u32_e32 v57, v57, v58
	v_ashrrev_i32_e32 v57, 1, v57
	v_add_u32_e32 v57, v57, v55
	v_not_b32_e32 v59, v57
	v_add_u32_e32 v58, v9, v57
	v_add3_u32 v59, v10, v59, v22
	ds_read_i8 v58, v58
	ds_read_i8 v59, v59
	v_add_u32_e32 v60, 1, v57
	s_waitcnt lgkmcnt(0)
	v_cmp_lt_i16_e64 s[14:15], v59, v58
	s_nop 1
	v_cndmask_b32_e64 v56, v56, v57, s[14:15]
	v_cndmask_b32_e64 v55, v60, v55, s[14:15]
	v_cmp_ge_i32_e64 s[14:15], v55, v56
	s_or_b64 s[20:21], s[14:15], s[20:21]
	s_andn2_b64 exec, exec, s[20:21]
	s_cbranch_execnz .LBB61_16
; %bb.17:                               ;   in Loop: Header=BB61_2 Depth=1
	s_or_b64 exec, exec, s[20:21]
.LBB61_18:                              ;   in Loop: Header=BB61_2 Depth=1
	;; [unrolled: 55-line block ×5, first 2 shown]
	s_or_b64 exec, exec, s[16:17]
	v_add_u32_e32 v56, v55, v15
	v_sub_u32_e32 v55, v50, v55
	ds_read_u8 v57, v56
	ds_read_u8 v58, v55
	v_cmp_le_i32_e64 s[16:17], v28, v56
	v_cmp_gt_i32_e64 s[14:15], v29, v55
	s_waitcnt lgkmcnt(0)
	s_barrier
	v_cmp_lt_i16_sdwa s[20:21], sext(v58), sext(v57) src0_sel:BYTE_0 src1_sel:BYTE_0
	s_or_b64 s[16:17], s[16:17], s[20:21]
	s_and_b64 s[14:15], s[14:15], s[16:17]
	v_cndmask_b32_e64 v55, v56, v55, s[14:15]
	ds_write_b8 v0, v54
	s_waitcnt lgkmcnt(0)
	s_barrier
	ds_read_u8 v55, v55
	v_cndmask_b32_e64 v57, v57, v58, s[14:15]
	v_mov_b32_e32 v56, v51
	s_waitcnt lgkmcnt(0)
	s_barrier
	ds_write_b8 v0, v57
	s_waitcnt lgkmcnt(0)
	s_barrier
	s_and_saveexec_b64 s[16:17], s[12:13]
	s_cbranch_execz .LBB61_1
; %bb.31:                               ;   in Loop: Header=BB61_2 Depth=1
	s_mov_b64 s[20:21], 0
	v_mov_b32_e32 v56, v51
	v_mov_b32_e32 v54, v52
.LBB61_32:                              ;   Parent Loop BB61_2 Depth=1
                                        ; =>  This Inner Loop Header: Depth=2
	v_sub_u32_e32 v57, v54, v56
	v_lshrrev_b32_e32 v58, 31, v57
	v_add_u32_e32 v57, v57, v58
	v_ashrrev_i32_e32 v57, 1, v57
	v_add_u32_e32 v57, v57, v56
	v_not_b32_e32 v58, v57
	v_add3_u32 v58, v0, v58, v2
	ds_read_i8 v59, v57
	ds_read_i8 v58, v58
	v_add_u32_e32 v60, 1, v57
	s_waitcnt lgkmcnt(0)
	v_cmp_lt_i16_e64 s[14:15], v58, v59
	s_nop 1
	v_cndmask_b32_e64 v54, v54, v57, s[14:15]
	v_cndmask_b32_e64 v56, v60, v56, s[14:15]
	v_cmp_ge_i32_e64 s[14:15], v56, v54
	s_or_b64 s[20:21], s[14:15], s[20:21]
	s_andn2_b64 exec, exec, s[20:21]
	s_cbranch_execnz .LBB61_32
; %bb.33:                               ;   in Loop: Header=BB61_2 Depth=1
	s_or_b64 exec, exec, s[20:21]
	s_branch .LBB61_1
.LBB61_34:
	s_add_u32 s0, s18, s22
	s_addc_u32 s1, s19, 0
	s_waitcnt lgkmcnt(0)
	v_add_u16_e32 v2, v54, v55
	v_lshl_add_u64 v[0:1], s[0:1], 0, v[0:1]
	global_store_byte v[0:1], v2, off
	s_endpgm
	.section	.rodata,"a",@progbits
	.p2align	6, 0x0
	.amdhsa_kernel _Z17sort_pairs_kernelIaLj256ELj1EN10test_utils4lessELj10EEvPKT_PS2_T2_
		.amdhsa_group_segment_fixed_size 257
		.amdhsa_private_segment_fixed_size 0
		.amdhsa_kernarg_size 20
		.amdhsa_user_sgpr_count 2
		.amdhsa_user_sgpr_dispatch_ptr 0
		.amdhsa_user_sgpr_queue_ptr 0
		.amdhsa_user_sgpr_kernarg_segment_ptr 1
		.amdhsa_user_sgpr_dispatch_id 0
		.amdhsa_user_sgpr_kernarg_preload_length 0
		.amdhsa_user_sgpr_kernarg_preload_offset 0
		.amdhsa_user_sgpr_private_segment_size 0
		.amdhsa_uses_dynamic_stack 0
		.amdhsa_enable_private_segment 0
		.amdhsa_system_sgpr_workgroup_id_x 1
		.amdhsa_system_sgpr_workgroup_id_y 0
		.amdhsa_system_sgpr_workgroup_id_z 0
		.amdhsa_system_sgpr_workgroup_info 0
		.amdhsa_system_vgpr_workitem_id 0
		.amdhsa_next_free_vgpr 61
		.amdhsa_next_free_sgpr 25
		.amdhsa_accum_offset 64
		.amdhsa_reserve_vcc 1
		.amdhsa_float_round_mode_32 0
		.amdhsa_float_round_mode_16_64 0
		.amdhsa_float_denorm_mode_32 3
		.amdhsa_float_denorm_mode_16_64 3
		.amdhsa_dx10_clamp 1
		.amdhsa_ieee_mode 1
		.amdhsa_fp16_overflow 0
		.amdhsa_tg_split 0
		.amdhsa_exception_fp_ieee_invalid_op 0
		.amdhsa_exception_fp_denorm_src 0
		.amdhsa_exception_fp_ieee_div_zero 0
		.amdhsa_exception_fp_ieee_overflow 0
		.amdhsa_exception_fp_ieee_underflow 0
		.amdhsa_exception_fp_ieee_inexact 0
		.amdhsa_exception_int_div_zero 0
	.end_amdhsa_kernel
	.section	.text._Z17sort_pairs_kernelIaLj256ELj1EN10test_utils4lessELj10EEvPKT_PS2_T2_,"axG",@progbits,_Z17sort_pairs_kernelIaLj256ELj1EN10test_utils4lessELj10EEvPKT_PS2_T2_,comdat
.Lfunc_end61:
	.size	_Z17sort_pairs_kernelIaLj256ELj1EN10test_utils4lessELj10EEvPKT_PS2_T2_, .Lfunc_end61-_Z17sort_pairs_kernelIaLj256ELj1EN10test_utils4lessELj10EEvPKT_PS2_T2_
                                        ; -- End function
	.section	.AMDGPU.csdata,"",@progbits
; Kernel info:
; codeLenInByte = 2716
; NumSgprs: 31
; NumVgprs: 61
; NumAgprs: 0
; TotalNumVgprs: 61
; ScratchSize: 0
; MemoryBound: 0
; FloatMode: 240
; IeeeMode: 1
; LDSByteSize: 257 bytes/workgroup (compile time only)
; SGPRBlocks: 3
; VGPRBlocks: 7
; NumSGPRsForWavesPerEU: 31
; NumVGPRsForWavesPerEU: 61
; AccumOffset: 64
; Occupancy: 8
; WaveLimiterHint : 0
; COMPUTE_PGM_RSRC2:SCRATCH_EN: 0
; COMPUTE_PGM_RSRC2:USER_SGPR: 2
; COMPUTE_PGM_RSRC2:TRAP_HANDLER: 0
; COMPUTE_PGM_RSRC2:TGID_X_EN: 1
; COMPUTE_PGM_RSRC2:TGID_Y_EN: 0
; COMPUTE_PGM_RSRC2:TGID_Z_EN: 0
; COMPUTE_PGM_RSRC2:TIDIG_COMP_CNT: 0
; COMPUTE_PGM_RSRC3_GFX90A:ACCUM_OFFSET: 15
; COMPUTE_PGM_RSRC3_GFX90A:TG_SPLIT: 0
	.section	.text._Z16sort_keys_kernelIaLj256ELj2EN10test_utils4lessELj10EEvPKT_PS2_T2_,"axG",@progbits,_Z16sort_keys_kernelIaLj256ELj2EN10test_utils4lessELj10EEvPKT_PS2_T2_,comdat
	.protected	_Z16sort_keys_kernelIaLj256ELj2EN10test_utils4lessELj10EEvPKT_PS2_T2_ ; -- Begin function _Z16sort_keys_kernelIaLj256ELj2EN10test_utils4lessELj10EEvPKT_PS2_T2_
	.globl	_Z16sort_keys_kernelIaLj256ELj2EN10test_utils4lessELj10EEvPKT_PS2_T2_
	.p2align	8
	.type	_Z16sort_keys_kernelIaLj256ELj2EN10test_utils4lessELj10EEvPKT_PS2_T2_,@function
_Z16sort_keys_kernelIaLj256ELj2EN10test_utils4lessELj10EEvPKT_PS2_T2_: ; @_Z16sort_keys_kernelIaLj256ELj2EN10test_utils4lessELj10EEvPKT_PS2_T2_
; %bb.0:
	s_load_dwordx4 s[20:23], s[0:1], 0x0
	s_lshl_b32 s24, s2, 9
	v_lshlrev_b32_e32 v3, 1, v0
	v_and_b32_e32 v4, 0x1fc, v3
	v_and_b32_e32 v6, 0x1f8, v3
	s_waitcnt lgkmcnt(0)
	s_add_u32 s0, s20, s24
	s_addc_u32 s1, s21, 0
	global_load_ubyte v49, v0, s[0:1]
	global_load_ubyte v50, v0, s[0:1] offset:256
	v_or_b32_e32 v18, 2, v4
	v_add_u32_e32 v19, 4, v4
	v_and_b32_e32 v5, 2, v3
	v_and_b32_e32 v8, 0x1f0, v3
	v_or_b32_e32 v20, 4, v6
	v_add_u32_e32 v21, 8, v6
	v_sub_u32_e32 v43, v19, v18
	v_and_b32_e32 v7, 6, v3
	v_and_b32_e32 v10, 0x1e0, v3
	v_or_b32_e32 v22, 8, v8
	v_add_u32_e32 v23, 16, v8
	v_sub_u32_e32 v44, v21, v20
	v_sub_u32_e32 v51, v5, v43
	v_cmp_ge_i32_e32 vcc, v5, v43
	v_and_b32_e32 v9, 14, v3
	v_and_b32_e32 v12, 0x1c0, v3
	v_or_b32_e32 v24, 16, v10
	v_add_u32_e32 v25, 32, v10
	v_sub_u32_e32 v45, v23, v22
	v_sub_u32_e32 v52, v7, v44
	v_cndmask_b32_e32 v43, 0, v51, vcc
	v_cmp_ge_i32_e32 vcc, v7, v44
	v_and_b32_e32 v11, 30, v3
	v_and_b32_e32 v14, 0x180, v3
	v_or_b32_e32 v26, 32, v12
	v_add_u32_e32 v27, 64, v12
	v_sub_u32_e32 v46, v25, v24
	v_sub_u32_e32 v53, v9, v45
	v_cndmask_b32_e32 v44, 0, v52, vcc
	v_cmp_ge_i32_e32 vcc, v9, v45
	v_and_b32_e32 v13, 62, v3
	v_or_b32_e32 v28, 64, v14
	v_add_u32_e32 v29, 0x80, v14
	v_sub_u32_e32 v47, v27, v26
	v_sub_u32_e32 v54, v11, v46
	v_cndmask_b32_e32 v45, 0, v53, vcc
	v_cmp_ge_i32_e32 vcc, v11, v46
	v_and_b32_e32 v15, 0x7e, v3
	v_sub_u32_e32 v48, v29, v28
	v_sub_u32_e32 v55, v13, v47
	v_cndmask_b32_e32 v46, 0, v54, vcc
	v_cmp_ge_i32_e32 vcc, v13, v47
	v_and_b32_e32 v16, 0x100, v3
	v_sub_u32_e32 v56, v15, v48
	v_cndmask_b32_e32 v47, 0, v55, vcc
	v_cmp_ge_i32_e32 vcc, v15, v48
	v_or_b32_e32 v30, 0x80, v16
	v_and_b32_e32 v17, 0xfe, v3
	v_cndmask_b32_e32 v48, 0, v56, vcc
	v_mov_b32_e32 v2, 0x100
	v_sub_u32_e32 v37, v18, v4
	v_sub_u32_e32 v38, v20, v6
	;; [unrolled: 1-line block ×7, first 2 shown]
	v_min_i32_e32 v37, v5, v37
	v_min_i32_e32 v38, v7, v38
	;; [unrolled: 1-line block ×7, first 2 shown]
	v_sub_u32_e64 v53, v3, v2 clamp
	v_min_i32_e32 v54, 0x100, v3
	s_mov_b32 s20, 0
	v_mov_b32_e32 v1, 0
	v_add_u32_e32 v31, v18, v5
	v_add_u32_e32 v32, v20, v7
	;; [unrolled: 1-line block ×6, first 2 shown]
	v_cmp_lt_i32_e32 vcc, v43, v37
	v_cmp_lt_i32_e64 s[0:1], v44, v38
	v_cmp_lt_i32_e64 s[2:3], v45, v39
	;; [unrolled: 1-line block ×4, first 2 shown]
	s_waitcnt vmcnt(0)
	v_lshlrev_b16_e32 v50, 8, v50
	v_or_b32_e32 v49, v49, v50
	v_and_b32_e32 v56, 0xffff, v49
	v_add_u32_e32 v49, 0x100, v16
	v_sub_u32_e32 v50, v49, v30
	v_sub_u32_e32 v52, v17, v50
	v_cmp_ge_i32_e64 s[10:11], v17, v50
	v_cmp_lt_i32_e64 s[8:9], v48, v42
	v_cmp_lt_i32_e64 s[12:13], v53, v54
	v_cndmask_b32_e64 v50, 0, v52, s[10:11]
	v_cmp_lt_i32_e64 s[10:11], v50, v51
	v_add_u32_e32 v52, v30, v17
	v_add_u32_e32 v55, 0x100, v3
	s_mov_b32 s21, 0xc0c0001
	s_movk_i32 s25, 0x200
	s_branch .LBB62_2
.LBB62_1:                               ;   in Loop: Header=BB62_2 Depth=1
	s_or_b64 exec, exec, s[16:17]
	v_cmp_ge_i32_e64 s[16:17], v61, v2
	s_waitcnt lgkmcnt(0)
	v_cmp_lt_i16_sdwa s[18:19], sext(v62), sext(v60) src0_sel:BYTE_0 src1_sel:BYTE_0
	v_cndmask_b32_e64 v58, v58, v59, s[14:15]
	v_cmp_gt_i32_e64 s[14:15], s25, v57
	s_or_b64 s[16:17], s[16:17], s[18:19]
	s_and_b64 s[14:15], s[14:15], s[16:17]
	v_cndmask_b32_e64 v57, v60, v62, s[14:15]
	v_lshlrev_b16_e32 v56, 8, v57
	v_or_b32_sdwa v56, v58, v56 dst_sel:DWORD dst_unused:UNUSED_PAD src0_sel:BYTE_0 src1_sel:DWORD
	s_add_i32 s20, s20, 1
	s_cmp_eq_u32 s20, 10
	v_and_b32_e32 v56, 0xffff, v56
	s_cbranch_scc1 .LBB62_66
.LBB62_2:                               ; =>This Loop Header: Depth=1
                                        ;     Child Loop BB62_4 Depth 2
                                        ;     Child Loop BB62_12 Depth 2
	;; [unrolled: 1-line block ×8, first 2 shown]
	v_perm_b32 v57, 0, v56, s21
	v_cmp_lt_i16_sdwa s[14:15], sext(v56), sext(v56) src0_sel:BYTE_1 src1_sel:BYTE_0
	s_barrier
	s_nop 0
	v_cndmask_b32_e64 v56, v56, v57, s[14:15]
	ds_write_b8 v3, v56
	v_lshrrev_b16_e32 v56, 8, v56
	v_mov_b32_e32 v57, v43
	ds_write_b8 v3, v56 offset:1
	s_waitcnt lgkmcnt(0)
	s_barrier
	s_and_saveexec_b64 s[16:17], vcc
	s_cbranch_execz .LBB62_6
; %bb.3:                                ;   in Loop: Header=BB62_2 Depth=1
	s_mov_b64 s[18:19], 0
	v_mov_b32_e32 v57, v43
	v_mov_b32_e32 v56, v37
.LBB62_4:                               ;   Parent Loop BB62_2 Depth=1
                                        ; =>  This Inner Loop Header: Depth=2
	v_sub_u32_e32 v58, v56, v57
	v_lshrrev_b32_e32 v59, 31, v58
	v_add_u32_e32 v58, v58, v59
	v_ashrrev_i32_e32 v58, 1, v58
	v_add_u32_e32 v58, v58, v57
	v_not_b32_e32 v60, v58
	v_add_u32_e32 v59, v4, v58
	v_add3_u32 v60, v5, v60, v18
	ds_read_i8 v59, v59
	ds_read_i8 v60, v60
	v_add_u32_e32 v61, 1, v58
	s_waitcnt lgkmcnt(0)
	v_cmp_lt_i16_e64 s[14:15], v60, v59
	s_nop 1
	v_cndmask_b32_e64 v56, v56, v58, s[14:15]
	v_cndmask_b32_e64 v57, v61, v57, s[14:15]
	v_cmp_ge_i32_e64 s[14:15], v57, v56
	s_or_b64 s[18:19], s[14:15], s[18:19]
	s_andn2_b64 exec, exec, s[18:19]
	s_cbranch_execnz .LBB62_4
; %bb.5:                                ;   in Loop: Header=BB62_2 Depth=1
	s_or_b64 exec, exec, s[18:19]
.LBB62_6:                               ;   in Loop: Header=BB62_2 Depth=1
	s_or_b64 exec, exec, s[16:17]
	v_add_u32_e32 v56, v57, v4
	v_sub_u32_e32 v57, v31, v57
	ds_read_u8 v58, v56
	ds_read_u8 v59, v57
	v_cmp_le_i32_e64 s[16:17], v18, v56
	v_cmp_gt_i32_e64 s[14:15], v19, v57
                                        ; implicit-def: $vgpr60
	s_waitcnt lgkmcnt(1)
	v_bfe_i32 v58, v58, 0, 8
	s_waitcnt lgkmcnt(0)
	v_bfe_i32 v59, v59, 0, 8
	v_cmp_lt_i16_e64 s[18:19], v59, v58
	s_or_b64 s[16:17], s[16:17], s[18:19]
	s_and_b64 s[14:15], s[14:15], s[16:17]
	s_xor_b64 s[16:17], s[14:15], -1
	s_and_saveexec_b64 s[18:19], s[16:17]
	s_xor_b64 s[16:17], exec, s[18:19]
	s_cbranch_execz .LBB62_8
; %bb.7:                                ;   in Loop: Header=BB62_2 Depth=1
	ds_read_u8 v60, v56 offset:1
.LBB62_8:                               ;   in Loop: Header=BB62_2 Depth=1
	s_or_saveexec_b64 s[16:17], s[16:17]
	v_mov_b32_e32 v61, v59
	s_xor_b64 exec, exec, s[16:17]
	s_cbranch_execz .LBB62_10
; %bb.9:                                ;   in Loop: Header=BB62_2 Depth=1
	ds_read_u8 v61, v57 offset:1
	s_waitcnt lgkmcnt(1)
	v_mov_b32_e32 v60, v58
.LBB62_10:                              ;   in Loop: Header=BB62_2 Depth=1
	s_or_b64 exec, exec, s[16:17]
	v_add_u32_e32 v62, 1, v56
	v_cndmask_b32_e64 v58, v58, v59, s[14:15]
	v_add_u32_e32 v59, 1, v57
	v_cndmask_b32_e64 v56, v62, v56, s[14:15]
	v_cndmask_b32_e64 v57, v57, v59, s[14:15]
	v_cmp_ge_i32_e64 s[16:17], v56, v18
	s_waitcnt lgkmcnt(0)
	v_cmp_lt_i16_sdwa s[18:19], sext(v61), sext(v60) src0_sel:BYTE_0 src1_sel:BYTE_0
	v_cmp_lt_i32_e64 s[14:15], v57, v19
	s_or_b64 s[16:17], s[16:17], s[18:19]
	s_and_b64 s[14:15], s[14:15], s[16:17]
	v_mov_b32_e32 v57, v44
	v_cndmask_b32_e64 v56, v60, v61, s[14:15]
	s_barrier
	ds_write_b8 v3, v58
	ds_write_b8 v3, v56 offset:1
	s_waitcnt lgkmcnt(0)
	s_barrier
	s_and_saveexec_b64 s[16:17], s[0:1]
	s_cbranch_execz .LBB62_14
; %bb.11:                               ;   in Loop: Header=BB62_2 Depth=1
	s_mov_b64 s[18:19], 0
	v_mov_b32_e32 v57, v44
	v_mov_b32_e32 v56, v38
.LBB62_12:                              ;   Parent Loop BB62_2 Depth=1
                                        ; =>  This Inner Loop Header: Depth=2
	v_sub_u32_e32 v58, v56, v57
	v_lshrrev_b32_e32 v59, 31, v58
	v_add_u32_e32 v58, v58, v59
	v_ashrrev_i32_e32 v58, 1, v58
	v_add_u32_e32 v58, v58, v57
	v_not_b32_e32 v60, v58
	v_add_u32_e32 v59, v6, v58
	v_add3_u32 v60, v7, v60, v20
	ds_read_i8 v59, v59
	ds_read_i8 v60, v60
	v_add_u32_e32 v61, 1, v58
	s_waitcnt lgkmcnt(0)
	v_cmp_lt_i16_e64 s[14:15], v60, v59
	s_nop 1
	v_cndmask_b32_e64 v56, v56, v58, s[14:15]
	v_cndmask_b32_e64 v57, v61, v57, s[14:15]
	v_cmp_ge_i32_e64 s[14:15], v57, v56
	s_or_b64 s[18:19], s[14:15], s[18:19]
	s_andn2_b64 exec, exec, s[18:19]
	s_cbranch_execnz .LBB62_12
; %bb.13:                               ;   in Loop: Header=BB62_2 Depth=1
	s_or_b64 exec, exec, s[18:19]
.LBB62_14:                              ;   in Loop: Header=BB62_2 Depth=1
	s_or_b64 exec, exec, s[16:17]
	v_add_u32_e32 v56, v57, v6
	v_sub_u32_e32 v57, v32, v57
	ds_read_u8 v58, v56
	ds_read_u8 v59, v57
	v_cmp_le_i32_e64 s[16:17], v20, v56
	v_cmp_gt_i32_e64 s[14:15], v21, v57
                                        ; implicit-def: $vgpr60
	s_waitcnt lgkmcnt(1)
	v_bfe_i32 v58, v58, 0, 8
	s_waitcnt lgkmcnt(0)
	v_bfe_i32 v59, v59, 0, 8
	v_cmp_lt_i16_e64 s[18:19], v59, v58
	s_or_b64 s[16:17], s[16:17], s[18:19]
	s_and_b64 s[14:15], s[14:15], s[16:17]
	s_xor_b64 s[16:17], s[14:15], -1
	s_and_saveexec_b64 s[18:19], s[16:17]
	s_xor_b64 s[16:17], exec, s[18:19]
	s_cbranch_execz .LBB62_16
; %bb.15:                               ;   in Loop: Header=BB62_2 Depth=1
	ds_read_u8 v60, v56 offset:1
.LBB62_16:                              ;   in Loop: Header=BB62_2 Depth=1
	s_or_saveexec_b64 s[16:17], s[16:17]
	v_mov_b32_e32 v61, v59
	s_xor_b64 exec, exec, s[16:17]
	s_cbranch_execz .LBB62_18
; %bb.17:                               ;   in Loop: Header=BB62_2 Depth=1
	ds_read_u8 v61, v57 offset:1
	s_waitcnt lgkmcnt(1)
	v_mov_b32_e32 v60, v58
.LBB62_18:                              ;   in Loop: Header=BB62_2 Depth=1
	s_or_b64 exec, exec, s[16:17]
	v_add_u32_e32 v62, 1, v56
	v_cndmask_b32_e64 v58, v58, v59, s[14:15]
	v_add_u32_e32 v59, 1, v57
	v_cndmask_b32_e64 v56, v62, v56, s[14:15]
	v_cndmask_b32_e64 v57, v57, v59, s[14:15]
	v_cmp_ge_i32_e64 s[16:17], v56, v20
	s_waitcnt lgkmcnt(0)
	v_cmp_lt_i16_sdwa s[18:19], sext(v61), sext(v60) src0_sel:BYTE_0 src1_sel:BYTE_0
	v_cmp_lt_i32_e64 s[14:15], v57, v21
	s_or_b64 s[16:17], s[16:17], s[18:19]
	s_and_b64 s[14:15], s[14:15], s[16:17]
	v_mov_b32_e32 v57, v45
	v_cndmask_b32_e64 v56, v60, v61, s[14:15]
	s_barrier
	ds_write_b8 v3, v58
	ds_write_b8 v3, v56 offset:1
	s_waitcnt lgkmcnt(0)
	s_barrier
	s_and_saveexec_b64 s[16:17], s[2:3]
	s_cbranch_execz .LBB62_22
; %bb.19:                               ;   in Loop: Header=BB62_2 Depth=1
	s_mov_b64 s[18:19], 0
	v_mov_b32_e32 v57, v45
	v_mov_b32_e32 v56, v39
.LBB62_20:                              ;   Parent Loop BB62_2 Depth=1
                                        ; =>  This Inner Loop Header: Depth=2
	v_sub_u32_e32 v58, v56, v57
	v_lshrrev_b32_e32 v59, 31, v58
	v_add_u32_e32 v58, v58, v59
	v_ashrrev_i32_e32 v58, 1, v58
	v_add_u32_e32 v58, v58, v57
	v_not_b32_e32 v60, v58
	v_add_u32_e32 v59, v8, v58
	v_add3_u32 v60, v9, v60, v22
	ds_read_i8 v59, v59
	ds_read_i8 v60, v60
	v_add_u32_e32 v61, 1, v58
	s_waitcnt lgkmcnt(0)
	v_cmp_lt_i16_e64 s[14:15], v60, v59
	s_nop 1
	v_cndmask_b32_e64 v56, v56, v58, s[14:15]
	v_cndmask_b32_e64 v57, v61, v57, s[14:15]
	v_cmp_ge_i32_e64 s[14:15], v57, v56
	s_or_b64 s[18:19], s[14:15], s[18:19]
	s_andn2_b64 exec, exec, s[18:19]
	s_cbranch_execnz .LBB62_20
; %bb.21:                               ;   in Loop: Header=BB62_2 Depth=1
	s_or_b64 exec, exec, s[18:19]
.LBB62_22:                              ;   in Loop: Header=BB62_2 Depth=1
	s_or_b64 exec, exec, s[16:17]
	v_add_u32_e32 v56, v57, v8
	v_sub_u32_e32 v57, v33, v57
	ds_read_u8 v58, v56
	ds_read_u8 v59, v57
	v_cmp_le_i32_e64 s[16:17], v22, v56
	v_cmp_gt_i32_e64 s[14:15], v23, v57
                                        ; implicit-def: $vgpr60
	s_waitcnt lgkmcnt(1)
	v_bfe_i32 v58, v58, 0, 8
	s_waitcnt lgkmcnt(0)
	v_bfe_i32 v59, v59, 0, 8
	v_cmp_lt_i16_e64 s[18:19], v59, v58
	s_or_b64 s[16:17], s[16:17], s[18:19]
	s_and_b64 s[14:15], s[14:15], s[16:17]
	s_xor_b64 s[16:17], s[14:15], -1
	s_and_saveexec_b64 s[18:19], s[16:17]
	s_xor_b64 s[16:17], exec, s[18:19]
	s_cbranch_execz .LBB62_24
; %bb.23:                               ;   in Loop: Header=BB62_2 Depth=1
	ds_read_u8 v60, v56 offset:1
.LBB62_24:                              ;   in Loop: Header=BB62_2 Depth=1
	s_or_saveexec_b64 s[16:17], s[16:17]
	v_mov_b32_e32 v61, v59
	s_xor_b64 exec, exec, s[16:17]
	s_cbranch_execz .LBB62_26
; %bb.25:                               ;   in Loop: Header=BB62_2 Depth=1
	ds_read_u8 v61, v57 offset:1
	s_waitcnt lgkmcnt(1)
	v_mov_b32_e32 v60, v58
.LBB62_26:                              ;   in Loop: Header=BB62_2 Depth=1
	s_or_b64 exec, exec, s[16:17]
	v_add_u32_e32 v62, 1, v56
	v_cndmask_b32_e64 v58, v58, v59, s[14:15]
	v_add_u32_e32 v59, 1, v57
	v_cndmask_b32_e64 v56, v62, v56, s[14:15]
	v_cndmask_b32_e64 v57, v57, v59, s[14:15]
	v_cmp_ge_i32_e64 s[16:17], v56, v22
	s_waitcnt lgkmcnt(0)
	v_cmp_lt_i16_sdwa s[18:19], sext(v61), sext(v60) src0_sel:BYTE_0 src1_sel:BYTE_0
	v_cmp_lt_i32_e64 s[14:15], v57, v23
	s_or_b64 s[16:17], s[16:17], s[18:19]
	s_and_b64 s[14:15], s[14:15], s[16:17]
	v_mov_b32_e32 v57, v46
	v_cndmask_b32_e64 v56, v60, v61, s[14:15]
	s_barrier
	ds_write_b8 v3, v58
	ds_write_b8 v3, v56 offset:1
	s_waitcnt lgkmcnt(0)
	s_barrier
	s_and_saveexec_b64 s[16:17], s[4:5]
	s_cbranch_execz .LBB62_30
; %bb.27:                               ;   in Loop: Header=BB62_2 Depth=1
	s_mov_b64 s[18:19], 0
	v_mov_b32_e32 v57, v46
	v_mov_b32_e32 v56, v40
.LBB62_28:                              ;   Parent Loop BB62_2 Depth=1
                                        ; =>  This Inner Loop Header: Depth=2
	v_sub_u32_e32 v58, v56, v57
	v_lshrrev_b32_e32 v59, 31, v58
	v_add_u32_e32 v58, v58, v59
	v_ashrrev_i32_e32 v58, 1, v58
	v_add_u32_e32 v58, v58, v57
	v_not_b32_e32 v60, v58
	v_add_u32_e32 v59, v10, v58
	v_add3_u32 v60, v11, v60, v24
	ds_read_i8 v59, v59
	ds_read_i8 v60, v60
	v_add_u32_e32 v61, 1, v58
	s_waitcnt lgkmcnt(0)
	v_cmp_lt_i16_e64 s[14:15], v60, v59
	s_nop 1
	v_cndmask_b32_e64 v56, v56, v58, s[14:15]
	v_cndmask_b32_e64 v57, v61, v57, s[14:15]
	v_cmp_ge_i32_e64 s[14:15], v57, v56
	s_or_b64 s[18:19], s[14:15], s[18:19]
	s_andn2_b64 exec, exec, s[18:19]
	s_cbranch_execnz .LBB62_28
; %bb.29:                               ;   in Loop: Header=BB62_2 Depth=1
	s_or_b64 exec, exec, s[18:19]
.LBB62_30:                              ;   in Loop: Header=BB62_2 Depth=1
	s_or_b64 exec, exec, s[16:17]
	v_add_u32_e32 v56, v57, v10
	v_sub_u32_e32 v57, v34, v57
	ds_read_u8 v58, v56
	ds_read_u8 v59, v57
	v_cmp_le_i32_e64 s[16:17], v24, v56
	v_cmp_gt_i32_e64 s[14:15], v25, v57
                                        ; implicit-def: $vgpr60
	s_waitcnt lgkmcnt(1)
	v_bfe_i32 v58, v58, 0, 8
	s_waitcnt lgkmcnt(0)
	v_bfe_i32 v59, v59, 0, 8
	v_cmp_lt_i16_e64 s[18:19], v59, v58
	s_or_b64 s[16:17], s[16:17], s[18:19]
	s_and_b64 s[14:15], s[14:15], s[16:17]
	s_xor_b64 s[16:17], s[14:15], -1
	s_and_saveexec_b64 s[18:19], s[16:17]
	s_xor_b64 s[16:17], exec, s[18:19]
	s_cbranch_execz .LBB62_32
; %bb.31:                               ;   in Loop: Header=BB62_2 Depth=1
	ds_read_u8 v60, v56 offset:1
.LBB62_32:                              ;   in Loop: Header=BB62_2 Depth=1
	s_or_saveexec_b64 s[16:17], s[16:17]
	v_mov_b32_e32 v61, v59
	s_xor_b64 exec, exec, s[16:17]
	s_cbranch_execz .LBB62_34
; %bb.33:                               ;   in Loop: Header=BB62_2 Depth=1
	ds_read_u8 v61, v57 offset:1
	s_waitcnt lgkmcnt(1)
	v_mov_b32_e32 v60, v58
.LBB62_34:                              ;   in Loop: Header=BB62_2 Depth=1
	s_or_b64 exec, exec, s[16:17]
	v_add_u32_e32 v62, 1, v56
	v_cndmask_b32_e64 v58, v58, v59, s[14:15]
	v_add_u32_e32 v59, 1, v57
	v_cndmask_b32_e64 v56, v62, v56, s[14:15]
	v_cndmask_b32_e64 v57, v57, v59, s[14:15]
	v_cmp_ge_i32_e64 s[16:17], v56, v24
	s_waitcnt lgkmcnt(0)
	v_cmp_lt_i16_sdwa s[18:19], sext(v61), sext(v60) src0_sel:BYTE_0 src1_sel:BYTE_0
	v_cmp_lt_i32_e64 s[14:15], v57, v25
	s_or_b64 s[16:17], s[16:17], s[18:19]
	s_and_b64 s[14:15], s[14:15], s[16:17]
	v_mov_b32_e32 v57, v47
	v_cndmask_b32_e64 v56, v60, v61, s[14:15]
	s_barrier
	ds_write_b8 v3, v58
	ds_write_b8 v3, v56 offset:1
	s_waitcnt lgkmcnt(0)
	s_barrier
	s_and_saveexec_b64 s[16:17], s[6:7]
	s_cbranch_execz .LBB62_38
; %bb.35:                               ;   in Loop: Header=BB62_2 Depth=1
	s_mov_b64 s[18:19], 0
	v_mov_b32_e32 v57, v47
	v_mov_b32_e32 v56, v41
.LBB62_36:                              ;   Parent Loop BB62_2 Depth=1
                                        ; =>  This Inner Loop Header: Depth=2
	v_sub_u32_e32 v58, v56, v57
	v_lshrrev_b32_e32 v59, 31, v58
	v_add_u32_e32 v58, v58, v59
	v_ashrrev_i32_e32 v58, 1, v58
	v_add_u32_e32 v58, v58, v57
	v_not_b32_e32 v60, v58
	v_add_u32_e32 v59, v12, v58
	v_add3_u32 v60, v13, v60, v26
	ds_read_i8 v59, v59
	ds_read_i8 v60, v60
	v_add_u32_e32 v61, 1, v58
	s_waitcnt lgkmcnt(0)
	v_cmp_lt_i16_e64 s[14:15], v60, v59
	s_nop 1
	v_cndmask_b32_e64 v56, v56, v58, s[14:15]
	v_cndmask_b32_e64 v57, v61, v57, s[14:15]
	v_cmp_ge_i32_e64 s[14:15], v57, v56
	s_or_b64 s[18:19], s[14:15], s[18:19]
	s_andn2_b64 exec, exec, s[18:19]
	s_cbranch_execnz .LBB62_36
; %bb.37:                               ;   in Loop: Header=BB62_2 Depth=1
	s_or_b64 exec, exec, s[18:19]
.LBB62_38:                              ;   in Loop: Header=BB62_2 Depth=1
	s_or_b64 exec, exec, s[16:17]
	v_add_u32_e32 v56, v57, v12
	v_sub_u32_e32 v57, v35, v57
	ds_read_u8 v58, v56
	ds_read_u8 v59, v57
	v_cmp_le_i32_e64 s[16:17], v26, v56
	v_cmp_gt_i32_e64 s[14:15], v27, v57
                                        ; implicit-def: $vgpr60
	s_waitcnt lgkmcnt(1)
	v_bfe_i32 v58, v58, 0, 8
	s_waitcnt lgkmcnt(0)
	v_bfe_i32 v59, v59, 0, 8
	v_cmp_lt_i16_e64 s[18:19], v59, v58
	s_or_b64 s[16:17], s[16:17], s[18:19]
	s_and_b64 s[14:15], s[14:15], s[16:17]
	s_xor_b64 s[16:17], s[14:15], -1
	s_and_saveexec_b64 s[18:19], s[16:17]
	s_xor_b64 s[16:17], exec, s[18:19]
	s_cbranch_execz .LBB62_40
; %bb.39:                               ;   in Loop: Header=BB62_2 Depth=1
	ds_read_u8 v60, v56 offset:1
.LBB62_40:                              ;   in Loop: Header=BB62_2 Depth=1
	s_or_saveexec_b64 s[16:17], s[16:17]
	v_mov_b32_e32 v61, v59
	s_xor_b64 exec, exec, s[16:17]
	s_cbranch_execz .LBB62_42
; %bb.41:                               ;   in Loop: Header=BB62_2 Depth=1
	ds_read_u8 v61, v57 offset:1
	s_waitcnt lgkmcnt(1)
	v_mov_b32_e32 v60, v58
.LBB62_42:                              ;   in Loop: Header=BB62_2 Depth=1
	s_or_b64 exec, exec, s[16:17]
	v_add_u32_e32 v62, 1, v56
	v_cndmask_b32_e64 v58, v58, v59, s[14:15]
	v_add_u32_e32 v59, 1, v57
	v_cndmask_b32_e64 v56, v62, v56, s[14:15]
	v_cndmask_b32_e64 v57, v57, v59, s[14:15]
	v_cmp_ge_i32_e64 s[16:17], v56, v26
	s_waitcnt lgkmcnt(0)
	v_cmp_lt_i16_sdwa s[18:19], sext(v61), sext(v60) src0_sel:BYTE_0 src1_sel:BYTE_0
	v_cmp_lt_i32_e64 s[14:15], v57, v27
	s_or_b64 s[16:17], s[16:17], s[18:19]
	s_and_b64 s[14:15], s[14:15], s[16:17]
	v_mov_b32_e32 v57, v48
	v_cndmask_b32_e64 v56, v60, v61, s[14:15]
	s_barrier
	ds_write_b8 v3, v58
	ds_write_b8 v3, v56 offset:1
	s_waitcnt lgkmcnt(0)
	s_barrier
	s_and_saveexec_b64 s[16:17], s[8:9]
	s_cbranch_execz .LBB62_46
; %bb.43:                               ;   in Loop: Header=BB62_2 Depth=1
	s_mov_b64 s[18:19], 0
	v_mov_b32_e32 v57, v48
	v_mov_b32_e32 v56, v42
.LBB62_44:                              ;   Parent Loop BB62_2 Depth=1
                                        ; =>  This Inner Loop Header: Depth=2
	v_sub_u32_e32 v58, v56, v57
	v_lshrrev_b32_e32 v59, 31, v58
	v_add_u32_e32 v58, v58, v59
	v_ashrrev_i32_e32 v58, 1, v58
	v_add_u32_e32 v58, v58, v57
	v_not_b32_e32 v60, v58
	v_add_u32_e32 v59, v14, v58
	v_add3_u32 v60, v15, v60, v28
	ds_read_i8 v59, v59
	ds_read_i8 v60, v60
	v_add_u32_e32 v61, 1, v58
	s_waitcnt lgkmcnt(0)
	v_cmp_lt_i16_e64 s[14:15], v60, v59
	s_nop 1
	v_cndmask_b32_e64 v56, v56, v58, s[14:15]
	v_cndmask_b32_e64 v57, v61, v57, s[14:15]
	v_cmp_ge_i32_e64 s[14:15], v57, v56
	s_or_b64 s[18:19], s[14:15], s[18:19]
	s_andn2_b64 exec, exec, s[18:19]
	s_cbranch_execnz .LBB62_44
; %bb.45:                               ;   in Loop: Header=BB62_2 Depth=1
	s_or_b64 exec, exec, s[18:19]
.LBB62_46:                              ;   in Loop: Header=BB62_2 Depth=1
	s_or_b64 exec, exec, s[16:17]
	v_add_u32_e32 v56, v57, v14
	v_sub_u32_e32 v57, v36, v57
	ds_read_u8 v58, v56
	ds_read_u8 v59, v57
	v_cmp_le_i32_e64 s[16:17], v28, v56
	v_cmp_gt_i32_e64 s[14:15], v29, v57
                                        ; implicit-def: $vgpr60
	s_waitcnt lgkmcnt(1)
	v_bfe_i32 v58, v58, 0, 8
	s_waitcnt lgkmcnt(0)
	v_bfe_i32 v59, v59, 0, 8
	v_cmp_lt_i16_e64 s[18:19], v59, v58
	s_or_b64 s[16:17], s[16:17], s[18:19]
	s_and_b64 s[14:15], s[14:15], s[16:17]
	s_xor_b64 s[16:17], s[14:15], -1
	s_and_saveexec_b64 s[18:19], s[16:17]
	s_xor_b64 s[16:17], exec, s[18:19]
	s_cbranch_execz .LBB62_48
; %bb.47:                               ;   in Loop: Header=BB62_2 Depth=1
	ds_read_u8 v60, v56 offset:1
.LBB62_48:                              ;   in Loop: Header=BB62_2 Depth=1
	s_or_saveexec_b64 s[16:17], s[16:17]
	v_mov_b32_e32 v61, v59
	s_xor_b64 exec, exec, s[16:17]
	s_cbranch_execz .LBB62_50
; %bb.49:                               ;   in Loop: Header=BB62_2 Depth=1
	ds_read_u8 v61, v57 offset:1
	s_waitcnt lgkmcnt(1)
	v_mov_b32_e32 v60, v58
.LBB62_50:                              ;   in Loop: Header=BB62_2 Depth=1
	s_or_b64 exec, exec, s[16:17]
	v_add_u32_e32 v62, 1, v56
	v_cndmask_b32_e64 v58, v58, v59, s[14:15]
	v_add_u32_e32 v59, 1, v57
	v_cndmask_b32_e64 v56, v62, v56, s[14:15]
	v_cndmask_b32_e64 v57, v57, v59, s[14:15]
	v_cmp_ge_i32_e64 s[16:17], v56, v28
	s_waitcnt lgkmcnt(0)
	v_cmp_lt_i16_sdwa s[18:19], sext(v61), sext(v60) src0_sel:BYTE_0 src1_sel:BYTE_0
	v_cmp_lt_i32_e64 s[14:15], v57, v29
	s_or_b64 s[16:17], s[16:17], s[18:19]
	s_and_b64 s[14:15], s[14:15], s[16:17]
	v_mov_b32_e32 v57, v50
	v_cndmask_b32_e64 v56, v60, v61, s[14:15]
	s_barrier
	ds_write_b8 v3, v58
	ds_write_b8 v3, v56 offset:1
	s_waitcnt lgkmcnt(0)
	s_barrier
	s_and_saveexec_b64 s[16:17], s[10:11]
	s_cbranch_execz .LBB62_54
; %bb.51:                               ;   in Loop: Header=BB62_2 Depth=1
	s_mov_b64 s[18:19], 0
	v_mov_b32_e32 v57, v50
	v_mov_b32_e32 v56, v51
.LBB62_52:                              ;   Parent Loop BB62_2 Depth=1
                                        ; =>  This Inner Loop Header: Depth=2
	v_sub_u32_e32 v58, v56, v57
	v_lshrrev_b32_e32 v59, 31, v58
	v_add_u32_e32 v58, v58, v59
	v_ashrrev_i32_e32 v58, 1, v58
	v_add_u32_e32 v58, v58, v57
	v_not_b32_e32 v60, v58
	v_add_u32_e32 v59, v16, v58
	v_add3_u32 v60, v17, v60, v30
	ds_read_i8 v59, v59
	ds_read_i8 v60, v60
	v_add_u32_e32 v61, 1, v58
	s_waitcnt lgkmcnt(0)
	v_cmp_lt_i16_e64 s[14:15], v60, v59
	s_nop 1
	v_cndmask_b32_e64 v56, v56, v58, s[14:15]
	v_cndmask_b32_e64 v57, v61, v57, s[14:15]
	v_cmp_ge_i32_e64 s[14:15], v57, v56
	s_or_b64 s[18:19], s[14:15], s[18:19]
	s_andn2_b64 exec, exec, s[18:19]
	s_cbranch_execnz .LBB62_52
; %bb.53:                               ;   in Loop: Header=BB62_2 Depth=1
	s_or_b64 exec, exec, s[18:19]
.LBB62_54:                              ;   in Loop: Header=BB62_2 Depth=1
	s_or_b64 exec, exec, s[16:17]
	v_add_u32_e32 v56, v57, v16
	v_sub_u32_e32 v57, v52, v57
	ds_read_u8 v58, v56
	ds_read_u8 v59, v57
	v_cmp_le_i32_e64 s[16:17], v30, v56
	v_cmp_gt_i32_e64 s[14:15], v49, v57
                                        ; implicit-def: $vgpr60
	s_waitcnt lgkmcnt(1)
	v_bfe_i32 v58, v58, 0, 8
	s_waitcnt lgkmcnt(0)
	v_bfe_i32 v59, v59, 0, 8
	v_cmp_lt_i16_e64 s[18:19], v59, v58
	s_or_b64 s[16:17], s[16:17], s[18:19]
	s_and_b64 s[14:15], s[14:15], s[16:17]
	s_xor_b64 s[16:17], s[14:15], -1
	s_and_saveexec_b64 s[18:19], s[16:17]
	s_xor_b64 s[16:17], exec, s[18:19]
	s_cbranch_execz .LBB62_56
; %bb.55:                               ;   in Loop: Header=BB62_2 Depth=1
	ds_read_u8 v60, v56 offset:1
.LBB62_56:                              ;   in Loop: Header=BB62_2 Depth=1
	s_or_saveexec_b64 s[16:17], s[16:17]
	v_mov_b32_e32 v61, v59
	s_xor_b64 exec, exec, s[16:17]
	s_cbranch_execz .LBB62_58
; %bb.57:                               ;   in Loop: Header=BB62_2 Depth=1
	ds_read_u8 v61, v57 offset:1
	s_waitcnt lgkmcnt(1)
	v_mov_b32_e32 v60, v58
.LBB62_58:                              ;   in Loop: Header=BB62_2 Depth=1
	s_or_b64 exec, exec, s[16:17]
	v_add_u32_e32 v62, 1, v56
	v_cndmask_b32_e64 v58, v58, v59, s[14:15]
	v_add_u32_e32 v59, 1, v57
	v_cndmask_b32_e64 v56, v62, v56, s[14:15]
	v_cndmask_b32_e64 v57, v57, v59, s[14:15]
	v_cmp_ge_i32_e64 s[16:17], v56, v30
	s_waitcnt lgkmcnt(0)
	v_cmp_lt_i16_sdwa s[18:19], sext(v61), sext(v60) src0_sel:BYTE_0 src1_sel:BYTE_0
	v_cmp_lt_i32_e64 s[14:15], v57, v49
	s_or_b64 s[16:17], s[16:17], s[18:19]
	s_and_b64 s[14:15], s[14:15], s[16:17]
	v_cndmask_b32_e64 v56, v60, v61, s[14:15]
	s_barrier
	ds_write_b8 v3, v58
	ds_write_b8 v3, v56 offset:1
	v_mov_b32_e32 v56, v53
	s_waitcnt lgkmcnt(0)
	s_barrier
	s_and_saveexec_b64 s[16:17], s[12:13]
	s_cbranch_execz .LBB62_62
; %bb.59:                               ;   in Loop: Header=BB62_2 Depth=1
	s_mov_b64 s[18:19], 0
	v_mov_b32_e32 v56, v53
	v_mov_b32_e32 v57, v54
.LBB62_60:                              ;   Parent Loop BB62_2 Depth=1
                                        ; =>  This Inner Loop Header: Depth=2
	v_sub_u32_e32 v58, v57, v56
	v_lshrrev_b32_e32 v59, 31, v58
	v_add_u32_e32 v58, v58, v59
	v_ashrrev_i32_e32 v58, 1, v58
	v_add_u32_e32 v58, v58, v56
	v_not_b32_e32 v59, v58
	v_add3_u32 v59, v3, v59, v2
	ds_read_i8 v60, v58
	ds_read_i8 v59, v59
	v_add_u32_e32 v61, 1, v58
	s_waitcnt lgkmcnt(0)
	v_cmp_lt_i16_e64 s[14:15], v59, v60
	s_nop 1
	v_cndmask_b32_e64 v57, v57, v58, s[14:15]
	v_cndmask_b32_e64 v56, v61, v56, s[14:15]
	v_cmp_ge_i32_e64 s[14:15], v56, v57
	s_or_b64 s[18:19], s[14:15], s[18:19]
	s_andn2_b64 exec, exec, s[18:19]
	s_cbranch_execnz .LBB62_60
; %bb.61:                               ;   in Loop: Header=BB62_2 Depth=1
	s_or_b64 exec, exec, s[18:19]
.LBB62_62:                              ;   in Loop: Header=BB62_2 Depth=1
	s_or_b64 exec, exec, s[16:17]
	v_sub_u32_e32 v57, v55, v56
	ds_read_u8 v58, v56
	ds_read_u8 v59, v57
	v_cmp_le_i32_e64 s[16:17], v2, v56
	v_cmp_gt_i32_e64 s[14:15], s25, v57
                                        ; implicit-def: $vgpr60
                                        ; implicit-def: $vgpr61
	s_waitcnt lgkmcnt(1)
	v_bfe_i32 v58, v58, 0, 8
	s_waitcnt lgkmcnt(0)
	v_bfe_i32 v59, v59, 0, 8
	v_cmp_lt_i16_e64 s[18:19], v59, v58
	s_or_b64 s[16:17], s[16:17], s[18:19]
	s_and_b64 s[14:15], s[14:15], s[16:17]
	s_xor_b64 s[16:17], s[14:15], -1
	s_and_saveexec_b64 s[18:19], s[16:17]
	s_xor_b64 s[16:17], exec, s[18:19]
	s_cbranch_execz .LBB62_64
; %bb.63:                               ;   in Loop: Header=BB62_2 Depth=1
	ds_read_u8 v60, v56 offset:1
	v_add_u32_e32 v61, 1, v56
                                        ; implicit-def: $vgpr56
.LBB62_64:                              ;   in Loop: Header=BB62_2 Depth=1
	s_or_saveexec_b64 s[16:17], s[16:17]
	v_mov_b32_e32 v62, v59
	s_xor_b64 exec, exec, s[16:17]
	s_cbranch_execz .LBB62_1
; %bb.65:                               ;   in Loop: Header=BB62_2 Depth=1
	ds_read_u8 v62, v57 offset:1
	v_add_u32_e32 v57, 1, v57
	v_mov_b32_e32 v61, v56
	s_waitcnt lgkmcnt(1)
	v_mov_b32_e32 v60, v58
	s_branch .LBB62_1
.LBB62_66:
	s_add_u32 s0, s22, s24
	s_addc_u32 s1, s23, 0
	v_lshl_add_u64 v[0:1], s[0:1], 0, v[0:1]
	global_store_byte v[0:1], v58, off
	global_store_byte v[0:1], v57, off offset:256
	s_endpgm
	.section	.rodata,"a",@progbits
	.p2align	6, 0x0
	.amdhsa_kernel _Z16sort_keys_kernelIaLj256ELj2EN10test_utils4lessELj10EEvPKT_PS2_T2_
		.amdhsa_group_segment_fixed_size 513
		.amdhsa_private_segment_fixed_size 0
		.amdhsa_kernarg_size 20
		.amdhsa_user_sgpr_count 2
		.amdhsa_user_sgpr_dispatch_ptr 0
		.amdhsa_user_sgpr_queue_ptr 0
		.amdhsa_user_sgpr_kernarg_segment_ptr 1
		.amdhsa_user_sgpr_dispatch_id 0
		.amdhsa_user_sgpr_kernarg_preload_length 0
		.amdhsa_user_sgpr_kernarg_preload_offset 0
		.amdhsa_user_sgpr_private_segment_size 0
		.amdhsa_uses_dynamic_stack 0
		.amdhsa_enable_private_segment 0
		.amdhsa_system_sgpr_workgroup_id_x 1
		.amdhsa_system_sgpr_workgroup_id_y 0
		.amdhsa_system_sgpr_workgroup_id_z 0
		.amdhsa_system_sgpr_workgroup_info 0
		.amdhsa_system_vgpr_workitem_id 0
		.amdhsa_next_free_vgpr 63
		.amdhsa_next_free_sgpr 26
		.amdhsa_accum_offset 64
		.amdhsa_reserve_vcc 1
		.amdhsa_float_round_mode_32 0
		.amdhsa_float_round_mode_16_64 0
		.amdhsa_float_denorm_mode_32 3
		.amdhsa_float_denorm_mode_16_64 3
		.amdhsa_dx10_clamp 1
		.amdhsa_ieee_mode 1
		.amdhsa_fp16_overflow 0
		.amdhsa_tg_split 0
		.amdhsa_exception_fp_ieee_invalid_op 0
		.amdhsa_exception_fp_denorm_src 0
		.amdhsa_exception_fp_ieee_div_zero 0
		.amdhsa_exception_fp_ieee_overflow 0
		.amdhsa_exception_fp_ieee_underflow 0
		.amdhsa_exception_fp_ieee_inexact 0
		.amdhsa_exception_int_div_zero 0
	.end_amdhsa_kernel
	.section	.text._Z16sort_keys_kernelIaLj256ELj2EN10test_utils4lessELj10EEvPKT_PS2_T2_,"axG",@progbits,_Z16sort_keys_kernelIaLj256ELj2EN10test_utils4lessELj10EEvPKT_PS2_T2_,comdat
.Lfunc_end62:
	.size	_Z16sort_keys_kernelIaLj256ELj2EN10test_utils4lessELj10EEvPKT_PS2_T2_, .Lfunc_end62-_Z16sort_keys_kernelIaLj256ELj2EN10test_utils4lessELj10EEvPKT_PS2_T2_
                                        ; -- End function
	.section	.AMDGPU.csdata,"",@progbits
; Kernel info:
; codeLenInByte = 3700
; NumSgprs: 32
; NumVgprs: 63
; NumAgprs: 0
; TotalNumVgprs: 63
; ScratchSize: 0
; MemoryBound: 0
; FloatMode: 240
; IeeeMode: 1
; LDSByteSize: 513 bytes/workgroup (compile time only)
; SGPRBlocks: 3
; VGPRBlocks: 7
; NumSGPRsForWavesPerEU: 32
; NumVGPRsForWavesPerEU: 63
; AccumOffset: 64
; Occupancy: 8
; WaveLimiterHint : 1
; COMPUTE_PGM_RSRC2:SCRATCH_EN: 0
; COMPUTE_PGM_RSRC2:USER_SGPR: 2
; COMPUTE_PGM_RSRC2:TRAP_HANDLER: 0
; COMPUTE_PGM_RSRC2:TGID_X_EN: 1
; COMPUTE_PGM_RSRC2:TGID_Y_EN: 0
; COMPUTE_PGM_RSRC2:TGID_Z_EN: 0
; COMPUTE_PGM_RSRC2:TIDIG_COMP_CNT: 0
; COMPUTE_PGM_RSRC3_GFX90A:ACCUM_OFFSET: 15
; COMPUTE_PGM_RSRC3_GFX90A:TG_SPLIT: 0
	.section	.text._Z17sort_pairs_kernelIaLj256ELj2EN10test_utils4lessELj10EEvPKT_PS2_T2_,"axG",@progbits,_Z17sort_pairs_kernelIaLj256ELj2EN10test_utils4lessELj10EEvPKT_PS2_T2_,comdat
	.protected	_Z17sort_pairs_kernelIaLj256ELj2EN10test_utils4lessELj10EEvPKT_PS2_T2_ ; -- Begin function _Z17sort_pairs_kernelIaLj256ELj2EN10test_utils4lessELj10EEvPKT_PS2_T2_
	.globl	_Z17sort_pairs_kernelIaLj256ELj2EN10test_utils4lessELj10EEvPKT_PS2_T2_
	.p2align	8
	.type	_Z17sort_pairs_kernelIaLj256ELj2EN10test_utils4lessELj10EEvPKT_PS2_T2_,@function
_Z17sort_pairs_kernelIaLj256ELj2EN10test_utils4lessELj10EEvPKT_PS2_T2_: ; @_Z17sort_pairs_kernelIaLj256ELj2EN10test_utils4lessELj10EEvPKT_PS2_T2_
; %bb.0:
	s_load_dwordx4 s[20:23], s[0:1], 0x0
	s_lshl_b32 s24, s2, 9
	v_lshlrev_b32_e32 v6, 1, v0
	v_and_b32_e32 v7, 0x1fc, v6
	v_and_b32_e32 v9, 0x1f8, v6
	s_waitcnt lgkmcnt(0)
	s_add_u32 s0, s20, s24
	s_addc_u32 s1, s21, 0
	global_load_ubyte v2, v0, s[0:1] offset:256
	global_load_ubyte v3, v0, s[0:1]
	v_or_b32_e32 v19, 2, v7
	v_add_u32_e32 v20, 4, v7
	v_and_b32_e32 v8, 2, v6
	v_and_b32_e32 v11, 0x1f0, v6
	v_or_b32_e32 v21, 4, v9
	v_add_u32_e32 v22, 8, v9
	v_sub_u32_e32 v43, v20, v19
	v_and_b32_e32 v10, 6, v6
	v_and_b32_e32 v13, 0x1e0, v6
	v_or_b32_e32 v23, 8, v11
	v_add_u32_e32 v24, 16, v11
	v_sub_u32_e32 v4, v19, v7
	v_sub_u32_e32 v44, v22, v21
	v_sub_u32_e32 v49, v8, v43
	v_cmp_ge_i32_e32 vcc, v8, v43
	v_and_b32_e32 v12, 14, v6
	v_and_b32_e32 v15, 0x1c0, v6
	v_or_b32_e32 v25, 16, v13
	v_add_u32_e32 v26, 32, v13
	v_sub_u32_e32 v45, v24, v23
	v_min_i32_e32 v37, v8, v4
	v_sub_u32_e32 v4, v10, v44
	v_cndmask_b32_e32 v43, 0, v49, vcc
	v_cmp_ge_i32_e32 vcc, v10, v44
	v_and_b32_e32 v14, 30, v6
	v_and_b32_e32 v17, 0x180, v6
	v_or_b32_e32 v27, 32, v15
	v_add_u32_e32 v28, 64, v15
	v_sub_u32_e32 v46, v26, v25
	v_sub_u32_e32 v50, v12, v45
	v_cndmask_b32_e32 v44, 0, v4, vcc
	v_cmp_ge_i32_e32 vcc, v12, v45
	v_and_b32_e32 v16, 62, v6
	v_or_b32_e32 v29, 64, v17
	v_add_u32_e32 v30, 0x80, v17
	v_sub_u32_e32 v47, v28, v27
	v_sub_u32_e32 v51, v14, v46
	v_cndmask_b32_e32 v45, 0, v50, vcc
	v_cmp_ge_i32_e32 vcc, v14, v46
	v_and_b32_e32 v18, 0x7e, v6
	v_sub_u32_e32 v48, v30, v29
	v_sub_u32_e32 v52, v16, v47
	v_cndmask_b32_e32 v46, 0, v51, vcc
	v_cmp_ge_i32_e32 vcc, v16, v47
	v_and_b32_e32 v49, 0x100, v6
	v_sub_u32_e32 v53, v18, v48
	v_cndmask_b32_e32 v47, 0, v52, vcc
	v_cmp_ge_i32_e32 vcc, v18, v48
	v_or_b32_e32 v51, 0x80, v49
	v_add_u32_e32 v52, 0x100, v49
	v_cndmask_b32_e32 v48, 0, v53, vcc
	v_and_b32_e32 v50, 0xfe, v6
	v_sub_u32_e32 v53, v52, v51
	v_mov_b32_e32 v5, 0x100
	v_sub_u32_e32 v38, v21, v9
	v_sub_u32_e32 v39, v23, v11
	;; [unrolled: 1-line block ×6, first 2 shown]
	v_cmp_ge_i32_e64 s[10:11], v50, v53
	v_min_i32_e32 v38, v10, v38
	v_min_i32_e32 v39, v12, v39
	;; [unrolled: 1-line block ×5, first 2 shown]
	v_cndmask_b32_e64 v53, 0, v54, s[10:11]
	v_sub_u32_e64 v56, v6, v5 clamp
	v_min_i32_e32 v57, 0x100, v6
	s_mov_b32 s25, 0
	v_mov_b32_e32 v1, 0
	v_add_u32_e32 v31, v19, v8
	v_add_u32_e32 v32, v21, v10
	;; [unrolled: 1-line block ×6, first 2 shown]
	v_cmp_lt_i32_e32 vcc, v43, v37
	s_waitcnt vmcnt(1)
	v_lshlrev_b16_e32 v2, 8, v2
	s_waitcnt vmcnt(0)
	v_add_u16_e32 v4, 1, v3
	v_or_b32_e32 v3, v3, v2
	v_or_b32_sdwa v2, v2, v4 dst_sel:DWORD dst_unused:UNUSED_PAD src0_sel:DWORD src1_sel:BYTE_0
	v_sub_u32_e32 v4, v51, v49
	v_min_i32_e32 v54, v50, v4
	v_cmp_lt_i32_e64 s[0:1], v44, v38
	v_cmp_lt_i32_e64 s[2:3], v45, v39
	;; [unrolled: 1-line block ×5, first 2 shown]
	v_and_b32_e32 v3, 0xffff, v3
	v_add_u16_e32 v2, 0x100, v2
	v_cmp_lt_i32_e64 s[10:11], v53, v54
	v_add_u32_e32 v55, v51, v50
	v_cmp_lt_i32_e64 s[12:13], v56, v57
	v_add_u32_e32 v58, 0x100, v6
	s_mov_b32 s26, 0xc0c0001
	s_movk_i32 s27, 0x200
	s_branch .LBB63_2
.LBB63_1:                               ;   in Loop: Header=BB63_2 Depth=1
	s_or_b64 exec, exec, s[16:17]
	v_cmp_ge_i32_e64 s[18:19], v63, v5
	s_waitcnt lgkmcnt(0)
	v_cmp_lt_i16_sdwa s[20:21], sext(v64), sext(v3) src0_sel:BYTE_0 src1_sel:BYTE_0
	v_cmp_gt_i32_e64 s[16:17], s27, v4
	s_or_b64 s[18:19], s[18:19], s[20:21]
	s_and_b64 s[16:17], s[16:17], s[18:19]
	v_cndmask_b32_e64 v64, v3, v64, s[16:17]
	v_cndmask_b32_e64 v3, v63, v4, s[16:17]
	s_barrier
	ds_write_b8 v6, v59
	ds_write_b8 v6, v60 offset:1
	s_waitcnt lgkmcnt(0)
	s_barrier
	ds_read_u8 v4, v2
	ds_read_u8 v59, v3
	v_cndmask_b32_e64 v60, v61, v62, s[14:15]
	v_lshlrev_b16_e32 v2, 8, v64
	v_or_b32_sdwa v2, v60, v2 dst_sel:DWORD dst_unused:UNUSED_PAD src0_sel:BYTE_0 src1_sel:DWORD
	v_and_b32_e32 v3, 0xffff, v2
	s_waitcnt lgkmcnt(0)
	v_lshlrev_b16_e32 v2, 8, v59
	v_or_b32_e32 v2, v4, v2
	s_add_i32 s25, s25, 1
	s_cmp_eq_u32 s25, 10
	v_and_b32_e32 v2, 0xffff, v2
	s_cbranch_scc1 .LBB63_66
.LBB63_2:                               ; =>This Loop Header: Depth=1
                                        ;     Child Loop BB63_4 Depth 2
                                        ;     Child Loop BB63_12 Depth 2
	;; [unrolled: 1-line block ×8, first 2 shown]
	v_perm_b32 v4, 0, v3, s26
	v_cmp_lt_i16_sdwa s[14:15], sext(v3), sext(v3) src0_sel:BYTE_1 src1_sel:BYTE_0
	s_barrier
	s_nop 0
	v_cndmask_b32_e64 v3, v3, v4, s[14:15]
	ds_write_b8 v6, v3
	v_lshrrev_b16_e32 v3, 8, v3
	v_mov_b32_e32 v4, v43
	ds_write_b8 v6, v3 offset:1
	s_waitcnt lgkmcnt(0)
	s_barrier
	s_and_saveexec_b64 s[18:19], vcc
	s_cbranch_execz .LBB63_6
; %bb.3:                                ;   in Loop: Header=BB63_2 Depth=1
	s_mov_b64 s[20:21], 0
	v_mov_b32_e32 v4, v43
	v_mov_b32_e32 v3, v37
.LBB63_4:                               ;   Parent Loop BB63_2 Depth=1
                                        ; =>  This Inner Loop Header: Depth=2
	v_sub_u32_e32 v59, v3, v4
	v_lshrrev_b32_e32 v60, 31, v59
	v_add_u32_e32 v59, v59, v60
	v_ashrrev_i32_e32 v59, 1, v59
	v_add_u32_e32 v59, v59, v4
	v_not_b32_e32 v61, v59
	v_add_u32_e32 v60, v7, v59
	v_add3_u32 v61, v8, v61, v19
	ds_read_i8 v60, v60
	ds_read_i8 v61, v61
	v_add_u32_e32 v62, 1, v59
	s_waitcnt lgkmcnt(0)
	v_cmp_lt_i16_e64 s[16:17], v61, v60
	s_nop 1
	v_cndmask_b32_e64 v3, v3, v59, s[16:17]
	v_cndmask_b32_e64 v4, v62, v4, s[16:17]
	v_cmp_ge_i32_e64 s[16:17], v4, v3
	s_or_b64 s[20:21], s[16:17], s[20:21]
	s_andn2_b64 exec, exec, s[20:21]
	s_cbranch_execnz .LBB63_4
; %bb.5:                                ;   in Loop: Header=BB63_2 Depth=1
	s_or_b64 exec, exec, s[20:21]
.LBB63_6:                               ;   in Loop: Header=BB63_2 Depth=1
	s_or_b64 exec, exec, s[18:19]
	v_add_u32_e32 v3, v4, v7
	v_sub_u32_e32 v4, v31, v4
	ds_read_u8 v59, v3
	ds_read_u8 v61, v4
	v_cmp_le_i32_e64 s[18:19], v19, v3
	v_cmp_gt_i32_e64 s[16:17], v20, v4
	s_waitcnt lgkmcnt(1)
	v_bfe_i32 v60, v59, 0, 8
	s_waitcnt lgkmcnt(0)
	v_bfe_i32 v61, v61, 0, 8
	v_cmp_lt_i16_e64 s[20:21], v61, v60
	s_or_b64 s[18:19], s[18:19], s[20:21]
	s_and_b64 s[16:17], s[16:17], s[18:19]
	s_xor_b64 s[18:19], s[16:17], -1
                                        ; implicit-def: $vgpr59
	s_and_saveexec_b64 s[20:21], s[18:19]
	s_xor_b64 s[18:19], exec, s[20:21]
	s_cbranch_execz .LBB63_8
; %bb.7:                                ;   in Loop: Header=BB63_2 Depth=1
	ds_read_u8 v59, v3 offset:1
.LBB63_8:                               ;   in Loop: Header=BB63_2 Depth=1
	s_or_saveexec_b64 s[18:19], s[18:19]
	v_mov_b32_e32 v62, v61
	s_xor_b64 exec, exec, s[18:19]
	s_cbranch_execz .LBB63_10
; %bb.9:                                ;   in Loop: Header=BB63_2 Depth=1
	ds_read_u8 v62, v4 offset:1
	s_waitcnt lgkmcnt(1)
	v_mov_b32_e32 v59, v60
.LBB63_10:                              ;   in Loop: Header=BB63_2 Depth=1
	s_or_b64 exec, exec, s[18:19]
	v_add_u32_e32 v64, 1, v3
	v_cndmask_b32_e64 v60, v60, v61, s[16:17]
	v_add_u32_e32 v61, 1, v4
	v_cndmask_b32_e64 v64, v64, v3, s[16:17]
	v_perm_b32 v63, 0, v2, s26
	v_cndmask_b32_e64 v61, v4, v61, s[16:17]
	v_cndmask_b32_e64 v3, v3, v4, s[16:17]
	v_cmp_ge_i32_e64 s[16:17], v64, v19
	s_waitcnt lgkmcnt(0)
	v_cmp_lt_i16_sdwa s[18:19], sext(v62), sext(v59) src0_sel:BYTE_0 src1_sel:BYTE_0
	v_cndmask_b32_e64 v2, v2, v63, s[14:15]
	v_cmp_lt_i32_e64 s[14:15], v61, v20
	s_or_b64 s[16:17], s[16:17], s[18:19]
	s_and_b64 s[14:15], s[14:15], s[16:17]
	s_barrier
	ds_write_b8 v6, v2
	v_lshrrev_b16_e32 v2, 8, v2
	v_cndmask_b32_e64 v4, v59, v62, s[14:15]
	v_cndmask_b32_e64 v59, v64, v61, s[14:15]
	ds_write_b8 v6, v2 offset:1
	s_waitcnt lgkmcnt(0)
	s_barrier
	ds_read_u8 v2, v3
	ds_read_u8 v3, v59
	v_mov_b32_e32 v59, v44
	s_waitcnt lgkmcnt(0)
	s_barrier
	ds_write_b8 v6, v60
	ds_write_b8 v6, v4 offset:1
	s_waitcnt lgkmcnt(0)
	s_barrier
	s_and_saveexec_b64 s[16:17], s[0:1]
	s_cbranch_execz .LBB63_14
; %bb.11:                               ;   in Loop: Header=BB63_2 Depth=1
	s_mov_b64 s[18:19], 0
	v_mov_b32_e32 v59, v44
	v_mov_b32_e32 v4, v38
.LBB63_12:                              ;   Parent Loop BB63_2 Depth=1
                                        ; =>  This Inner Loop Header: Depth=2
	v_sub_u32_e32 v60, v4, v59
	v_lshrrev_b32_e32 v61, 31, v60
	v_add_u32_e32 v60, v60, v61
	v_ashrrev_i32_e32 v60, 1, v60
	v_add_u32_e32 v60, v60, v59
	v_not_b32_e32 v62, v60
	v_add_u32_e32 v61, v9, v60
	v_add3_u32 v62, v10, v62, v21
	ds_read_i8 v61, v61
	ds_read_i8 v62, v62
	v_add_u32_e32 v63, 1, v60
	s_waitcnt lgkmcnt(0)
	v_cmp_lt_i16_e64 s[14:15], v62, v61
	s_nop 1
	v_cndmask_b32_e64 v4, v4, v60, s[14:15]
	v_cndmask_b32_e64 v59, v63, v59, s[14:15]
	v_cmp_ge_i32_e64 s[14:15], v59, v4
	s_or_b64 s[18:19], s[14:15], s[18:19]
	s_andn2_b64 exec, exec, s[18:19]
	s_cbranch_execnz .LBB63_12
; %bb.13:                               ;   in Loop: Header=BB63_2 Depth=1
	s_or_b64 exec, exec, s[18:19]
.LBB63_14:                              ;   in Loop: Header=BB63_2 Depth=1
	s_or_b64 exec, exec, s[16:17]
	v_add_u32_e32 v4, v59, v9
	v_sub_u32_e32 v59, v32, v59
	ds_read_u8 v60, v4
	ds_read_u8 v61, v59
	v_cmp_le_i32_e64 s[16:17], v21, v4
	v_cmp_gt_i32_e64 s[14:15], v22, v59
	s_waitcnt lgkmcnt(1)
	v_bfe_i32 v60, v60, 0, 8
	s_waitcnt lgkmcnt(0)
	v_bfe_i32 v62, v61, 0, 8
	v_cmp_lt_i16_e64 s[18:19], v62, v60
	s_or_b64 s[16:17], s[16:17], s[18:19]
	s_and_b64 s[14:15], s[14:15], s[16:17]
	s_xor_b64 s[16:17], s[14:15], -1
                                        ; implicit-def: $vgpr61
	s_and_saveexec_b64 s[18:19], s[16:17]
	s_xor_b64 s[16:17], exec, s[18:19]
	s_cbranch_execz .LBB63_16
; %bb.15:                               ;   in Loop: Header=BB63_2 Depth=1
	ds_read_u8 v61, v4 offset:1
.LBB63_16:                              ;   in Loop: Header=BB63_2 Depth=1
	s_or_saveexec_b64 s[16:17], s[16:17]
	v_mov_b32_e32 v63, v62
	s_xor_b64 exec, exec, s[16:17]
	s_cbranch_execz .LBB63_18
; %bb.17:                               ;   in Loop: Header=BB63_2 Depth=1
	ds_read_u8 v63, v59 offset:1
	s_waitcnt lgkmcnt(1)
	v_mov_b32_e32 v61, v60
.LBB63_18:                              ;   in Loop: Header=BB63_2 Depth=1
	s_or_b64 exec, exec, s[16:17]
	v_add_u32_e32 v64, 1, v4
	v_cndmask_b32_e64 v60, v60, v62, s[14:15]
	v_add_u32_e32 v62, 1, v59
	v_cndmask_b32_e64 v64, v64, v4, s[14:15]
	v_cndmask_b32_e64 v62, v59, v62, s[14:15]
	v_cmp_ge_i32_e64 s[16:17], v64, v21
	s_waitcnt lgkmcnt(0)
	v_cmp_lt_i16_sdwa s[18:19], sext(v63), sext(v61) src0_sel:BYTE_0 src1_sel:BYTE_0
	v_cndmask_b32_e64 v4, v4, v59, s[14:15]
	v_cmp_lt_i32_e64 s[14:15], v62, v22
	s_or_b64 s[16:17], s[16:17], s[18:19]
	s_and_b64 s[14:15], s[14:15], s[16:17]
	v_cndmask_b32_e64 v59, v61, v63, s[14:15]
	v_cndmask_b32_e64 v61, v64, v62, s[14:15]
	s_barrier
	ds_write_b8 v6, v2
	ds_write_b8 v6, v3 offset:1
	s_waitcnt lgkmcnt(0)
	s_barrier
	ds_read_u8 v2, v4
	ds_read_u8 v3, v61
	s_waitcnt lgkmcnt(0)
	s_barrier
	ds_write_b8 v6, v60
	ds_write_b8 v6, v59 offset:1
	v_mov_b32_e32 v59, v45
	s_waitcnt lgkmcnt(0)
	s_barrier
	s_and_saveexec_b64 s[16:17], s[2:3]
	s_cbranch_execz .LBB63_22
; %bb.19:                               ;   in Loop: Header=BB63_2 Depth=1
	s_mov_b64 s[18:19], 0
	v_mov_b32_e32 v59, v45
	v_mov_b32_e32 v4, v39
.LBB63_20:                              ;   Parent Loop BB63_2 Depth=1
                                        ; =>  This Inner Loop Header: Depth=2
	v_sub_u32_e32 v60, v4, v59
	v_lshrrev_b32_e32 v61, 31, v60
	v_add_u32_e32 v60, v60, v61
	v_ashrrev_i32_e32 v60, 1, v60
	v_add_u32_e32 v60, v60, v59
	v_not_b32_e32 v62, v60
	v_add_u32_e32 v61, v11, v60
	v_add3_u32 v62, v12, v62, v23
	ds_read_i8 v61, v61
	ds_read_i8 v62, v62
	v_add_u32_e32 v63, 1, v60
	s_waitcnt lgkmcnt(0)
	v_cmp_lt_i16_e64 s[14:15], v62, v61
	s_nop 1
	v_cndmask_b32_e64 v4, v4, v60, s[14:15]
	v_cndmask_b32_e64 v59, v63, v59, s[14:15]
	v_cmp_ge_i32_e64 s[14:15], v59, v4
	s_or_b64 s[18:19], s[14:15], s[18:19]
	s_andn2_b64 exec, exec, s[18:19]
	s_cbranch_execnz .LBB63_20
; %bb.21:                               ;   in Loop: Header=BB63_2 Depth=1
	s_or_b64 exec, exec, s[18:19]
.LBB63_22:                              ;   in Loop: Header=BB63_2 Depth=1
	s_or_b64 exec, exec, s[16:17]
	v_add_u32_e32 v4, v59, v11
	v_sub_u32_e32 v59, v33, v59
	ds_read_u8 v60, v4
	ds_read_u8 v61, v59
	v_cmp_le_i32_e64 s[16:17], v23, v4
	v_cmp_gt_i32_e64 s[14:15], v24, v59
	s_waitcnt lgkmcnt(1)
	v_bfe_i32 v60, v60, 0, 8
	s_waitcnt lgkmcnt(0)
	v_bfe_i32 v62, v61, 0, 8
	v_cmp_lt_i16_e64 s[18:19], v62, v60
	s_or_b64 s[16:17], s[16:17], s[18:19]
	s_and_b64 s[14:15], s[14:15], s[16:17]
	s_xor_b64 s[16:17], s[14:15], -1
                                        ; implicit-def: $vgpr61
	s_and_saveexec_b64 s[18:19], s[16:17]
	s_xor_b64 s[16:17], exec, s[18:19]
	s_cbranch_execz .LBB63_24
; %bb.23:                               ;   in Loop: Header=BB63_2 Depth=1
	ds_read_u8 v61, v4 offset:1
.LBB63_24:                              ;   in Loop: Header=BB63_2 Depth=1
	s_or_saveexec_b64 s[16:17], s[16:17]
	v_mov_b32_e32 v63, v62
	s_xor_b64 exec, exec, s[16:17]
	s_cbranch_execz .LBB63_26
; %bb.25:                               ;   in Loop: Header=BB63_2 Depth=1
	ds_read_u8 v63, v59 offset:1
	s_waitcnt lgkmcnt(1)
	v_mov_b32_e32 v61, v60
.LBB63_26:                              ;   in Loop: Header=BB63_2 Depth=1
	s_or_b64 exec, exec, s[16:17]
	v_add_u32_e32 v64, 1, v4
	v_cndmask_b32_e64 v60, v60, v62, s[14:15]
	v_add_u32_e32 v62, 1, v59
	v_cndmask_b32_e64 v64, v64, v4, s[14:15]
	v_cndmask_b32_e64 v62, v59, v62, s[14:15]
	v_cmp_ge_i32_e64 s[16:17], v64, v23
	s_waitcnt lgkmcnt(0)
	v_cmp_lt_i16_sdwa s[18:19], sext(v63), sext(v61) src0_sel:BYTE_0 src1_sel:BYTE_0
	v_cndmask_b32_e64 v4, v4, v59, s[14:15]
	v_cmp_lt_i32_e64 s[14:15], v62, v24
	s_or_b64 s[16:17], s[16:17], s[18:19]
	s_and_b64 s[14:15], s[14:15], s[16:17]
	v_cndmask_b32_e64 v59, v61, v63, s[14:15]
	v_cndmask_b32_e64 v61, v64, v62, s[14:15]
	s_barrier
	ds_write_b8 v6, v2
	ds_write_b8 v6, v3 offset:1
	s_waitcnt lgkmcnt(0)
	s_barrier
	ds_read_u8 v2, v4
	ds_read_u8 v3, v61
	s_waitcnt lgkmcnt(0)
	s_barrier
	ds_write_b8 v6, v60
	ds_write_b8 v6, v59 offset:1
	v_mov_b32_e32 v59, v46
	s_waitcnt lgkmcnt(0)
	s_barrier
	s_and_saveexec_b64 s[16:17], s[4:5]
	s_cbranch_execz .LBB63_30
; %bb.27:                               ;   in Loop: Header=BB63_2 Depth=1
	s_mov_b64 s[18:19], 0
	v_mov_b32_e32 v59, v46
	v_mov_b32_e32 v4, v40
.LBB63_28:                              ;   Parent Loop BB63_2 Depth=1
                                        ; =>  This Inner Loop Header: Depth=2
	v_sub_u32_e32 v60, v4, v59
	v_lshrrev_b32_e32 v61, 31, v60
	v_add_u32_e32 v60, v60, v61
	v_ashrrev_i32_e32 v60, 1, v60
	v_add_u32_e32 v60, v60, v59
	v_not_b32_e32 v62, v60
	v_add_u32_e32 v61, v13, v60
	v_add3_u32 v62, v14, v62, v25
	ds_read_i8 v61, v61
	ds_read_i8 v62, v62
	v_add_u32_e32 v63, 1, v60
	s_waitcnt lgkmcnt(0)
	v_cmp_lt_i16_e64 s[14:15], v62, v61
	s_nop 1
	v_cndmask_b32_e64 v4, v4, v60, s[14:15]
	v_cndmask_b32_e64 v59, v63, v59, s[14:15]
	v_cmp_ge_i32_e64 s[14:15], v59, v4
	s_or_b64 s[18:19], s[14:15], s[18:19]
	s_andn2_b64 exec, exec, s[18:19]
	s_cbranch_execnz .LBB63_28
; %bb.29:                               ;   in Loop: Header=BB63_2 Depth=1
	s_or_b64 exec, exec, s[18:19]
.LBB63_30:                              ;   in Loop: Header=BB63_2 Depth=1
	s_or_b64 exec, exec, s[16:17]
	v_add_u32_e32 v4, v59, v13
	v_sub_u32_e32 v59, v34, v59
	ds_read_u8 v60, v4
	ds_read_u8 v61, v59
	v_cmp_le_i32_e64 s[16:17], v25, v4
	v_cmp_gt_i32_e64 s[14:15], v26, v59
	s_waitcnt lgkmcnt(1)
	v_bfe_i32 v60, v60, 0, 8
	s_waitcnt lgkmcnt(0)
	v_bfe_i32 v62, v61, 0, 8
	v_cmp_lt_i16_e64 s[18:19], v62, v60
	s_or_b64 s[16:17], s[16:17], s[18:19]
	s_and_b64 s[14:15], s[14:15], s[16:17]
	s_xor_b64 s[16:17], s[14:15], -1
                                        ; implicit-def: $vgpr61
	s_and_saveexec_b64 s[18:19], s[16:17]
	s_xor_b64 s[16:17], exec, s[18:19]
	s_cbranch_execz .LBB63_32
; %bb.31:                               ;   in Loop: Header=BB63_2 Depth=1
	ds_read_u8 v61, v4 offset:1
.LBB63_32:                              ;   in Loop: Header=BB63_2 Depth=1
	s_or_saveexec_b64 s[16:17], s[16:17]
	v_mov_b32_e32 v63, v62
	s_xor_b64 exec, exec, s[16:17]
	s_cbranch_execz .LBB63_34
; %bb.33:                               ;   in Loop: Header=BB63_2 Depth=1
	ds_read_u8 v63, v59 offset:1
	s_waitcnt lgkmcnt(1)
	v_mov_b32_e32 v61, v60
.LBB63_34:                              ;   in Loop: Header=BB63_2 Depth=1
	s_or_b64 exec, exec, s[16:17]
	v_add_u32_e32 v64, 1, v4
	v_cndmask_b32_e64 v60, v60, v62, s[14:15]
	v_add_u32_e32 v62, 1, v59
	v_cndmask_b32_e64 v64, v64, v4, s[14:15]
	v_cndmask_b32_e64 v62, v59, v62, s[14:15]
	v_cmp_ge_i32_e64 s[16:17], v64, v25
	s_waitcnt lgkmcnt(0)
	v_cmp_lt_i16_sdwa s[18:19], sext(v63), sext(v61) src0_sel:BYTE_0 src1_sel:BYTE_0
	v_cndmask_b32_e64 v4, v4, v59, s[14:15]
	v_cmp_lt_i32_e64 s[14:15], v62, v26
	s_or_b64 s[16:17], s[16:17], s[18:19]
	s_and_b64 s[14:15], s[14:15], s[16:17]
	v_cndmask_b32_e64 v59, v61, v63, s[14:15]
	v_cndmask_b32_e64 v61, v64, v62, s[14:15]
	s_barrier
	ds_write_b8 v6, v2
	ds_write_b8 v6, v3 offset:1
	s_waitcnt lgkmcnt(0)
	s_barrier
	ds_read_u8 v2, v4
	ds_read_u8 v3, v61
	s_waitcnt lgkmcnt(0)
	s_barrier
	ds_write_b8 v6, v60
	ds_write_b8 v6, v59 offset:1
	v_mov_b32_e32 v59, v47
	s_waitcnt lgkmcnt(0)
	s_barrier
	s_and_saveexec_b64 s[16:17], s[6:7]
	s_cbranch_execz .LBB63_38
; %bb.35:                               ;   in Loop: Header=BB63_2 Depth=1
	s_mov_b64 s[18:19], 0
	v_mov_b32_e32 v59, v47
	v_mov_b32_e32 v4, v41
.LBB63_36:                              ;   Parent Loop BB63_2 Depth=1
                                        ; =>  This Inner Loop Header: Depth=2
	v_sub_u32_e32 v60, v4, v59
	v_lshrrev_b32_e32 v61, 31, v60
	v_add_u32_e32 v60, v60, v61
	v_ashrrev_i32_e32 v60, 1, v60
	v_add_u32_e32 v60, v60, v59
	v_not_b32_e32 v62, v60
	v_add_u32_e32 v61, v15, v60
	v_add3_u32 v62, v16, v62, v27
	ds_read_i8 v61, v61
	ds_read_i8 v62, v62
	v_add_u32_e32 v63, 1, v60
	s_waitcnt lgkmcnt(0)
	v_cmp_lt_i16_e64 s[14:15], v62, v61
	s_nop 1
	v_cndmask_b32_e64 v4, v4, v60, s[14:15]
	v_cndmask_b32_e64 v59, v63, v59, s[14:15]
	v_cmp_ge_i32_e64 s[14:15], v59, v4
	s_or_b64 s[18:19], s[14:15], s[18:19]
	s_andn2_b64 exec, exec, s[18:19]
	s_cbranch_execnz .LBB63_36
; %bb.37:                               ;   in Loop: Header=BB63_2 Depth=1
	s_or_b64 exec, exec, s[18:19]
.LBB63_38:                              ;   in Loop: Header=BB63_2 Depth=1
	s_or_b64 exec, exec, s[16:17]
	v_add_u32_e32 v4, v59, v15
	v_sub_u32_e32 v59, v35, v59
	ds_read_u8 v60, v4
	ds_read_u8 v61, v59
	v_cmp_le_i32_e64 s[16:17], v27, v4
	v_cmp_gt_i32_e64 s[14:15], v28, v59
	s_waitcnt lgkmcnt(1)
	v_bfe_i32 v60, v60, 0, 8
	s_waitcnt lgkmcnt(0)
	v_bfe_i32 v62, v61, 0, 8
	v_cmp_lt_i16_e64 s[18:19], v62, v60
	s_or_b64 s[16:17], s[16:17], s[18:19]
	s_and_b64 s[14:15], s[14:15], s[16:17]
	s_xor_b64 s[16:17], s[14:15], -1
                                        ; implicit-def: $vgpr61
	s_and_saveexec_b64 s[18:19], s[16:17]
	s_xor_b64 s[16:17], exec, s[18:19]
	s_cbranch_execz .LBB63_40
; %bb.39:                               ;   in Loop: Header=BB63_2 Depth=1
	ds_read_u8 v61, v4 offset:1
.LBB63_40:                              ;   in Loop: Header=BB63_2 Depth=1
	s_or_saveexec_b64 s[16:17], s[16:17]
	v_mov_b32_e32 v63, v62
	s_xor_b64 exec, exec, s[16:17]
	s_cbranch_execz .LBB63_42
; %bb.41:                               ;   in Loop: Header=BB63_2 Depth=1
	ds_read_u8 v63, v59 offset:1
	s_waitcnt lgkmcnt(1)
	v_mov_b32_e32 v61, v60
.LBB63_42:                              ;   in Loop: Header=BB63_2 Depth=1
	s_or_b64 exec, exec, s[16:17]
	v_add_u32_e32 v64, 1, v4
	v_cndmask_b32_e64 v60, v60, v62, s[14:15]
	v_add_u32_e32 v62, 1, v59
	v_cndmask_b32_e64 v64, v64, v4, s[14:15]
	v_cndmask_b32_e64 v62, v59, v62, s[14:15]
	v_cmp_ge_i32_e64 s[16:17], v64, v27
	s_waitcnt lgkmcnt(0)
	v_cmp_lt_i16_sdwa s[18:19], sext(v63), sext(v61) src0_sel:BYTE_0 src1_sel:BYTE_0
	v_cndmask_b32_e64 v4, v4, v59, s[14:15]
	v_cmp_lt_i32_e64 s[14:15], v62, v28
	s_or_b64 s[16:17], s[16:17], s[18:19]
	s_and_b64 s[14:15], s[14:15], s[16:17]
	v_cndmask_b32_e64 v59, v61, v63, s[14:15]
	v_cndmask_b32_e64 v61, v64, v62, s[14:15]
	s_barrier
	ds_write_b8 v6, v2
	ds_write_b8 v6, v3 offset:1
	s_waitcnt lgkmcnt(0)
	s_barrier
	ds_read_u8 v2, v4
	ds_read_u8 v3, v61
	s_waitcnt lgkmcnt(0)
	s_barrier
	ds_write_b8 v6, v60
	ds_write_b8 v6, v59 offset:1
	v_mov_b32_e32 v59, v48
	s_waitcnt lgkmcnt(0)
	s_barrier
	s_and_saveexec_b64 s[16:17], s[8:9]
	s_cbranch_execz .LBB63_46
; %bb.43:                               ;   in Loop: Header=BB63_2 Depth=1
	s_mov_b64 s[18:19], 0
	v_mov_b32_e32 v59, v48
	v_mov_b32_e32 v4, v42
.LBB63_44:                              ;   Parent Loop BB63_2 Depth=1
                                        ; =>  This Inner Loop Header: Depth=2
	v_sub_u32_e32 v60, v4, v59
	v_lshrrev_b32_e32 v61, 31, v60
	v_add_u32_e32 v60, v60, v61
	v_ashrrev_i32_e32 v60, 1, v60
	v_add_u32_e32 v60, v60, v59
	v_not_b32_e32 v62, v60
	v_add_u32_e32 v61, v17, v60
	v_add3_u32 v62, v18, v62, v29
	ds_read_i8 v61, v61
	ds_read_i8 v62, v62
	v_add_u32_e32 v63, 1, v60
	s_waitcnt lgkmcnt(0)
	v_cmp_lt_i16_e64 s[14:15], v62, v61
	s_nop 1
	v_cndmask_b32_e64 v4, v4, v60, s[14:15]
	v_cndmask_b32_e64 v59, v63, v59, s[14:15]
	v_cmp_ge_i32_e64 s[14:15], v59, v4
	s_or_b64 s[18:19], s[14:15], s[18:19]
	s_andn2_b64 exec, exec, s[18:19]
	s_cbranch_execnz .LBB63_44
; %bb.45:                               ;   in Loop: Header=BB63_2 Depth=1
	s_or_b64 exec, exec, s[18:19]
.LBB63_46:                              ;   in Loop: Header=BB63_2 Depth=1
	s_or_b64 exec, exec, s[16:17]
	v_add_u32_e32 v4, v59, v17
	v_sub_u32_e32 v59, v36, v59
	ds_read_u8 v60, v4
	ds_read_u8 v61, v59
	v_cmp_le_i32_e64 s[16:17], v29, v4
	v_cmp_gt_i32_e64 s[14:15], v30, v59
	s_waitcnt lgkmcnt(1)
	v_bfe_i32 v60, v60, 0, 8
	s_waitcnt lgkmcnt(0)
	v_bfe_i32 v62, v61, 0, 8
	v_cmp_lt_i16_e64 s[18:19], v62, v60
	s_or_b64 s[16:17], s[16:17], s[18:19]
	s_and_b64 s[14:15], s[14:15], s[16:17]
	s_xor_b64 s[16:17], s[14:15], -1
                                        ; implicit-def: $vgpr61
	s_and_saveexec_b64 s[18:19], s[16:17]
	s_xor_b64 s[16:17], exec, s[18:19]
	s_cbranch_execz .LBB63_48
; %bb.47:                               ;   in Loop: Header=BB63_2 Depth=1
	ds_read_u8 v61, v4 offset:1
.LBB63_48:                              ;   in Loop: Header=BB63_2 Depth=1
	s_or_saveexec_b64 s[16:17], s[16:17]
	v_mov_b32_e32 v63, v62
	s_xor_b64 exec, exec, s[16:17]
	s_cbranch_execz .LBB63_50
; %bb.49:                               ;   in Loop: Header=BB63_2 Depth=1
	ds_read_u8 v63, v59 offset:1
	s_waitcnt lgkmcnt(1)
	v_mov_b32_e32 v61, v60
.LBB63_50:                              ;   in Loop: Header=BB63_2 Depth=1
	s_or_b64 exec, exec, s[16:17]
	v_add_u32_e32 v64, 1, v4
	v_cndmask_b32_e64 v60, v60, v62, s[14:15]
	v_add_u32_e32 v62, 1, v59
	v_cndmask_b32_e64 v64, v64, v4, s[14:15]
	v_cndmask_b32_e64 v62, v59, v62, s[14:15]
	v_cmp_ge_i32_e64 s[16:17], v64, v29
	s_waitcnt lgkmcnt(0)
	v_cmp_lt_i16_sdwa s[18:19], sext(v63), sext(v61) src0_sel:BYTE_0 src1_sel:BYTE_0
	v_cndmask_b32_e64 v4, v4, v59, s[14:15]
	v_cmp_lt_i32_e64 s[14:15], v62, v30
	s_or_b64 s[16:17], s[16:17], s[18:19]
	s_and_b64 s[14:15], s[14:15], s[16:17]
	v_cndmask_b32_e64 v59, v61, v63, s[14:15]
	v_cndmask_b32_e64 v61, v64, v62, s[14:15]
	s_barrier
	ds_write_b8 v6, v2
	ds_write_b8 v6, v3 offset:1
	s_waitcnt lgkmcnt(0)
	s_barrier
	ds_read_u8 v2, v4
	ds_read_u8 v3, v61
	s_waitcnt lgkmcnt(0)
	s_barrier
	ds_write_b8 v6, v60
	ds_write_b8 v6, v59 offset:1
	v_mov_b32_e32 v59, v53
	s_waitcnt lgkmcnt(0)
	s_barrier
	s_and_saveexec_b64 s[16:17], s[10:11]
	s_cbranch_execz .LBB63_54
; %bb.51:                               ;   in Loop: Header=BB63_2 Depth=1
	s_mov_b64 s[18:19], 0
	v_mov_b32_e32 v59, v53
	v_mov_b32_e32 v4, v54
.LBB63_52:                              ;   Parent Loop BB63_2 Depth=1
                                        ; =>  This Inner Loop Header: Depth=2
	v_sub_u32_e32 v60, v4, v59
	v_lshrrev_b32_e32 v61, 31, v60
	v_add_u32_e32 v60, v60, v61
	v_ashrrev_i32_e32 v60, 1, v60
	v_add_u32_e32 v60, v60, v59
	v_not_b32_e32 v62, v60
	v_add_u32_e32 v61, v49, v60
	v_add3_u32 v62, v50, v62, v51
	ds_read_i8 v61, v61
	ds_read_i8 v62, v62
	v_add_u32_e32 v63, 1, v60
	s_waitcnt lgkmcnt(0)
	v_cmp_lt_i16_e64 s[14:15], v62, v61
	s_nop 1
	v_cndmask_b32_e64 v4, v4, v60, s[14:15]
	v_cndmask_b32_e64 v59, v63, v59, s[14:15]
	v_cmp_ge_i32_e64 s[14:15], v59, v4
	s_or_b64 s[18:19], s[14:15], s[18:19]
	s_andn2_b64 exec, exec, s[18:19]
	s_cbranch_execnz .LBB63_52
; %bb.53:                               ;   in Loop: Header=BB63_2 Depth=1
	s_or_b64 exec, exec, s[18:19]
.LBB63_54:                              ;   in Loop: Header=BB63_2 Depth=1
	s_or_b64 exec, exec, s[16:17]
	v_add_u32_e32 v4, v59, v49
	v_sub_u32_e32 v59, v55, v59
	ds_read_u8 v60, v4
	ds_read_u8 v61, v59
	v_cmp_le_i32_e64 s[16:17], v51, v4
	v_cmp_gt_i32_e64 s[14:15], v52, v59
	s_waitcnt lgkmcnt(1)
	v_bfe_i32 v60, v60, 0, 8
	s_waitcnt lgkmcnt(0)
	v_bfe_i32 v62, v61, 0, 8
	v_cmp_lt_i16_e64 s[18:19], v62, v60
	s_or_b64 s[16:17], s[16:17], s[18:19]
	s_and_b64 s[14:15], s[14:15], s[16:17]
	s_xor_b64 s[16:17], s[14:15], -1
                                        ; implicit-def: $vgpr61
	s_and_saveexec_b64 s[18:19], s[16:17]
	s_xor_b64 s[16:17], exec, s[18:19]
	s_cbranch_execz .LBB63_56
; %bb.55:                               ;   in Loop: Header=BB63_2 Depth=1
	ds_read_u8 v61, v4 offset:1
.LBB63_56:                              ;   in Loop: Header=BB63_2 Depth=1
	s_or_saveexec_b64 s[16:17], s[16:17]
	v_mov_b32_e32 v63, v62
	s_xor_b64 exec, exec, s[16:17]
	s_cbranch_execz .LBB63_58
; %bb.57:                               ;   in Loop: Header=BB63_2 Depth=1
	ds_read_u8 v63, v59 offset:1
	s_waitcnt lgkmcnt(1)
	v_mov_b32_e32 v61, v60
.LBB63_58:                              ;   in Loop: Header=BB63_2 Depth=1
	s_or_b64 exec, exec, s[16:17]
	v_add_u32_e32 v64, 1, v4
	v_cndmask_b32_e64 v62, v60, v62, s[14:15]
	v_add_u32_e32 v60, 1, v59
	v_cndmask_b32_e64 v64, v64, v4, s[14:15]
	v_cndmask_b32_e64 v60, v59, v60, s[14:15]
	v_cmp_ge_i32_e64 s[16:17], v64, v51
	s_waitcnt lgkmcnt(0)
	v_cmp_lt_i16_sdwa s[18:19], sext(v63), sext(v61) src0_sel:BYTE_0 src1_sel:BYTE_0
	v_cndmask_b32_e64 v4, v4, v59, s[14:15]
	v_cmp_lt_i32_e64 s[14:15], v60, v52
	s_or_b64 s[16:17], s[16:17], s[18:19]
	s_and_b64 s[14:15], s[14:15], s[16:17]
	v_cndmask_b32_e64 v60, v64, v60, s[14:15]
	s_barrier
	ds_write_b8 v6, v2
	ds_write_b8 v6, v3 offset:1
	s_waitcnt lgkmcnt(0)
	s_barrier
	ds_read_u8 v59, v4
	ds_read_u8 v60, v60
	v_mov_b32_e32 v2, v56
	v_cndmask_b32_e64 v61, v61, v63, s[14:15]
	s_waitcnt lgkmcnt(0)
	s_barrier
	ds_write_b8 v6, v62
	ds_write_b8 v6, v61 offset:1
	s_waitcnt lgkmcnt(0)
	s_barrier
	s_and_saveexec_b64 s[16:17], s[12:13]
	s_cbranch_execz .LBB63_62
; %bb.59:                               ;   in Loop: Header=BB63_2 Depth=1
	s_mov_b64 s[18:19], 0
	v_mov_b32_e32 v2, v56
	v_mov_b32_e32 v3, v57
.LBB63_60:                              ;   Parent Loop BB63_2 Depth=1
                                        ; =>  This Inner Loop Header: Depth=2
	v_sub_u32_e32 v4, v3, v2
	v_lshrrev_b32_e32 v61, 31, v4
	v_add_u32_e32 v4, v4, v61
	v_ashrrev_i32_e32 v4, 1, v4
	v_add_u32_e32 v4, v4, v2
	v_not_b32_e32 v61, v4
	v_add3_u32 v61, v6, v61, v5
	ds_read_i8 v62, v4
	ds_read_i8 v61, v61
	v_add_u32_e32 v63, 1, v4
	s_waitcnt lgkmcnt(0)
	v_cmp_lt_i16_e64 s[14:15], v61, v62
	s_nop 1
	v_cndmask_b32_e64 v3, v3, v4, s[14:15]
	v_cndmask_b32_e64 v2, v63, v2, s[14:15]
	v_cmp_ge_i32_e64 s[14:15], v2, v3
	s_or_b64 s[18:19], s[14:15], s[18:19]
	s_andn2_b64 exec, exec, s[18:19]
	s_cbranch_execnz .LBB63_60
; %bb.61:                               ;   in Loop: Header=BB63_2 Depth=1
	s_or_b64 exec, exec, s[18:19]
.LBB63_62:                              ;   in Loop: Header=BB63_2 Depth=1
	s_or_b64 exec, exec, s[16:17]
	v_sub_u32_e32 v4, v58, v2
	ds_read_u8 v3, v2
	ds_read_u8 v62, v4
	v_cmp_le_i32_e64 s[16:17], v5, v2
	v_cmp_gt_i32_e64 s[14:15], s27, v4
                                        ; implicit-def: $vgpr63
	s_waitcnt lgkmcnt(1)
	v_bfe_i32 v61, v3, 0, 8
	s_waitcnt lgkmcnt(0)
	v_bfe_i32 v62, v62, 0, 8
	v_cmp_lt_i16_e64 s[18:19], v62, v61
	s_or_b64 s[16:17], s[16:17], s[18:19]
	s_and_b64 s[14:15], s[14:15], s[16:17]
	s_xor_b64 s[16:17], s[14:15], -1
                                        ; implicit-def: $vgpr3
	s_and_saveexec_b64 s[18:19], s[16:17]
	s_xor_b64 s[16:17], exec, s[18:19]
	s_cbranch_execz .LBB63_64
; %bb.63:                               ;   in Loop: Header=BB63_2 Depth=1
	ds_read_u8 v3, v2 offset:1
	v_add_u32_e32 v63, 1, v2
.LBB63_64:                              ;   in Loop: Header=BB63_2 Depth=1
	s_or_saveexec_b64 s[16:17], s[16:17]
	v_mov_b32_e32 v64, v62
	s_xor_b64 exec, exec, s[16:17]
	s_cbranch_execz .LBB63_1
; %bb.65:                               ;   in Loop: Header=BB63_2 Depth=1
	ds_read_u8 v64, v4 offset:1
	v_mov_b32_e32 v63, v2
	v_add_u32_e32 v65, 1, v4
	s_waitcnt lgkmcnt(1)
	v_mov_b64_e32 v[2:3], v[4:5]
	v_mov_b32_e32 v4, v65
	v_mov_b32_e32 v3, v61
	s_branch .LBB63_1
.LBB63_66:
	s_add_u32 s0, s22, s24
	s_addc_u32 s1, s23, 0
	v_add_u16_e32 v2, v60, v4
	v_lshl_add_u64 v[0:1], s[0:1], 0, v[0:1]
	v_add_u16_e32 v3, v64, v59
	global_store_byte v[0:1], v2, off
	global_store_byte v[0:1], v3, off offset:256
	s_endpgm
	.section	.rodata,"a",@progbits
	.p2align	6, 0x0
	.amdhsa_kernel _Z17sort_pairs_kernelIaLj256ELj2EN10test_utils4lessELj10EEvPKT_PS2_T2_
		.amdhsa_group_segment_fixed_size 513
		.amdhsa_private_segment_fixed_size 0
		.amdhsa_kernarg_size 20
		.amdhsa_user_sgpr_count 2
		.amdhsa_user_sgpr_dispatch_ptr 0
		.amdhsa_user_sgpr_queue_ptr 0
		.amdhsa_user_sgpr_kernarg_segment_ptr 1
		.amdhsa_user_sgpr_dispatch_id 0
		.amdhsa_user_sgpr_kernarg_preload_length 0
		.amdhsa_user_sgpr_kernarg_preload_offset 0
		.amdhsa_user_sgpr_private_segment_size 0
		.amdhsa_uses_dynamic_stack 0
		.amdhsa_enable_private_segment 0
		.amdhsa_system_sgpr_workgroup_id_x 1
		.amdhsa_system_sgpr_workgroup_id_y 0
		.amdhsa_system_sgpr_workgroup_id_z 0
		.amdhsa_system_sgpr_workgroup_info 0
		.amdhsa_system_vgpr_workitem_id 0
		.amdhsa_next_free_vgpr 66
		.amdhsa_next_free_sgpr 28
		.amdhsa_accum_offset 68
		.amdhsa_reserve_vcc 1
		.amdhsa_float_round_mode_32 0
		.amdhsa_float_round_mode_16_64 0
		.amdhsa_float_denorm_mode_32 3
		.amdhsa_float_denorm_mode_16_64 3
		.amdhsa_dx10_clamp 1
		.amdhsa_ieee_mode 1
		.amdhsa_fp16_overflow 0
		.amdhsa_tg_split 0
		.amdhsa_exception_fp_ieee_invalid_op 0
		.amdhsa_exception_fp_denorm_src 0
		.amdhsa_exception_fp_ieee_div_zero 0
		.amdhsa_exception_fp_ieee_overflow 0
		.amdhsa_exception_fp_ieee_underflow 0
		.amdhsa_exception_fp_ieee_inexact 0
		.amdhsa_exception_int_div_zero 0
	.end_amdhsa_kernel
	.section	.text._Z17sort_pairs_kernelIaLj256ELj2EN10test_utils4lessELj10EEvPKT_PS2_T2_,"axG",@progbits,_Z17sort_pairs_kernelIaLj256ELj2EN10test_utils4lessELj10EEvPKT_PS2_T2_,comdat
.Lfunc_end63:
	.size	_Z17sort_pairs_kernelIaLj256ELj2EN10test_utils4lessELj10EEvPKT_PS2_T2_, .Lfunc_end63-_Z17sort_pairs_kernelIaLj256ELj2EN10test_utils4lessELj10EEvPKT_PS2_T2_
                                        ; -- End function
	.section	.AMDGPU.csdata,"",@progbits
; Kernel info:
; codeLenInByte = 4280
; NumSgprs: 34
; NumVgprs: 66
; NumAgprs: 0
; TotalNumVgprs: 66
; ScratchSize: 0
; MemoryBound: 0
; FloatMode: 240
; IeeeMode: 1
; LDSByteSize: 513 bytes/workgroup (compile time only)
; SGPRBlocks: 4
; VGPRBlocks: 8
; NumSGPRsForWavesPerEU: 34
; NumVGPRsForWavesPerEU: 66
; AccumOffset: 68
; Occupancy: 7
; WaveLimiterHint : 1
; COMPUTE_PGM_RSRC2:SCRATCH_EN: 0
; COMPUTE_PGM_RSRC2:USER_SGPR: 2
; COMPUTE_PGM_RSRC2:TRAP_HANDLER: 0
; COMPUTE_PGM_RSRC2:TGID_X_EN: 1
; COMPUTE_PGM_RSRC2:TGID_Y_EN: 0
; COMPUTE_PGM_RSRC2:TGID_Z_EN: 0
; COMPUTE_PGM_RSRC2:TIDIG_COMP_CNT: 0
; COMPUTE_PGM_RSRC3_GFX90A:ACCUM_OFFSET: 16
; COMPUTE_PGM_RSRC3_GFX90A:TG_SPLIT: 0
	.section	.text._Z16sort_keys_kernelIaLj256ELj3EN10test_utils4lessELj10EEvPKT_PS2_T2_,"axG",@progbits,_Z16sort_keys_kernelIaLj256ELj3EN10test_utils4lessELj10EEvPKT_PS2_T2_,comdat
	.protected	_Z16sort_keys_kernelIaLj256ELj3EN10test_utils4lessELj10EEvPKT_PS2_T2_ ; -- Begin function _Z16sort_keys_kernelIaLj256ELj3EN10test_utils4lessELj10EEvPKT_PS2_T2_
	.globl	_Z16sort_keys_kernelIaLj256ELj3EN10test_utils4lessELj10EEvPKT_PS2_T2_
	.p2align	8
	.type	_Z16sort_keys_kernelIaLj256ELj3EN10test_utils4lessELj10EEvPKT_PS2_T2_,@function
_Z16sort_keys_kernelIaLj256ELj3EN10test_utils4lessELj10EEvPKT_PS2_T2_: ; @_Z16sort_keys_kernelIaLj256ELj3EN10test_utils4lessELj10EEvPKT_PS2_T2_
; %bb.0:
	s_load_dwordx4 s[20:23], s[0:1], 0x0
	s_mul_i32 s24, s2, 0x300
	v_and_b32_e32 v3, 0xfe, v0
	v_and_b32_e32 v5, 0xfc, v0
	v_mul_u32_u24_e32 v9, 3, v3
	s_waitcnt lgkmcnt(0)
	s_add_u32 s0, s20, s24
	s_addc_u32 s1, s21, 0
	global_load_ubyte v33, v0, s[0:1]
	global_load_ubyte v34, v0, s[0:1] offset:256
	global_load_ubyte v35, v0, s[0:1] offset:512
	v_and_b32_e32 v4, 1, v0
	v_and_b32_e32 v6, 0xf8, v0
	v_and_b32_e32 v8, 0xe0, v0
	v_mul_u32_u24_e32 v10, 3, v5
	v_min_u32_e32 v13, 0x2fd, v9
	v_min_u32_e32 v14, 0x2fa, v9
	v_and_b32_e32 v7, 0xf0, v0
	v_cmp_eq_u32_e32 vcc, 1, v4
	v_mul_u32_u24_e32 v11, 3, v6
	v_mul_u32_u24_e32 v36, 3, v8
	v_min_u32_e32 v15, 0x2fa, v10
	v_min_u32_e32 v16, 0x2f4, v10
	v_add_u32_e32 v13, 3, v13
	v_add_u32_e32 v14, 6, v14
	v_and_b32_e32 v22, 3, v0
	v_cndmask_b32_e64 v3, 0, 3, vcc
	v_mul_u32_u24_e32 v12, 3, v7
	v_min_u32_e32 v17, 0x2f4, v11
	v_min_u32_e32 v18, 0x2e8, v11
	v_add_u32_e32 v15, 6, v15
	v_add_u32_e32 v16, 12, v16
	v_sub_u32_e32 v29, v14, v13
	v_and_b32_e32 v23, 7, v0
	v_and_b32_e32 v37, 31, v0
	v_mul_u32_u24_e32 v4, 3, v22
	v_min_u32_e32 v19, 0x2e8, v12
	v_min_u32_e32 v20, 0x2d0, v12
	v_add_u32_e32 v17, 12, v17
	v_add_u32_e32 v18, 24, v18
	v_sub_u32_e32 v30, v16, v15
	v_sub_u32_e32 v38, v3, v29
	v_cmp_ge_i32_e32 vcc, v3, v29
	v_and_b32_e32 v24, 15, v0
	v_mul_u32_u24_e32 v5, 3, v23
	v_mul_u32_u24_e32 v7, 3, v37
	v_add_u32_e32 v19, 24, v19
	v_add_u32_e32 v20, 48, v20
	v_sub_u32_e32 v31, v18, v17
	v_sub_u32_e32 v39, v4, v30
	v_cndmask_b32_e32 v29, 0, v38, vcc
	v_cmp_ge_i32_e32 vcc, v4, v30
	v_mul_u32_u24_e32 v6, 3, v24
	v_sub_u32_e32 v32, v20, v19
	v_sub_u32_e32 v40, v5, v31
	v_cndmask_b32_e32 v30, 0, v39, vcc
	v_cmp_ge_i32_e32 vcc, v5, v31
	v_sub_u32_e32 v41, v6, v32
	v_and_b32_e32 v44, 63, v0
	v_cndmask_b32_e32 v31, 0, v40, vcc
	v_cmp_ge_i32_e32 vcc, v6, v32
	v_and_b32_e32 v52, 0x7f, v0
	v_min_u32_e32 v8, 0x300, v9
	v_cndmask_b32_e32 v32, 0, v41, vcc
	v_min_u32_e32 v9, 0x300, v10
	v_min_u32_e32 v10, 0x300, v11
	v_min_u32_e32 v11, 0x300, v12
	v_min_u32_e32 v12, 0x300, v36
	v_mul_u32_u24_e32 v2, 3, v0
	v_sub_u32_e32 v25, v13, v8
	v_sub_u32_e32 v26, v15, v9
	;; [unrolled: 1-line block ×4, first 2 shown]
	v_mov_b32_e32 v48, 0x180
	v_min_i32_e32 v25, v3, v25
	v_min_i32_e32 v26, v4, v26
	;; [unrolled: 1-line block ×5, first 2 shown]
	s_movk_i32 s20, 0x300
	s_mov_b32 s21, 0
	v_mov_b32_e32 v1, 0
	v_add_u32_e32 v21, v13, v3
	v_mad_u32_u24 v22, v22, 3, v15
	v_mad_u32_u24 v23, v23, 3, v17
	;; [unrolled: 1-line block ×3, first 2 shown]
	v_cmp_lt_i32_e32 vcc, v29, v25
	v_cmp_lt_i32_e64 s[0:1], v30, v26
	v_cmp_lt_i32_e64 s[2:3], v31, v27
	s_waitcnt vmcnt(1)
	v_lshlrev_b16_e32 v34, 8, v34
	v_or_b32_e32 v33, v33, v34
	v_and_b32_e32 v33, 0xffff, v33
	s_waitcnt vmcnt(0)
	v_lshl_or_b32 v56, v35, 16, v33
	v_min_u32_e32 v33, 0x2d0, v36
	v_min_u32_e32 v34, 0x2a0, v36
	v_add_u32_e32 v33, 48, v33
	v_add_u32_e32 v34, 0x60, v34
	v_sub_u32_e32 v35, v34, v33
	v_sub_u32_e32 v38, v7, v35
	v_cmp_ge_i32_e64 s[6:7], v7, v35
	v_sub_u32_e32 v36, v33, v12
	v_min_i32_e32 v36, v7, v36
	v_cndmask_b32_e64 v35, 0, v38, s[6:7]
	v_and_b32_e32 v38, 0xc0, v0
	v_mul_u32_u24_e32 v41, 3, v38
	v_min_u32_e32 v39, 0x300, v41
	v_min_u32_e32 v40, 0x2a0, v41
	v_min_u32_e32 v41, 0x240, v41
	v_add_u32_e32 v40, 0x60, v40
	v_add_u32_e32 v41, 0xc0, v41
	v_mul_u32_u24_e32 v38, 3, v44
	v_sub_u32_e32 v42, v41, v40
	v_sub_u32_e32 v45, v38, v42
	v_cmp_ge_i32_e64 s[8:9], v38, v42
	v_sub_u32_e32 v43, v40, v39
	v_min_i32_e32 v43, v38, v43
	v_cndmask_b32_e64 v42, 0, v45, s[8:9]
	v_and_b32_e32 v45, 0x80, v0
	v_mul_u32_u24_e32 v49, 3, v45
	v_min_u32_e32 v46, 0x300, v49
	v_min_u32_e32 v47, 0x240, v49
	;; [unrolled: 1-line block ×3, first 2 shown]
	v_add_u32_e32 v47, 0xc0, v47
	v_add_u32_e32 v49, 0x180, v49
	v_mul_u32_u24_e32 v45, 3, v52
	v_sub_u32_e32 v50, v49, v47
	v_sub_u32_e32 v51, v47, v46
	v_sub_u32_e32 v53, v45, v50
	v_cmp_ge_i32_e64 s[10:11], v45, v50
	v_min_i32_e32 v51, v45, v51
	v_cmp_lt_i32_e64 s[4:5], v32, v28
	v_cndmask_b32_e64 v50, 0, v53, s[10:11]
	v_sub_u32_e64 v53, v2, v48 clamp
	v_cmp_lt_i32_e64 s[6:7], v35, v36
	v_mad_u32_u24 v37, v37, 3, v33
	v_cmp_lt_i32_e64 s[8:9], v42, v43
	v_mad_u32_u24 v44, v44, 3, v40
	;; [unrolled: 2-line block ×4, first 2 shown]
	s_mov_b32 s25, 0x7060405
	s_mov_b32 s26, 0x7000604
	;; [unrolled: 1-line block ×3, first 2 shown]
	s_branch .LBB64_2
.LBB64_1:                               ;   in Loop: Header=BB64_2 Depth=1
	s_or_b64 exec, exec, s[18:19]
	v_cndmask_b32_e64 v59, v59, v60, s[16:17]
	v_cmp_ge_i32_e64 s[16:17], v63, v48
	s_waitcnt lgkmcnt(0)
	v_cmp_lt_i16_sdwa s[18:19], sext(v64), sext(v58) src0_sel:BYTE_0 src1_sel:BYTE_0
	v_cndmask_b32_e64 v57, v56, v57, s[14:15]
	v_cmp_gt_i32_e64 s[14:15], s20, v61
	s_or_b64 s[16:17], s[16:17], s[18:19]
	s_and_b64 s[14:15], s[14:15], s[16:17]
	v_cndmask_b32_e64 v58, v58, v64, s[14:15]
	v_lshlrev_b16_e32 v56, 8, v59
	v_and_b32_e32 v60, 0xff, v58
	v_or_b32_sdwa v56, v57, v56 dst_sel:DWORD dst_unused:UNUSED_PAD src0_sel:BYTE_0 src1_sel:DWORD
	v_lshlrev_b32_e32 v60, 16, v60
	s_add_i32 s21, s21, 1
	s_cmp_eq_u32 s21, 10
	v_or_b32_sdwa v56, v56, v60 dst_sel:DWORD dst_unused:UNUSED_PAD src0_sel:WORD_0 src1_sel:DWORD
	s_cbranch_scc1 .LBB64_98
.LBB64_2:                               ; =>This Loop Header: Depth=1
                                        ;     Child Loop BB64_4 Depth 2
                                        ;     Child Loop BB64_16 Depth 2
                                        ;     Child Loop BB64_28 Depth 2
                                        ;     Child Loop BB64_40 Depth 2
                                        ;     Child Loop BB64_52 Depth 2
                                        ;     Child Loop BB64_64 Depth 2
                                        ;     Child Loop BB64_76 Depth 2
                                        ;     Child Loop BB64_88 Depth 2
	v_lshrrev_b32_e32 v58, 8, v56
	v_perm_b32 v57, v56, v56, s25
	v_cmp_lt_i16_sdwa s[14:15], sext(v58), sext(v56) src0_sel:BYTE_0 src1_sel:BYTE_0
	v_min_i16_sdwa v60, sext(v58), sext(v56) dst_sel:DWORD dst_unused:UNUSED_PAD src0_sel:BYTE_0 src1_sel:BYTE_0
	s_nop 0
	v_cndmask_b32_e64 v57, v56, v57, s[14:15]
	v_lshrrev_b32_e32 v59, 16, v57
	v_max_i16_sdwa v56, sext(v58), sext(v56) dst_sel:DWORD dst_unused:UNUSED_PAD src0_sel:BYTE_0 src1_sel:BYTE_0
	v_perm_b32 v58, v57, v56, s26
	v_cmp_lt_i16_sdwa s[14:15], sext(v59), v56 src0_sel:BYTE_0 src1_sel:DWORD
	v_min_i16_sdwa v56, sext(v59), v56 dst_sel:DWORD dst_unused:UNUSED_PAD src0_sel:BYTE_0 src1_sel:DWORD
	s_barrier
	v_cndmask_b32_e64 v57, v57, v58, s[14:15]
	v_lshlrev_b16_e32 v58, 8, v60
	v_or_b32_sdwa v56, v56, v58 dst_sel:DWORD dst_unused:UNUSED_PAD src0_sel:BYTE_0 src1_sel:DWORD
	v_and_b32_e32 v56, 0xffff, v56
	v_and_or_b32 v56, v57, s27, v56
	v_cmp_lt_i16_sdwa s[14:15], sext(v59), v60 src0_sel:BYTE_0 src1_sel:DWORD
	s_nop 1
	v_cndmask_b32_e64 v56, v57, v56, s[14:15]
	v_lshrrev_b32_e32 v57, 8, v56
	ds_write_b8 v2, v56
	ds_write_b8 v2, v57 offset:1
	ds_write_b8_d16_hi v2, v56 offset:2
	v_mov_b32_e32 v56, v29
	s_waitcnt lgkmcnt(0)
	s_barrier
	s_and_saveexec_b64 s[16:17], vcc
	s_cbranch_execz .LBB64_6
; %bb.3:                                ;   in Loop: Header=BB64_2 Depth=1
	s_mov_b64 s[18:19], 0
	v_mov_b32_e32 v56, v29
	v_mov_b32_e32 v57, v25
.LBB64_4:                               ;   Parent Loop BB64_2 Depth=1
                                        ; =>  This Inner Loop Header: Depth=2
	v_sub_u32_e32 v58, v57, v56
	v_lshrrev_b32_e32 v59, 31, v58
	v_add_u32_e32 v58, v58, v59
	v_ashrrev_i32_e32 v58, 1, v58
	v_add_u32_e32 v58, v58, v56
	v_not_b32_e32 v60, v58
	v_add_u32_e32 v59, v8, v58
	v_add3_u32 v60, v3, v60, v13
	ds_read_i8 v59, v59
	ds_read_i8 v60, v60
	v_add_u32_e32 v61, 1, v58
	s_waitcnt lgkmcnt(0)
	v_cmp_lt_i16_e64 s[14:15], v60, v59
	s_nop 1
	v_cndmask_b32_e64 v57, v57, v58, s[14:15]
	v_cndmask_b32_e64 v56, v61, v56, s[14:15]
	v_cmp_ge_i32_e64 s[14:15], v56, v57
	s_or_b64 s[18:19], s[14:15], s[18:19]
	s_andn2_b64 exec, exec, s[18:19]
	s_cbranch_execnz .LBB64_4
; %bb.5:                                ;   in Loop: Header=BB64_2 Depth=1
	s_or_b64 exec, exec, s[18:19]
.LBB64_6:                               ;   in Loop: Header=BB64_2 Depth=1
	s_or_b64 exec, exec, s[16:17]
	v_add_u32_e32 v60, v56, v8
	v_sub_u32_e32 v61, v21, v56
	ds_read_u8 v56, v60
	ds_read_u8 v57, v61
	v_cmp_le_i32_e64 s[16:17], v13, v60
	v_cmp_gt_i32_e64 s[14:15], v14, v61
                                        ; implicit-def: $vgpr58
	s_waitcnt lgkmcnt(1)
	v_bfe_i32 v56, v56, 0, 8
	s_waitcnt lgkmcnt(0)
	v_bfe_i32 v57, v57, 0, 8
	v_cmp_lt_i16_e64 s[18:19], v57, v56
	s_or_b64 s[16:17], s[16:17], s[18:19]
	s_and_b64 s[14:15], s[14:15], s[16:17]
	s_xor_b64 s[16:17], s[14:15], -1
	s_and_saveexec_b64 s[18:19], s[16:17]
	s_xor_b64 s[16:17], exec, s[18:19]
	s_cbranch_execz .LBB64_8
; %bb.7:                                ;   in Loop: Header=BB64_2 Depth=1
	ds_read_u8 v58, v60 offset:1
.LBB64_8:                               ;   in Loop: Header=BB64_2 Depth=1
	s_or_saveexec_b64 s[16:17], s[16:17]
	v_mov_b32_e32 v59, v57
	s_xor_b64 exec, exec, s[16:17]
	s_cbranch_execz .LBB64_10
; %bb.9:                                ;   in Loop: Header=BB64_2 Depth=1
	ds_read_u8 v59, v61 offset:1
	s_waitcnt lgkmcnt(1)
	v_mov_b32_e32 v58, v56
.LBB64_10:                              ;   in Loop: Header=BB64_2 Depth=1
	s_or_b64 exec, exec, s[16:17]
	v_add_u32_e32 v63, 1, v60
	v_add_u32_e32 v62, 1, v61
	v_cndmask_b32_e64 v60, v63, v60, s[14:15]
	v_cndmask_b32_e64 v61, v61, v62, s[14:15]
	v_cmp_ge_i32_e64 s[18:19], v60, v13
	s_waitcnt lgkmcnt(0)
	v_cmp_lt_i16_sdwa s[28:29], sext(v59), sext(v58) src0_sel:BYTE_0 src1_sel:BYTE_0
	v_cmp_lt_i32_e64 s[16:17], v61, v14
	s_or_b64 s[18:19], s[18:19], s[28:29]
	s_and_b64 s[16:17], s[16:17], s[18:19]
	s_xor_b64 s[18:19], s[16:17], -1
                                        ; implicit-def: $vgpr62
	s_and_saveexec_b64 s[28:29], s[18:19]
	s_xor_b64 s[18:19], exec, s[28:29]
	s_cbranch_execz .LBB64_12
; %bb.11:                               ;   in Loop: Header=BB64_2 Depth=1
	ds_read_u8 v62, v60 offset:1
.LBB64_12:                              ;   in Loop: Header=BB64_2 Depth=1
	s_or_saveexec_b64 s[18:19], s[18:19]
	v_mov_b32_e32 v63, v59
	s_xor_b64 exec, exec, s[18:19]
	s_cbranch_execz .LBB64_14
; %bb.13:                               ;   in Loop: Header=BB64_2 Depth=1
	ds_read_u8 v63, v61 offset:1
	s_waitcnt lgkmcnt(1)
	v_mov_b32_e32 v62, v58
.LBB64_14:                              ;   in Loop: Header=BB64_2 Depth=1
	s_or_b64 exec, exec, s[18:19]
	v_add_u32_e32 v64, 1, v60
	v_cndmask_b32_e64 v58, v58, v59, s[16:17]
	v_add_u32_e32 v59, 1, v61
	v_cndmask_b32_e64 v60, v64, v60, s[16:17]
	v_cndmask_b32_e64 v59, v61, v59, s[16:17]
	v_cmp_ge_i32_e64 s[16:17], v60, v13
	s_waitcnt lgkmcnt(0)
	v_cmp_lt_i16_sdwa s[18:19], sext(v63), sext(v62) src0_sel:BYTE_0 src1_sel:BYTE_0
	v_cndmask_b32_e64 v56, v56, v57, s[14:15]
	v_cmp_lt_i32_e64 s[14:15], v59, v14
	s_or_b64 s[16:17], s[16:17], s[18:19]
	s_and_b64 s[14:15], s[14:15], s[16:17]
	v_cndmask_b32_e64 v57, v62, v63, s[14:15]
	s_barrier
	ds_write_b8 v2, v56
	ds_write_b8 v2, v58 offset:1
	ds_write_b8 v2, v57 offset:2
	v_mov_b32_e32 v56, v30
	s_waitcnt lgkmcnt(0)
	s_barrier
	s_and_saveexec_b64 s[16:17], s[0:1]
	s_cbranch_execz .LBB64_18
; %bb.15:                               ;   in Loop: Header=BB64_2 Depth=1
	s_mov_b64 s[18:19], 0
	v_mov_b32_e32 v56, v30
	v_mov_b32_e32 v57, v26
.LBB64_16:                              ;   Parent Loop BB64_2 Depth=1
                                        ; =>  This Inner Loop Header: Depth=2
	v_sub_u32_e32 v58, v57, v56
	v_lshrrev_b32_e32 v59, 31, v58
	v_add_u32_e32 v58, v58, v59
	v_ashrrev_i32_e32 v58, 1, v58
	v_add_u32_e32 v58, v58, v56
	v_not_b32_e32 v60, v58
	v_add_u32_e32 v59, v9, v58
	v_add3_u32 v60, v4, v60, v15
	ds_read_i8 v59, v59
	ds_read_i8 v60, v60
	v_add_u32_e32 v61, 1, v58
	s_waitcnt lgkmcnt(0)
	v_cmp_lt_i16_e64 s[14:15], v60, v59
	s_nop 1
	v_cndmask_b32_e64 v57, v57, v58, s[14:15]
	v_cndmask_b32_e64 v56, v61, v56, s[14:15]
	v_cmp_ge_i32_e64 s[14:15], v56, v57
	s_or_b64 s[18:19], s[14:15], s[18:19]
	s_andn2_b64 exec, exec, s[18:19]
	s_cbranch_execnz .LBB64_16
; %bb.17:                               ;   in Loop: Header=BB64_2 Depth=1
	s_or_b64 exec, exec, s[18:19]
.LBB64_18:                              ;   in Loop: Header=BB64_2 Depth=1
	s_or_b64 exec, exec, s[16:17]
	v_add_u32_e32 v60, v56, v9
	v_sub_u32_e32 v61, v22, v56
	ds_read_u8 v56, v60
	ds_read_u8 v57, v61
	v_cmp_le_i32_e64 s[16:17], v15, v60
	v_cmp_gt_i32_e64 s[14:15], v16, v61
                                        ; implicit-def: $vgpr58
	s_waitcnt lgkmcnt(1)
	v_bfe_i32 v56, v56, 0, 8
	s_waitcnt lgkmcnt(0)
	v_bfe_i32 v57, v57, 0, 8
	v_cmp_lt_i16_e64 s[18:19], v57, v56
	s_or_b64 s[16:17], s[16:17], s[18:19]
	s_and_b64 s[14:15], s[14:15], s[16:17]
	s_xor_b64 s[16:17], s[14:15], -1
	s_and_saveexec_b64 s[18:19], s[16:17]
	s_xor_b64 s[16:17], exec, s[18:19]
	s_cbranch_execz .LBB64_20
; %bb.19:                               ;   in Loop: Header=BB64_2 Depth=1
	ds_read_u8 v58, v60 offset:1
.LBB64_20:                              ;   in Loop: Header=BB64_2 Depth=1
	s_or_saveexec_b64 s[16:17], s[16:17]
	v_mov_b32_e32 v59, v57
	s_xor_b64 exec, exec, s[16:17]
	s_cbranch_execz .LBB64_22
; %bb.21:                               ;   in Loop: Header=BB64_2 Depth=1
	ds_read_u8 v59, v61 offset:1
	s_waitcnt lgkmcnt(1)
	v_mov_b32_e32 v58, v56
.LBB64_22:                              ;   in Loop: Header=BB64_2 Depth=1
	s_or_b64 exec, exec, s[16:17]
	v_add_u32_e32 v63, 1, v60
	v_add_u32_e32 v62, 1, v61
	v_cndmask_b32_e64 v60, v63, v60, s[14:15]
	v_cndmask_b32_e64 v61, v61, v62, s[14:15]
	v_cmp_ge_i32_e64 s[18:19], v60, v15
	s_waitcnt lgkmcnt(0)
	v_cmp_lt_i16_sdwa s[28:29], sext(v59), sext(v58) src0_sel:BYTE_0 src1_sel:BYTE_0
	v_cmp_lt_i32_e64 s[16:17], v61, v16
	s_or_b64 s[18:19], s[18:19], s[28:29]
	s_and_b64 s[16:17], s[16:17], s[18:19]
	s_xor_b64 s[18:19], s[16:17], -1
                                        ; implicit-def: $vgpr62
	s_and_saveexec_b64 s[28:29], s[18:19]
	s_xor_b64 s[18:19], exec, s[28:29]
	s_cbranch_execz .LBB64_24
; %bb.23:                               ;   in Loop: Header=BB64_2 Depth=1
	ds_read_u8 v62, v60 offset:1
.LBB64_24:                              ;   in Loop: Header=BB64_2 Depth=1
	s_or_saveexec_b64 s[18:19], s[18:19]
	v_mov_b32_e32 v63, v59
	s_xor_b64 exec, exec, s[18:19]
	s_cbranch_execz .LBB64_26
; %bb.25:                               ;   in Loop: Header=BB64_2 Depth=1
	ds_read_u8 v63, v61 offset:1
	s_waitcnt lgkmcnt(1)
	v_mov_b32_e32 v62, v58
.LBB64_26:                              ;   in Loop: Header=BB64_2 Depth=1
	s_or_b64 exec, exec, s[18:19]
	v_add_u32_e32 v64, 1, v60
	v_cndmask_b32_e64 v58, v58, v59, s[16:17]
	v_add_u32_e32 v59, 1, v61
	v_cndmask_b32_e64 v60, v64, v60, s[16:17]
	v_cndmask_b32_e64 v59, v61, v59, s[16:17]
	v_cmp_ge_i32_e64 s[16:17], v60, v15
	s_waitcnt lgkmcnt(0)
	v_cmp_lt_i16_sdwa s[18:19], sext(v63), sext(v62) src0_sel:BYTE_0 src1_sel:BYTE_0
	v_cndmask_b32_e64 v56, v56, v57, s[14:15]
	v_cmp_lt_i32_e64 s[14:15], v59, v16
	s_or_b64 s[16:17], s[16:17], s[18:19]
	s_and_b64 s[14:15], s[14:15], s[16:17]
	v_cndmask_b32_e64 v57, v62, v63, s[14:15]
	s_barrier
	ds_write_b8 v2, v56
	ds_write_b8 v2, v58 offset:1
	ds_write_b8 v2, v57 offset:2
	v_mov_b32_e32 v56, v31
	s_waitcnt lgkmcnt(0)
	s_barrier
	s_and_saveexec_b64 s[16:17], s[2:3]
	s_cbranch_execz .LBB64_30
; %bb.27:                               ;   in Loop: Header=BB64_2 Depth=1
	s_mov_b64 s[18:19], 0
	v_mov_b32_e32 v56, v31
	v_mov_b32_e32 v57, v27
.LBB64_28:                              ;   Parent Loop BB64_2 Depth=1
                                        ; =>  This Inner Loop Header: Depth=2
	v_sub_u32_e32 v58, v57, v56
	v_lshrrev_b32_e32 v59, 31, v58
	v_add_u32_e32 v58, v58, v59
	v_ashrrev_i32_e32 v58, 1, v58
	v_add_u32_e32 v58, v58, v56
	v_not_b32_e32 v60, v58
	v_add_u32_e32 v59, v10, v58
	v_add3_u32 v60, v5, v60, v17
	ds_read_i8 v59, v59
	ds_read_i8 v60, v60
	v_add_u32_e32 v61, 1, v58
	s_waitcnt lgkmcnt(0)
	v_cmp_lt_i16_e64 s[14:15], v60, v59
	s_nop 1
	v_cndmask_b32_e64 v57, v57, v58, s[14:15]
	v_cndmask_b32_e64 v56, v61, v56, s[14:15]
	v_cmp_ge_i32_e64 s[14:15], v56, v57
	s_or_b64 s[18:19], s[14:15], s[18:19]
	s_andn2_b64 exec, exec, s[18:19]
	s_cbranch_execnz .LBB64_28
; %bb.29:                               ;   in Loop: Header=BB64_2 Depth=1
	s_or_b64 exec, exec, s[18:19]
.LBB64_30:                              ;   in Loop: Header=BB64_2 Depth=1
	s_or_b64 exec, exec, s[16:17]
	v_add_u32_e32 v60, v56, v10
	v_sub_u32_e32 v61, v23, v56
	ds_read_u8 v56, v60
	ds_read_u8 v57, v61
	v_cmp_le_i32_e64 s[16:17], v17, v60
	v_cmp_gt_i32_e64 s[14:15], v18, v61
                                        ; implicit-def: $vgpr58
	s_waitcnt lgkmcnt(1)
	v_bfe_i32 v56, v56, 0, 8
	s_waitcnt lgkmcnt(0)
	v_bfe_i32 v57, v57, 0, 8
	v_cmp_lt_i16_e64 s[18:19], v57, v56
	s_or_b64 s[16:17], s[16:17], s[18:19]
	s_and_b64 s[14:15], s[14:15], s[16:17]
	s_xor_b64 s[16:17], s[14:15], -1
	s_and_saveexec_b64 s[18:19], s[16:17]
	s_xor_b64 s[16:17], exec, s[18:19]
	s_cbranch_execz .LBB64_32
; %bb.31:                               ;   in Loop: Header=BB64_2 Depth=1
	ds_read_u8 v58, v60 offset:1
.LBB64_32:                              ;   in Loop: Header=BB64_2 Depth=1
	s_or_saveexec_b64 s[16:17], s[16:17]
	v_mov_b32_e32 v59, v57
	s_xor_b64 exec, exec, s[16:17]
	s_cbranch_execz .LBB64_34
; %bb.33:                               ;   in Loop: Header=BB64_2 Depth=1
	ds_read_u8 v59, v61 offset:1
	s_waitcnt lgkmcnt(1)
	v_mov_b32_e32 v58, v56
.LBB64_34:                              ;   in Loop: Header=BB64_2 Depth=1
	s_or_b64 exec, exec, s[16:17]
	v_add_u32_e32 v63, 1, v60
	v_add_u32_e32 v62, 1, v61
	v_cndmask_b32_e64 v60, v63, v60, s[14:15]
	v_cndmask_b32_e64 v61, v61, v62, s[14:15]
	v_cmp_ge_i32_e64 s[18:19], v60, v17
	s_waitcnt lgkmcnt(0)
	v_cmp_lt_i16_sdwa s[28:29], sext(v59), sext(v58) src0_sel:BYTE_0 src1_sel:BYTE_0
	v_cmp_lt_i32_e64 s[16:17], v61, v18
	s_or_b64 s[18:19], s[18:19], s[28:29]
	s_and_b64 s[16:17], s[16:17], s[18:19]
	s_xor_b64 s[18:19], s[16:17], -1
                                        ; implicit-def: $vgpr62
	s_and_saveexec_b64 s[28:29], s[18:19]
	s_xor_b64 s[18:19], exec, s[28:29]
	s_cbranch_execz .LBB64_36
; %bb.35:                               ;   in Loop: Header=BB64_2 Depth=1
	ds_read_u8 v62, v60 offset:1
.LBB64_36:                              ;   in Loop: Header=BB64_2 Depth=1
	s_or_saveexec_b64 s[18:19], s[18:19]
	v_mov_b32_e32 v63, v59
	s_xor_b64 exec, exec, s[18:19]
	s_cbranch_execz .LBB64_38
; %bb.37:                               ;   in Loop: Header=BB64_2 Depth=1
	ds_read_u8 v63, v61 offset:1
	s_waitcnt lgkmcnt(1)
	v_mov_b32_e32 v62, v58
.LBB64_38:                              ;   in Loop: Header=BB64_2 Depth=1
	s_or_b64 exec, exec, s[18:19]
	v_add_u32_e32 v64, 1, v60
	v_cndmask_b32_e64 v58, v58, v59, s[16:17]
	v_add_u32_e32 v59, 1, v61
	v_cndmask_b32_e64 v60, v64, v60, s[16:17]
	v_cndmask_b32_e64 v59, v61, v59, s[16:17]
	v_cmp_ge_i32_e64 s[16:17], v60, v17
	s_waitcnt lgkmcnt(0)
	v_cmp_lt_i16_sdwa s[18:19], sext(v63), sext(v62) src0_sel:BYTE_0 src1_sel:BYTE_0
	v_cndmask_b32_e64 v56, v56, v57, s[14:15]
	v_cmp_lt_i32_e64 s[14:15], v59, v18
	s_or_b64 s[16:17], s[16:17], s[18:19]
	s_and_b64 s[14:15], s[14:15], s[16:17]
	v_cndmask_b32_e64 v57, v62, v63, s[14:15]
	s_barrier
	ds_write_b8 v2, v56
	ds_write_b8 v2, v58 offset:1
	ds_write_b8 v2, v57 offset:2
	v_mov_b32_e32 v56, v32
	s_waitcnt lgkmcnt(0)
	s_barrier
	s_and_saveexec_b64 s[16:17], s[4:5]
	s_cbranch_execz .LBB64_42
; %bb.39:                               ;   in Loop: Header=BB64_2 Depth=1
	s_mov_b64 s[18:19], 0
	v_mov_b32_e32 v56, v32
	v_mov_b32_e32 v57, v28
.LBB64_40:                              ;   Parent Loop BB64_2 Depth=1
                                        ; =>  This Inner Loop Header: Depth=2
	v_sub_u32_e32 v58, v57, v56
	v_lshrrev_b32_e32 v59, 31, v58
	v_add_u32_e32 v58, v58, v59
	v_ashrrev_i32_e32 v58, 1, v58
	v_add_u32_e32 v58, v58, v56
	v_not_b32_e32 v60, v58
	v_add_u32_e32 v59, v11, v58
	v_add3_u32 v60, v6, v60, v19
	ds_read_i8 v59, v59
	ds_read_i8 v60, v60
	v_add_u32_e32 v61, 1, v58
	s_waitcnt lgkmcnt(0)
	v_cmp_lt_i16_e64 s[14:15], v60, v59
	s_nop 1
	v_cndmask_b32_e64 v57, v57, v58, s[14:15]
	v_cndmask_b32_e64 v56, v61, v56, s[14:15]
	v_cmp_ge_i32_e64 s[14:15], v56, v57
	s_or_b64 s[18:19], s[14:15], s[18:19]
	s_andn2_b64 exec, exec, s[18:19]
	s_cbranch_execnz .LBB64_40
; %bb.41:                               ;   in Loop: Header=BB64_2 Depth=1
	s_or_b64 exec, exec, s[18:19]
.LBB64_42:                              ;   in Loop: Header=BB64_2 Depth=1
	s_or_b64 exec, exec, s[16:17]
	v_add_u32_e32 v60, v56, v11
	v_sub_u32_e32 v61, v24, v56
	ds_read_u8 v56, v60
	ds_read_u8 v57, v61
	v_cmp_le_i32_e64 s[16:17], v19, v60
	v_cmp_gt_i32_e64 s[14:15], v20, v61
                                        ; implicit-def: $vgpr58
	s_waitcnt lgkmcnt(1)
	v_bfe_i32 v56, v56, 0, 8
	s_waitcnt lgkmcnt(0)
	v_bfe_i32 v57, v57, 0, 8
	v_cmp_lt_i16_e64 s[18:19], v57, v56
	s_or_b64 s[16:17], s[16:17], s[18:19]
	s_and_b64 s[14:15], s[14:15], s[16:17]
	s_xor_b64 s[16:17], s[14:15], -1
	s_and_saveexec_b64 s[18:19], s[16:17]
	s_xor_b64 s[16:17], exec, s[18:19]
	s_cbranch_execz .LBB64_44
; %bb.43:                               ;   in Loop: Header=BB64_2 Depth=1
	ds_read_u8 v58, v60 offset:1
.LBB64_44:                              ;   in Loop: Header=BB64_2 Depth=1
	s_or_saveexec_b64 s[16:17], s[16:17]
	v_mov_b32_e32 v59, v57
	s_xor_b64 exec, exec, s[16:17]
	s_cbranch_execz .LBB64_46
; %bb.45:                               ;   in Loop: Header=BB64_2 Depth=1
	ds_read_u8 v59, v61 offset:1
	s_waitcnt lgkmcnt(1)
	v_mov_b32_e32 v58, v56
.LBB64_46:                              ;   in Loop: Header=BB64_2 Depth=1
	s_or_b64 exec, exec, s[16:17]
	v_add_u32_e32 v63, 1, v60
	v_add_u32_e32 v62, 1, v61
	v_cndmask_b32_e64 v60, v63, v60, s[14:15]
	v_cndmask_b32_e64 v61, v61, v62, s[14:15]
	v_cmp_ge_i32_e64 s[18:19], v60, v19
	s_waitcnt lgkmcnt(0)
	v_cmp_lt_i16_sdwa s[28:29], sext(v59), sext(v58) src0_sel:BYTE_0 src1_sel:BYTE_0
	v_cmp_lt_i32_e64 s[16:17], v61, v20
	s_or_b64 s[18:19], s[18:19], s[28:29]
	s_and_b64 s[16:17], s[16:17], s[18:19]
	s_xor_b64 s[18:19], s[16:17], -1
                                        ; implicit-def: $vgpr62
	s_and_saveexec_b64 s[28:29], s[18:19]
	s_xor_b64 s[18:19], exec, s[28:29]
	s_cbranch_execz .LBB64_48
; %bb.47:                               ;   in Loop: Header=BB64_2 Depth=1
	ds_read_u8 v62, v60 offset:1
.LBB64_48:                              ;   in Loop: Header=BB64_2 Depth=1
	s_or_saveexec_b64 s[18:19], s[18:19]
	v_mov_b32_e32 v63, v59
	s_xor_b64 exec, exec, s[18:19]
	s_cbranch_execz .LBB64_50
; %bb.49:                               ;   in Loop: Header=BB64_2 Depth=1
	ds_read_u8 v63, v61 offset:1
	s_waitcnt lgkmcnt(1)
	v_mov_b32_e32 v62, v58
.LBB64_50:                              ;   in Loop: Header=BB64_2 Depth=1
	s_or_b64 exec, exec, s[18:19]
	v_add_u32_e32 v64, 1, v60
	v_cndmask_b32_e64 v58, v58, v59, s[16:17]
	v_add_u32_e32 v59, 1, v61
	v_cndmask_b32_e64 v60, v64, v60, s[16:17]
	v_cndmask_b32_e64 v59, v61, v59, s[16:17]
	v_cmp_ge_i32_e64 s[16:17], v60, v19
	s_waitcnt lgkmcnt(0)
	v_cmp_lt_i16_sdwa s[18:19], sext(v63), sext(v62) src0_sel:BYTE_0 src1_sel:BYTE_0
	v_cndmask_b32_e64 v56, v56, v57, s[14:15]
	v_cmp_lt_i32_e64 s[14:15], v59, v20
	s_or_b64 s[16:17], s[16:17], s[18:19]
	s_and_b64 s[14:15], s[14:15], s[16:17]
	v_cndmask_b32_e64 v57, v62, v63, s[14:15]
	s_barrier
	ds_write_b8 v2, v56
	ds_write_b8 v2, v58 offset:1
	ds_write_b8 v2, v57 offset:2
	v_mov_b32_e32 v56, v35
	s_waitcnt lgkmcnt(0)
	s_barrier
	s_and_saveexec_b64 s[16:17], s[6:7]
	s_cbranch_execz .LBB64_54
; %bb.51:                               ;   in Loop: Header=BB64_2 Depth=1
	s_mov_b64 s[18:19], 0
	v_mov_b32_e32 v56, v35
	v_mov_b32_e32 v57, v36
.LBB64_52:                              ;   Parent Loop BB64_2 Depth=1
                                        ; =>  This Inner Loop Header: Depth=2
	v_sub_u32_e32 v58, v57, v56
	v_lshrrev_b32_e32 v59, 31, v58
	v_add_u32_e32 v58, v58, v59
	v_ashrrev_i32_e32 v58, 1, v58
	v_add_u32_e32 v58, v58, v56
	v_not_b32_e32 v60, v58
	v_add_u32_e32 v59, v12, v58
	v_add3_u32 v60, v7, v60, v33
	ds_read_i8 v59, v59
	ds_read_i8 v60, v60
	v_add_u32_e32 v61, 1, v58
	s_waitcnt lgkmcnt(0)
	v_cmp_lt_i16_e64 s[14:15], v60, v59
	s_nop 1
	v_cndmask_b32_e64 v57, v57, v58, s[14:15]
	v_cndmask_b32_e64 v56, v61, v56, s[14:15]
	v_cmp_ge_i32_e64 s[14:15], v56, v57
	s_or_b64 s[18:19], s[14:15], s[18:19]
	s_andn2_b64 exec, exec, s[18:19]
	s_cbranch_execnz .LBB64_52
; %bb.53:                               ;   in Loop: Header=BB64_2 Depth=1
	s_or_b64 exec, exec, s[18:19]
.LBB64_54:                              ;   in Loop: Header=BB64_2 Depth=1
	s_or_b64 exec, exec, s[16:17]
	v_add_u32_e32 v60, v56, v12
	v_sub_u32_e32 v61, v37, v56
	ds_read_u8 v56, v60
	ds_read_u8 v57, v61
	v_cmp_le_i32_e64 s[16:17], v33, v60
	v_cmp_gt_i32_e64 s[14:15], v34, v61
                                        ; implicit-def: $vgpr58
	s_waitcnt lgkmcnt(1)
	v_bfe_i32 v56, v56, 0, 8
	s_waitcnt lgkmcnt(0)
	v_bfe_i32 v57, v57, 0, 8
	v_cmp_lt_i16_e64 s[18:19], v57, v56
	s_or_b64 s[16:17], s[16:17], s[18:19]
	s_and_b64 s[14:15], s[14:15], s[16:17]
	s_xor_b64 s[16:17], s[14:15], -1
	s_and_saveexec_b64 s[18:19], s[16:17]
	s_xor_b64 s[16:17], exec, s[18:19]
	s_cbranch_execz .LBB64_56
; %bb.55:                               ;   in Loop: Header=BB64_2 Depth=1
	ds_read_u8 v58, v60 offset:1
.LBB64_56:                              ;   in Loop: Header=BB64_2 Depth=1
	s_or_saveexec_b64 s[16:17], s[16:17]
	v_mov_b32_e32 v59, v57
	s_xor_b64 exec, exec, s[16:17]
	s_cbranch_execz .LBB64_58
; %bb.57:                               ;   in Loop: Header=BB64_2 Depth=1
	ds_read_u8 v59, v61 offset:1
	s_waitcnt lgkmcnt(1)
	v_mov_b32_e32 v58, v56
.LBB64_58:                              ;   in Loop: Header=BB64_2 Depth=1
	s_or_b64 exec, exec, s[16:17]
	v_add_u32_e32 v63, 1, v60
	v_add_u32_e32 v62, 1, v61
	v_cndmask_b32_e64 v60, v63, v60, s[14:15]
	v_cndmask_b32_e64 v61, v61, v62, s[14:15]
	v_cmp_ge_i32_e64 s[18:19], v60, v33
	s_waitcnt lgkmcnt(0)
	v_cmp_lt_i16_sdwa s[28:29], sext(v59), sext(v58) src0_sel:BYTE_0 src1_sel:BYTE_0
	v_cmp_lt_i32_e64 s[16:17], v61, v34
	s_or_b64 s[18:19], s[18:19], s[28:29]
	s_and_b64 s[16:17], s[16:17], s[18:19]
	s_xor_b64 s[18:19], s[16:17], -1
                                        ; implicit-def: $vgpr62
	s_and_saveexec_b64 s[28:29], s[18:19]
	s_xor_b64 s[18:19], exec, s[28:29]
	s_cbranch_execz .LBB64_60
; %bb.59:                               ;   in Loop: Header=BB64_2 Depth=1
	ds_read_u8 v62, v60 offset:1
.LBB64_60:                              ;   in Loop: Header=BB64_2 Depth=1
	s_or_saveexec_b64 s[18:19], s[18:19]
	v_mov_b32_e32 v63, v59
	s_xor_b64 exec, exec, s[18:19]
	s_cbranch_execz .LBB64_62
; %bb.61:                               ;   in Loop: Header=BB64_2 Depth=1
	ds_read_u8 v63, v61 offset:1
	s_waitcnt lgkmcnt(1)
	v_mov_b32_e32 v62, v58
.LBB64_62:                              ;   in Loop: Header=BB64_2 Depth=1
	s_or_b64 exec, exec, s[18:19]
	v_add_u32_e32 v64, 1, v60
	v_cndmask_b32_e64 v58, v58, v59, s[16:17]
	v_add_u32_e32 v59, 1, v61
	v_cndmask_b32_e64 v60, v64, v60, s[16:17]
	v_cndmask_b32_e64 v59, v61, v59, s[16:17]
	v_cmp_ge_i32_e64 s[16:17], v60, v33
	s_waitcnt lgkmcnt(0)
	v_cmp_lt_i16_sdwa s[18:19], sext(v63), sext(v62) src0_sel:BYTE_0 src1_sel:BYTE_0
	v_cndmask_b32_e64 v56, v56, v57, s[14:15]
	v_cmp_lt_i32_e64 s[14:15], v59, v34
	s_or_b64 s[16:17], s[16:17], s[18:19]
	s_and_b64 s[14:15], s[14:15], s[16:17]
	v_cndmask_b32_e64 v57, v62, v63, s[14:15]
	s_barrier
	ds_write_b8 v2, v56
	ds_write_b8 v2, v58 offset:1
	ds_write_b8 v2, v57 offset:2
	v_mov_b32_e32 v56, v42
	s_waitcnt lgkmcnt(0)
	s_barrier
	s_and_saveexec_b64 s[16:17], s[8:9]
	s_cbranch_execz .LBB64_66
; %bb.63:                               ;   in Loop: Header=BB64_2 Depth=1
	s_mov_b64 s[18:19], 0
	v_mov_b32_e32 v56, v42
	v_mov_b32_e32 v57, v43
.LBB64_64:                              ;   Parent Loop BB64_2 Depth=1
                                        ; =>  This Inner Loop Header: Depth=2
	v_sub_u32_e32 v58, v57, v56
	v_lshrrev_b32_e32 v59, 31, v58
	v_add_u32_e32 v58, v58, v59
	v_ashrrev_i32_e32 v58, 1, v58
	v_add_u32_e32 v58, v58, v56
	v_not_b32_e32 v60, v58
	v_add_u32_e32 v59, v39, v58
	v_add3_u32 v60, v38, v60, v40
	ds_read_i8 v59, v59
	ds_read_i8 v60, v60
	v_add_u32_e32 v61, 1, v58
	s_waitcnt lgkmcnt(0)
	v_cmp_lt_i16_e64 s[14:15], v60, v59
	s_nop 1
	v_cndmask_b32_e64 v57, v57, v58, s[14:15]
	v_cndmask_b32_e64 v56, v61, v56, s[14:15]
	v_cmp_ge_i32_e64 s[14:15], v56, v57
	s_or_b64 s[18:19], s[14:15], s[18:19]
	s_andn2_b64 exec, exec, s[18:19]
	s_cbranch_execnz .LBB64_64
; %bb.65:                               ;   in Loop: Header=BB64_2 Depth=1
	s_or_b64 exec, exec, s[18:19]
.LBB64_66:                              ;   in Loop: Header=BB64_2 Depth=1
	s_or_b64 exec, exec, s[16:17]
	v_add_u32_e32 v60, v56, v39
	v_sub_u32_e32 v61, v44, v56
	ds_read_u8 v56, v60
	ds_read_u8 v57, v61
	v_cmp_le_i32_e64 s[16:17], v40, v60
	v_cmp_gt_i32_e64 s[14:15], v41, v61
                                        ; implicit-def: $vgpr58
	s_waitcnt lgkmcnt(1)
	v_bfe_i32 v56, v56, 0, 8
	s_waitcnt lgkmcnt(0)
	v_bfe_i32 v57, v57, 0, 8
	v_cmp_lt_i16_e64 s[18:19], v57, v56
	s_or_b64 s[16:17], s[16:17], s[18:19]
	s_and_b64 s[14:15], s[14:15], s[16:17]
	s_xor_b64 s[16:17], s[14:15], -1
	s_and_saveexec_b64 s[18:19], s[16:17]
	s_xor_b64 s[16:17], exec, s[18:19]
	s_cbranch_execz .LBB64_68
; %bb.67:                               ;   in Loop: Header=BB64_2 Depth=1
	ds_read_u8 v58, v60 offset:1
.LBB64_68:                              ;   in Loop: Header=BB64_2 Depth=1
	s_or_saveexec_b64 s[16:17], s[16:17]
	v_mov_b32_e32 v59, v57
	s_xor_b64 exec, exec, s[16:17]
	s_cbranch_execz .LBB64_70
; %bb.69:                               ;   in Loop: Header=BB64_2 Depth=1
	ds_read_u8 v59, v61 offset:1
	s_waitcnt lgkmcnt(1)
	v_mov_b32_e32 v58, v56
.LBB64_70:                              ;   in Loop: Header=BB64_2 Depth=1
	s_or_b64 exec, exec, s[16:17]
	v_add_u32_e32 v63, 1, v60
	v_add_u32_e32 v62, 1, v61
	v_cndmask_b32_e64 v60, v63, v60, s[14:15]
	v_cndmask_b32_e64 v61, v61, v62, s[14:15]
	v_cmp_ge_i32_e64 s[18:19], v60, v40
	s_waitcnt lgkmcnt(0)
	v_cmp_lt_i16_sdwa s[28:29], sext(v59), sext(v58) src0_sel:BYTE_0 src1_sel:BYTE_0
	v_cmp_lt_i32_e64 s[16:17], v61, v41
	s_or_b64 s[18:19], s[18:19], s[28:29]
	s_and_b64 s[16:17], s[16:17], s[18:19]
	s_xor_b64 s[18:19], s[16:17], -1
                                        ; implicit-def: $vgpr62
	s_and_saveexec_b64 s[28:29], s[18:19]
	s_xor_b64 s[18:19], exec, s[28:29]
	s_cbranch_execz .LBB64_72
; %bb.71:                               ;   in Loop: Header=BB64_2 Depth=1
	ds_read_u8 v62, v60 offset:1
.LBB64_72:                              ;   in Loop: Header=BB64_2 Depth=1
	s_or_saveexec_b64 s[18:19], s[18:19]
	v_mov_b32_e32 v63, v59
	s_xor_b64 exec, exec, s[18:19]
	s_cbranch_execz .LBB64_74
; %bb.73:                               ;   in Loop: Header=BB64_2 Depth=1
	ds_read_u8 v63, v61 offset:1
	s_waitcnt lgkmcnt(1)
	v_mov_b32_e32 v62, v58
.LBB64_74:                              ;   in Loop: Header=BB64_2 Depth=1
	s_or_b64 exec, exec, s[18:19]
	v_add_u32_e32 v64, 1, v60
	v_cndmask_b32_e64 v58, v58, v59, s[16:17]
	v_add_u32_e32 v59, 1, v61
	v_cndmask_b32_e64 v60, v64, v60, s[16:17]
	v_cndmask_b32_e64 v59, v61, v59, s[16:17]
	v_cmp_ge_i32_e64 s[16:17], v60, v40
	s_waitcnt lgkmcnt(0)
	v_cmp_lt_i16_sdwa s[18:19], sext(v63), sext(v62) src0_sel:BYTE_0 src1_sel:BYTE_0
	v_cndmask_b32_e64 v56, v56, v57, s[14:15]
	v_cmp_lt_i32_e64 s[14:15], v59, v41
	s_or_b64 s[16:17], s[16:17], s[18:19]
	s_and_b64 s[14:15], s[14:15], s[16:17]
	v_cndmask_b32_e64 v57, v62, v63, s[14:15]
	s_barrier
	ds_write_b8 v2, v56
	ds_write_b8 v2, v58 offset:1
	ds_write_b8 v2, v57 offset:2
	v_mov_b32_e32 v56, v50
	s_waitcnt lgkmcnt(0)
	s_barrier
	s_and_saveexec_b64 s[16:17], s[10:11]
	s_cbranch_execz .LBB64_78
; %bb.75:                               ;   in Loop: Header=BB64_2 Depth=1
	s_mov_b64 s[18:19], 0
	v_mov_b32_e32 v56, v50
	v_mov_b32_e32 v57, v51
.LBB64_76:                              ;   Parent Loop BB64_2 Depth=1
                                        ; =>  This Inner Loop Header: Depth=2
	v_sub_u32_e32 v58, v57, v56
	v_lshrrev_b32_e32 v59, 31, v58
	v_add_u32_e32 v58, v58, v59
	v_ashrrev_i32_e32 v58, 1, v58
	v_add_u32_e32 v58, v58, v56
	v_not_b32_e32 v60, v58
	v_add_u32_e32 v59, v46, v58
	v_add3_u32 v60, v45, v60, v47
	ds_read_i8 v59, v59
	ds_read_i8 v60, v60
	v_add_u32_e32 v61, 1, v58
	s_waitcnt lgkmcnt(0)
	v_cmp_lt_i16_e64 s[14:15], v60, v59
	s_nop 1
	v_cndmask_b32_e64 v57, v57, v58, s[14:15]
	v_cndmask_b32_e64 v56, v61, v56, s[14:15]
	v_cmp_ge_i32_e64 s[14:15], v56, v57
	s_or_b64 s[18:19], s[14:15], s[18:19]
	s_andn2_b64 exec, exec, s[18:19]
	s_cbranch_execnz .LBB64_76
; %bb.77:                               ;   in Loop: Header=BB64_2 Depth=1
	s_or_b64 exec, exec, s[18:19]
.LBB64_78:                              ;   in Loop: Header=BB64_2 Depth=1
	s_or_b64 exec, exec, s[16:17]
	v_add_u32_e32 v60, v56, v46
	v_sub_u32_e32 v61, v52, v56
	ds_read_u8 v56, v60
	ds_read_u8 v57, v61
	v_cmp_le_i32_e64 s[16:17], v47, v60
	v_cmp_gt_i32_e64 s[14:15], v49, v61
                                        ; implicit-def: $vgpr58
	s_waitcnt lgkmcnt(1)
	v_bfe_i32 v56, v56, 0, 8
	s_waitcnt lgkmcnt(0)
	v_bfe_i32 v57, v57, 0, 8
	v_cmp_lt_i16_e64 s[18:19], v57, v56
	s_or_b64 s[16:17], s[16:17], s[18:19]
	s_and_b64 s[14:15], s[14:15], s[16:17]
	s_xor_b64 s[16:17], s[14:15], -1
	s_and_saveexec_b64 s[18:19], s[16:17]
	s_xor_b64 s[16:17], exec, s[18:19]
	s_cbranch_execz .LBB64_80
; %bb.79:                               ;   in Loop: Header=BB64_2 Depth=1
	ds_read_u8 v58, v60 offset:1
.LBB64_80:                              ;   in Loop: Header=BB64_2 Depth=1
	s_or_saveexec_b64 s[16:17], s[16:17]
	v_mov_b32_e32 v59, v57
	s_xor_b64 exec, exec, s[16:17]
	s_cbranch_execz .LBB64_82
; %bb.81:                               ;   in Loop: Header=BB64_2 Depth=1
	ds_read_u8 v59, v61 offset:1
	s_waitcnt lgkmcnt(1)
	v_mov_b32_e32 v58, v56
.LBB64_82:                              ;   in Loop: Header=BB64_2 Depth=1
	s_or_b64 exec, exec, s[16:17]
	v_add_u32_e32 v63, 1, v60
	v_add_u32_e32 v62, 1, v61
	v_cndmask_b32_e64 v60, v63, v60, s[14:15]
	v_cndmask_b32_e64 v61, v61, v62, s[14:15]
	v_cmp_ge_i32_e64 s[18:19], v60, v47
	s_waitcnt lgkmcnt(0)
	v_cmp_lt_i16_sdwa s[28:29], sext(v59), sext(v58) src0_sel:BYTE_0 src1_sel:BYTE_0
	v_cmp_lt_i32_e64 s[16:17], v61, v49
	s_or_b64 s[18:19], s[18:19], s[28:29]
	s_and_b64 s[16:17], s[16:17], s[18:19]
	s_xor_b64 s[18:19], s[16:17], -1
                                        ; implicit-def: $vgpr62
	s_and_saveexec_b64 s[28:29], s[18:19]
	s_xor_b64 s[18:19], exec, s[28:29]
	s_cbranch_execz .LBB64_84
; %bb.83:                               ;   in Loop: Header=BB64_2 Depth=1
	ds_read_u8 v62, v60 offset:1
.LBB64_84:                              ;   in Loop: Header=BB64_2 Depth=1
	s_or_saveexec_b64 s[18:19], s[18:19]
	v_mov_b32_e32 v63, v59
	s_xor_b64 exec, exec, s[18:19]
	s_cbranch_execz .LBB64_86
; %bb.85:                               ;   in Loop: Header=BB64_2 Depth=1
	ds_read_u8 v63, v61 offset:1
	s_waitcnt lgkmcnt(1)
	v_mov_b32_e32 v62, v58
.LBB64_86:                              ;   in Loop: Header=BB64_2 Depth=1
	s_or_b64 exec, exec, s[18:19]
	v_add_u32_e32 v64, 1, v60
	v_cndmask_b32_e64 v58, v58, v59, s[16:17]
	v_add_u32_e32 v59, 1, v61
	v_cndmask_b32_e64 v60, v64, v60, s[16:17]
	v_cndmask_b32_e64 v59, v61, v59, s[16:17]
	v_cmp_ge_i32_e64 s[16:17], v60, v47
	s_waitcnt lgkmcnt(0)
	v_cmp_lt_i16_sdwa s[18:19], sext(v63), sext(v62) src0_sel:BYTE_0 src1_sel:BYTE_0
	v_cndmask_b32_e64 v56, v56, v57, s[14:15]
	v_cmp_lt_i32_e64 s[14:15], v59, v49
	s_or_b64 s[16:17], s[16:17], s[18:19]
	s_and_b64 s[14:15], s[14:15], s[16:17]
	v_cndmask_b32_e64 v57, v62, v63, s[14:15]
	s_barrier
	ds_write_b8 v2, v56
	ds_write_b8 v2, v58 offset:1
	ds_write_b8 v2, v57 offset:2
	v_mov_b32_e32 v58, v53
	s_waitcnt lgkmcnt(0)
	s_barrier
	s_and_saveexec_b64 s[16:17], s[12:13]
	s_cbranch_execz .LBB64_90
; %bb.87:                               ;   in Loop: Header=BB64_2 Depth=1
	s_mov_b64 s[18:19], 0
	v_mov_b32_e32 v58, v53
	v_mov_b32_e32 v56, v54
.LBB64_88:                              ;   Parent Loop BB64_2 Depth=1
                                        ; =>  This Inner Loop Header: Depth=2
	v_sub_u32_e32 v57, v56, v58
	v_lshrrev_b32_e32 v59, 31, v57
	v_add_u32_e32 v57, v57, v59
	v_ashrrev_i32_e32 v57, 1, v57
	v_add_u32_e32 v57, v57, v58
	v_not_b32_e32 v59, v57
	v_add3_u32 v59, v2, v59, v48
	ds_read_i8 v60, v57
	ds_read_i8 v59, v59
	v_add_u32_e32 v61, 1, v57
	s_waitcnt lgkmcnt(0)
	v_cmp_lt_i16_e64 s[14:15], v59, v60
	s_nop 1
	v_cndmask_b32_e64 v56, v56, v57, s[14:15]
	v_cndmask_b32_e64 v58, v61, v58, s[14:15]
	v_cmp_ge_i32_e64 s[14:15], v58, v56
	s_or_b64 s[18:19], s[14:15], s[18:19]
	s_andn2_b64 exec, exec, s[18:19]
	s_cbranch_execnz .LBB64_88
; %bb.89:                               ;   in Loop: Header=BB64_2 Depth=1
	s_or_b64 exec, exec, s[18:19]
.LBB64_90:                              ;   in Loop: Header=BB64_2 Depth=1
	s_or_b64 exec, exec, s[16:17]
	v_sub_u32_e32 v61, v55, v58
	ds_read_u8 v56, v58
	ds_read_u8 v57, v61
	v_cmp_le_i32_e64 s[16:17], v48, v58
	v_cmp_gt_i32_e64 s[14:15], s20, v61
                                        ; implicit-def: $vgpr59
	s_waitcnt lgkmcnt(1)
	v_bfe_i32 v56, v56, 0, 8
	s_waitcnt lgkmcnt(0)
	v_bfe_i32 v57, v57, 0, 8
	v_cmp_lt_i16_e64 s[18:19], v57, v56
	s_or_b64 s[16:17], s[16:17], s[18:19]
	s_and_b64 s[14:15], s[14:15], s[16:17]
	s_xor_b64 s[16:17], s[14:15], -1
	s_and_saveexec_b64 s[18:19], s[16:17]
	s_xor_b64 s[16:17], exec, s[18:19]
	s_cbranch_execz .LBB64_92
; %bb.91:                               ;   in Loop: Header=BB64_2 Depth=1
	ds_read_u8 v59, v58 offset:1
.LBB64_92:                              ;   in Loop: Header=BB64_2 Depth=1
	s_or_saveexec_b64 s[16:17], s[16:17]
	v_mov_b32_e32 v60, v57
	s_xor_b64 exec, exec, s[16:17]
	s_cbranch_execz .LBB64_94
; %bb.93:                               ;   in Loop: Header=BB64_2 Depth=1
	ds_read_u8 v60, v61 offset:1
	s_waitcnt lgkmcnt(1)
	v_mov_b32_e32 v59, v56
.LBB64_94:                              ;   in Loop: Header=BB64_2 Depth=1
	s_or_b64 exec, exec, s[16:17]
	v_add_u32_e32 v62, 1, v61
	v_add_u32_e32 v63, 1, v58
	v_cndmask_b32_e64 v61, v61, v62, s[14:15]
	v_cndmask_b32_e64 v62, v63, v58, s[14:15]
	v_cmp_ge_i32_e64 s[18:19], v62, v48
	s_waitcnt lgkmcnt(0)
	v_cmp_lt_i16_sdwa s[28:29], sext(v60), sext(v59) src0_sel:BYTE_0 src1_sel:BYTE_0
	v_cmp_gt_i32_e64 s[16:17], s20, v61
	s_or_b64 s[18:19], s[18:19], s[28:29]
	s_and_b64 s[16:17], s[16:17], s[18:19]
	s_xor_b64 s[18:19], s[16:17], -1
                                        ; implicit-def: $vgpr58
                                        ; implicit-def: $vgpr63
	s_and_saveexec_b64 s[28:29], s[18:19]
	s_xor_b64 s[18:19], exec, s[28:29]
	s_cbranch_execz .LBB64_96
; %bb.95:                               ;   in Loop: Header=BB64_2 Depth=1
	ds_read_u8 v58, v62 offset:1
	v_add_u32_e32 v63, 1, v62
                                        ; implicit-def: $vgpr62
.LBB64_96:                              ;   in Loop: Header=BB64_2 Depth=1
	s_or_saveexec_b64 s[18:19], s[18:19]
	v_mov_b32_e32 v64, v60
	s_xor_b64 exec, exec, s[18:19]
	s_cbranch_execz .LBB64_1
; %bb.97:                               ;   in Loop: Header=BB64_2 Depth=1
	ds_read_u8 v64, v61 offset:1
	v_add_u32_e32 v61, 1, v61
	v_mov_b32_e32 v63, v62
	s_waitcnt lgkmcnt(1)
	v_mov_b32_e32 v58, v59
	s_branch .LBB64_1
.LBB64_98:
	s_add_u32 s0, s22, s24
	s_addc_u32 s1, s23, 0
	v_lshl_add_u64 v[0:1], s[0:1], 0, v[0:1]
	global_store_byte v[0:1], v57, off
	global_store_byte v[0:1], v59, off offset:256
	global_store_byte v[0:1], v58, off offset:512
	s_endpgm
	.section	.rodata,"a",@progbits
	.p2align	6, 0x0
	.amdhsa_kernel _Z16sort_keys_kernelIaLj256ELj3EN10test_utils4lessELj10EEvPKT_PS2_T2_
		.amdhsa_group_segment_fixed_size 769
		.amdhsa_private_segment_fixed_size 0
		.amdhsa_kernarg_size 20
		.amdhsa_user_sgpr_count 2
		.amdhsa_user_sgpr_dispatch_ptr 0
		.amdhsa_user_sgpr_queue_ptr 0
		.amdhsa_user_sgpr_kernarg_segment_ptr 1
		.amdhsa_user_sgpr_dispatch_id 0
		.amdhsa_user_sgpr_kernarg_preload_length 0
		.amdhsa_user_sgpr_kernarg_preload_offset 0
		.amdhsa_user_sgpr_private_segment_size 0
		.amdhsa_uses_dynamic_stack 0
		.amdhsa_enable_private_segment 0
		.amdhsa_system_sgpr_workgroup_id_x 1
		.amdhsa_system_sgpr_workgroup_id_y 0
		.amdhsa_system_sgpr_workgroup_id_z 0
		.amdhsa_system_sgpr_workgroup_info 0
		.amdhsa_system_vgpr_workitem_id 0
		.amdhsa_next_free_vgpr 65
		.amdhsa_next_free_sgpr 30
		.amdhsa_accum_offset 68
		.amdhsa_reserve_vcc 1
		.amdhsa_float_round_mode_32 0
		.amdhsa_float_round_mode_16_64 0
		.amdhsa_float_denorm_mode_32 3
		.amdhsa_float_denorm_mode_16_64 3
		.amdhsa_dx10_clamp 1
		.amdhsa_ieee_mode 1
		.amdhsa_fp16_overflow 0
		.amdhsa_tg_split 0
		.amdhsa_exception_fp_ieee_invalid_op 0
		.amdhsa_exception_fp_denorm_src 0
		.amdhsa_exception_fp_ieee_div_zero 0
		.amdhsa_exception_fp_ieee_overflow 0
		.amdhsa_exception_fp_ieee_underflow 0
		.amdhsa_exception_fp_ieee_inexact 0
		.amdhsa_exception_int_div_zero 0
	.end_amdhsa_kernel
	.section	.text._Z16sort_keys_kernelIaLj256ELj3EN10test_utils4lessELj10EEvPKT_PS2_T2_,"axG",@progbits,_Z16sort_keys_kernelIaLj256ELj3EN10test_utils4lessELj10EEvPKT_PS2_T2_,comdat
.Lfunc_end64:
	.size	_Z16sort_keys_kernelIaLj256ELj3EN10test_utils4lessELj10EEvPKT_PS2_T2_, .Lfunc_end64-_Z16sort_keys_kernelIaLj256ELj3EN10test_utils4lessELj10EEvPKT_PS2_T2_
                                        ; -- End function
	.section	.AMDGPU.csdata,"",@progbits
; Kernel info:
; codeLenInByte = 5228
; NumSgprs: 36
; NumVgprs: 65
; NumAgprs: 0
; TotalNumVgprs: 65
; ScratchSize: 0
; MemoryBound: 0
; FloatMode: 240
; IeeeMode: 1
; LDSByteSize: 769 bytes/workgroup (compile time only)
; SGPRBlocks: 4
; VGPRBlocks: 8
; NumSGPRsForWavesPerEU: 36
; NumVGPRsForWavesPerEU: 65
; AccumOffset: 68
; Occupancy: 7
; WaveLimiterHint : 1
; COMPUTE_PGM_RSRC2:SCRATCH_EN: 0
; COMPUTE_PGM_RSRC2:USER_SGPR: 2
; COMPUTE_PGM_RSRC2:TRAP_HANDLER: 0
; COMPUTE_PGM_RSRC2:TGID_X_EN: 1
; COMPUTE_PGM_RSRC2:TGID_Y_EN: 0
; COMPUTE_PGM_RSRC2:TGID_Z_EN: 0
; COMPUTE_PGM_RSRC2:TIDIG_COMP_CNT: 0
; COMPUTE_PGM_RSRC3_GFX90A:ACCUM_OFFSET: 16
; COMPUTE_PGM_RSRC3_GFX90A:TG_SPLIT: 0
	.section	.text._Z17sort_pairs_kernelIaLj256ELj3EN10test_utils4lessELj10EEvPKT_PS2_T2_,"axG",@progbits,_Z17sort_pairs_kernelIaLj256ELj3EN10test_utils4lessELj10EEvPKT_PS2_T2_,comdat
	.protected	_Z17sort_pairs_kernelIaLj256ELj3EN10test_utils4lessELj10EEvPKT_PS2_T2_ ; -- Begin function _Z17sort_pairs_kernelIaLj256ELj3EN10test_utils4lessELj10EEvPKT_PS2_T2_
	.globl	_Z17sort_pairs_kernelIaLj256ELj3EN10test_utils4lessELj10EEvPKT_PS2_T2_
	.p2align	8
	.type	_Z17sort_pairs_kernelIaLj256ELj3EN10test_utils4lessELj10EEvPKT_PS2_T2_,@function
_Z17sort_pairs_kernelIaLj256ELj3EN10test_utils4lessELj10EEvPKT_PS2_T2_: ; @_Z17sort_pairs_kernelIaLj256ELj3EN10test_utils4lessELj10EEvPKT_PS2_T2_
; %bb.0:
	s_load_dwordx4 s[24:27], s[0:1], 0x0
	s_mul_i32 s28, s2, 0x300
	v_and_b32_e32 v3, 0xfe, v0
	v_and_b32_e32 v5, 0xfc, v0
	;; [unrolled: 1-line block ×3, first 2 shown]
	s_waitcnt lgkmcnt(0)
	s_add_u32 s0, s24, s28
	s_addc_u32 s1, s25, 0
	global_load_ubyte v30, v0, s[0:1] offset:256
	global_load_ubyte v31, v0, s[0:1] offset:512
	global_load_ubyte v32, v0, s[0:1]
	v_and_b32_e32 v7, 0xf0, v0
	v_mul_u32_u24_e32 v8, 3, v3
	v_and_b32_e32 v4, 1, v0
	v_mul_u32_u24_e32 v9, 3, v5
	v_mul_u32_u24_e32 v10, 3, v6
	;; [unrolled: 1-line block ×3, first 2 shown]
	v_min_u32_e32 v12, 0x2fd, v8
	v_min_u32_e32 v13, 0x2fa, v8
	v_cmp_eq_u32_e32 vcc, 1, v4
	v_min_u32_e32 v7, 0x300, v8
	v_min_u32_e32 v8, 0x300, v9
	;; [unrolled: 1-line block ×10, first 2 shown]
	v_add_u32_e32 v11, 3, v12
	v_add_u32_e32 v12, 6, v13
	v_and_b32_e32 v20, 3, v0
	v_cndmask_b32_e64 v3, 0, 3, vcc
	v_add_u32_e32 v13, 6, v14
	v_add_u32_e32 v14, 12, v15
	v_sub_u32_e32 v26, v12, v11
	v_mul_u32_u24_e32 v4, 3, v20
	v_sub_u32_e32 v27, v14, v13
	v_sub_u32_e32 v34, v3, v26
	v_cmp_ge_i32_e32 vcc, v3, v26
	v_sub_u32_e32 v35, v4, v27
	v_and_b32_e32 v21, 7, v0
	v_cndmask_b32_e32 v26, 0, v34, vcc
	v_cmp_ge_i32_e32 vcc, v4, v27
	v_add_u32_e32 v15, 12, v16
	v_add_u32_e32 v16, 24, v17
	v_cndmask_b32_e32 v27, 0, v35, vcc
	v_and_b32_e32 v33, 15, v0
	v_mul_u32_u24_e32 v5, 3, v21
	v_add_u32_e32 v17, 24, v18
	v_add_u32_e32 v18, 48, v19
	v_sub_u32_e32 v28, v16, v15
	v_mul_u32_u24_e32 v6, 3, v33
	v_sub_u32_e32 v29, v18, v17
	v_sub_u32_e32 v36, v5, v28
	v_cmp_ge_i32_e32 vcc, v5, v28
	v_sub_u32_e32 v37, v6, v29
	v_and_b32_e32 v44, 63, v0
	v_cndmask_b32_e32 v28, 0, v36, vcc
	v_cmp_ge_i32_e32 vcc, v6, v29
	v_and_b32_e32 v52, 0x7f, v0
	v_mul_u32_u24_e32 v2, 3, v0
	v_cndmask_b32_e32 v29, 0, v37, vcc
	v_and_b32_e32 v37, 31, v0
	v_sub_u32_e32 v22, v11, v7
	v_sub_u32_e32 v23, v13, v8
	;; [unrolled: 1-line block ×4, first 2 shown]
	v_mov_b32_e32 v48, 0x180
	v_min_i32_e32 v22, v3, v22
	v_min_i32_e32 v23, v4, v23
	;; [unrolled: 1-line block ×5, first 2 shown]
	s_movk_i32 s29, 0x300
	s_mov_b32 s30, 0
	v_mov_b32_e32 v1, 0
	v_add_u32_e32 v19, v11, v3
	v_mad_u32_u24 v20, v20, 3, v13
	v_mad_u32_u24 v21, v21, 3, v15
	v_cmp_lt_i32_e32 vcc, v26, v22
	v_cmp_lt_i32_e64 s[0:1], v27, v23
	v_cmp_lt_i32_e64 s[2:3], v28, v24
	;; [unrolled: 1-line block ×3, first 2 shown]
	v_mad_u32_u24 v55, v0, 3, v48
	s_mov_b32 s31, 0x7060405
	s_mov_b32 s33, 0x7000604
	s_waitcnt vmcnt(2)
	v_lshlrev_b16_e32 v30, 8, v30
	s_waitcnt vmcnt(1)
	v_lshlrev_b32_e32 v34, 16, v31
	s_waitcnt vmcnt(0)
	v_add_u16_e32 v35, 1, v32
	v_add_u16_e32 v31, 1, v31
	v_or_b32_e32 v32, v32, v30
	v_or_b32_sdwa v30, v30, v35 dst_sel:DWORD dst_unused:UNUSED_PAD src0_sel:DWORD src1_sel:BYTE_0
	v_and_b32_e32 v31, 0xff, v31
	v_add_u16_e32 v30, 0x100, v30
	v_lshlrev_b32_e32 v31, 16, v31
	v_or_b32_e32 v56, v30, v31
	v_and_b32_e32 v31, 0xe0, v0
	v_or_b32_sdwa v57, v32, v34 dst_sel:DWORD dst_unused:UNUSED_PAD src0_sel:WORD_0 src1_sel:DWORD
	v_mul_u32_u24_e32 v34, 3, v31
	v_mad_u32_u24 v30, v33, 3, v17
	v_min_u32_e32 v32, 0x300, v34
	v_min_u32_e32 v33, 0x2d0, v34
	v_min_u32_e32 v34, 0x2a0, v34
	v_add_u32_e32 v33, 48, v33
	v_add_u32_e32 v34, 0x60, v34
	v_mul_u32_u24_e32 v31, 3, v37
	v_sub_u32_e32 v35, v34, v33
	v_sub_u32_e32 v38, v31, v35
	v_cmp_ge_i32_e64 s[6:7], v31, v35
	v_sub_u32_e32 v36, v33, v32
	v_min_i32_e32 v36, v31, v36
	v_cndmask_b32_e64 v35, 0, v38, s[6:7]
	v_and_b32_e32 v38, 0xc0, v0
	v_mul_u32_u24_e32 v41, 3, v38
	v_min_u32_e32 v39, 0x300, v41
	v_min_u32_e32 v40, 0x2a0, v41
	;; [unrolled: 1-line block ×3, first 2 shown]
	v_add_u32_e32 v40, 0x60, v40
	v_add_u32_e32 v41, 0xc0, v41
	v_mul_u32_u24_e32 v38, 3, v44
	v_sub_u32_e32 v42, v41, v40
	v_sub_u32_e32 v45, v38, v42
	v_cmp_ge_i32_e64 s[8:9], v38, v42
	v_sub_u32_e32 v43, v40, v39
	v_min_i32_e32 v43, v38, v43
	v_cndmask_b32_e64 v42, 0, v45, s[8:9]
	v_and_b32_e32 v45, 0x80, v0
	v_mul_u32_u24_e32 v49, 3, v45
	v_min_u32_e32 v46, 0x300, v49
	v_min_u32_e32 v47, 0x240, v49
	v_min_u32_e32 v49, 0x180, v49
	v_add_u32_e32 v47, 0xc0, v47
	v_add_u32_e32 v49, 0x180, v49
	v_mul_u32_u24_e32 v45, 3, v52
	v_sub_u32_e32 v50, v49, v47
	v_sub_u32_e32 v51, v47, v46
	;; [unrolled: 1-line block ×3, first 2 shown]
	v_cmp_ge_i32_e64 s[10:11], v45, v50
	v_min_i32_e32 v51, v45, v51
	v_cmp_lt_i32_e64 s[6:7], v35, v36
	v_cndmask_b32_e64 v50, 0, v53, s[10:11]
	v_sub_u32_e64 v53, v2, v48 clamp
	v_mad_u32_u24 v37, v37, 3, v33
	v_cmp_lt_i32_e64 s[8:9], v42, v43
	v_mad_u32_u24 v44, v44, 3, v40
	v_cmp_lt_i32_e64 s[10:11], v50, v51
	;; [unrolled: 2-line block ×3, first 2 shown]
	s_mov_b32 s34, 0xffff0000
	s_mov_b32 s35, 0xc0c0001
	s_branch .LBB65_2
.LBB65_1:                               ;   in Loop: Header=BB65_2 Depth=1
	s_or_b64 exec, exec, s[18:19]
	v_cndmask_b32_e64 v61, v61, v62, s[14:15]
	v_cndmask_b32_e64 v62, v63, v64, s[16:17]
	v_cmp_ge_i32_e64 s[16:17], v66, v48
	s_waitcnt lgkmcnt(0)
	v_cmp_lt_i16_sdwa s[18:19], sext(v70), sext(v67) src0_sel:BYTE_0 src1_sel:BYTE_0
	v_cndmask_b32_e64 v60, v59, v60, s[14:15]
	v_cmp_gt_i32_e64 s[14:15], s29, v65
	s_or_b64 s[16:17], s[16:17], s[18:19]
	s_and_b64 s[14:15], s[14:15], s[16:17]
	v_lshlrev_b16_e32 v63, 8, v62
	v_or_b32_sdwa v64, v61, v63 dst_sel:DWORD dst_unused:UNUSED_PAD src0_sel:BYTE_0 src1_sel:DWORD
	v_cndmask_b32_e64 v65, v66, v65, s[14:15]
	s_barrier
	ds_write_b8 v2, v57
	ds_write_b8 v2, v58 offset:1
	ds_write_b8 v2, v56 offset:2
	s_waitcnt lgkmcnt(0)
	s_barrier
	ds_read_u8 v58, v69
	ds_read_u8 v63, v60
	;; [unrolled: 1-line block ×3, first 2 shown]
	v_cndmask_b32_e64 v59, v67, v70, s[14:15]
	v_and_b32_e32 v67, 0xff, v59
	v_lshlrev_b32_e32 v56, 16, v67
	v_or_b32_sdwa v57, v64, v56 dst_sel:DWORD dst_unused:UNUSED_PAD src0_sel:WORD_0 src1_sel:DWORD
	s_waitcnt lgkmcnt(2)
	v_lshlrev_b16_e32 v56, 8, v58
	s_waitcnt lgkmcnt(1)
	v_or_b32_e32 v56, v63, v56
	s_waitcnt lgkmcnt(0)
	v_lshlrev_b32_e32 v64, 16, v60
	s_add_i32 s30, s30, 1
	s_cmp_eq_u32 s30, 10
	v_or_b32_sdwa v56, v56, v64 dst_sel:DWORD dst_unused:UNUSED_PAD src0_sel:WORD_0 src1_sel:DWORD
	s_cbranch_scc1 .LBB65_98
.LBB65_2:                               ; =>This Loop Header: Depth=1
                                        ;     Child Loop BB65_4 Depth 2
                                        ;     Child Loop BB65_16 Depth 2
	;; [unrolled: 1-line block ×8, first 2 shown]
	v_lshrrev_b32_e32 v59, 8, v57
	v_perm_b32 v58, v57, v57, s31
	v_cmp_lt_i16_sdwa s[16:17], sext(v59), sext(v57) src0_sel:BYTE_0 src1_sel:BYTE_0
	s_barrier
	s_nop 0
	v_cndmask_b32_e64 v58, v57, v58, s[16:17]
	v_lshrrev_b32_e32 v60, 16, v58
	v_max_i16_sdwa v57, sext(v59), sext(v57) dst_sel:DWORD dst_unused:UNUSED_PAD src0_sel:BYTE_0 src1_sel:BYTE_0
	v_perm_b32 v59, v58, v57, s33
	v_cmp_lt_i16_sdwa s[14:15], sext(v60), v57 src0_sel:BYTE_0 src1_sel:DWORD
	v_min_i16_sdwa v57, sext(v60), v57 dst_sel:DWORD dst_unused:UNUSED_PAD src0_sel:BYTE_0 src1_sel:DWORD
	s_nop 0
	v_cndmask_b32_e64 v58, v58, v59, s[14:15]
	v_lshlrev_b16_e32 v59, 8, v58
	v_or_b32_sdwa v59, v57, v59 dst_sel:DWORD dst_unused:UNUSED_PAD src0_sel:BYTE_0 src1_sel:DWORD
	v_and_b32_e32 v59, 0xffff, v59
	v_and_or_b32 v59, v58, s34, v59
	v_cmp_lt_i16_sdwa s[18:19], v57, sext(v58) src0_sel:DWORD src1_sel:BYTE_0
	s_nop 1
	v_cndmask_b32_e64 v57, v58, v59, s[18:19]
	v_lshrrev_b32_e32 v58, 8, v57
	ds_write_b8 v2, v57
	ds_write_b8 v2, v58 offset:1
	ds_write_b8_d16_hi v2, v57 offset:2
	v_mov_b32_e32 v58, v26
	s_waitcnt lgkmcnt(0)
	s_barrier
	s_and_saveexec_b64 s[22:23], vcc
	s_cbranch_execz .LBB65_6
; %bb.3:                                ;   in Loop: Header=BB65_2 Depth=1
	s_mov_b64 s[24:25], 0
	v_mov_b32_e32 v58, v26
	v_mov_b32_e32 v57, v22
.LBB65_4:                               ;   Parent Loop BB65_2 Depth=1
                                        ; =>  This Inner Loop Header: Depth=2
	v_sub_u32_e32 v59, v57, v58
	v_lshrrev_b32_e32 v60, 31, v59
	v_add_u32_e32 v59, v59, v60
	v_ashrrev_i32_e32 v59, 1, v59
	v_add_u32_e32 v59, v59, v58
	v_not_b32_e32 v61, v59
	v_add_u32_e32 v60, v7, v59
	v_add3_u32 v61, v3, v61, v11
	ds_read_i8 v60, v60
	ds_read_i8 v61, v61
	v_add_u32_e32 v62, 1, v59
	s_waitcnt lgkmcnt(0)
	v_cmp_lt_i16_e64 s[20:21], v61, v60
	s_nop 1
	v_cndmask_b32_e64 v57, v57, v59, s[20:21]
	v_cndmask_b32_e64 v58, v62, v58, s[20:21]
	v_cmp_ge_i32_e64 s[20:21], v58, v57
	s_or_b64 s[24:25], s[20:21], s[24:25]
	s_andn2_b64 exec, exec, s[24:25]
	s_cbranch_execnz .LBB65_4
; %bb.5:                                ;   in Loop: Header=BB65_2 Depth=1
	s_or_b64 exec, exec, s[24:25]
.LBB65_6:                               ;   in Loop: Header=BB65_2 Depth=1
	s_or_b64 exec, exec, s[22:23]
	v_add_u32_e32 v57, v58, v7
	v_sub_u32_e32 v58, v19, v58
	ds_read_u8 v59, v57
	ds_read_u8 v60, v58
	v_cmp_le_i32_e64 s[22:23], v11, v57
	v_cmp_gt_i32_e64 s[20:21], v12, v58
                                        ; implicit-def: $vgpr61
	s_waitcnt lgkmcnt(1)
	v_bfe_i32 v59, v59, 0, 8
	s_waitcnt lgkmcnt(0)
	v_bfe_i32 v60, v60, 0, 8
	v_cmp_lt_i16_e64 s[24:25], v60, v59
	s_or_b64 s[22:23], s[22:23], s[24:25]
	s_and_b64 s[20:21], s[20:21], s[22:23]
	s_xor_b64 s[22:23], s[20:21], -1
	s_and_saveexec_b64 s[24:25], s[22:23]
	s_xor_b64 s[22:23], exec, s[24:25]
	s_cbranch_execz .LBB65_8
; %bb.7:                                ;   in Loop: Header=BB65_2 Depth=1
	ds_read_u8 v61, v57 offset:1
.LBB65_8:                               ;   in Loop: Header=BB65_2 Depth=1
	s_or_saveexec_b64 s[22:23], s[22:23]
	v_mov_b32_e32 v62, v60
	s_xor_b64 exec, exec, s[22:23]
	s_cbranch_execz .LBB65_10
; %bb.9:                                ;   in Loop: Header=BB65_2 Depth=1
	ds_read_u8 v62, v58 offset:1
	s_waitcnt lgkmcnt(1)
	v_mov_b32_e32 v61, v59
.LBB65_10:                              ;   in Loop: Header=BB65_2 Depth=1
	s_or_b64 exec, exec, s[22:23]
	v_add_u32_e32 v65, 1, v57
	v_add_u32_e32 v63, 1, v58
	v_cndmask_b32_e64 v65, v65, v57, s[20:21]
	v_cndmask_b32_e64 v64, v58, v63, s[20:21]
	v_cmp_ge_i32_e64 s[24:25], v65, v11
	s_waitcnt lgkmcnt(0)
	v_cmp_lt_i16_sdwa s[36:37], sext(v62), sext(v61) src0_sel:BYTE_0 src1_sel:BYTE_0
	v_cmp_lt_i32_e64 s[22:23], v64, v12
	s_or_b64 s[24:25], s[24:25], s[36:37]
	s_and_b64 s[22:23], s[22:23], s[24:25]
	s_xor_b64 s[24:25], s[22:23], -1
                                        ; implicit-def: $vgpr63
	s_and_saveexec_b64 s[36:37], s[24:25]
	s_xor_b64 s[24:25], exec, s[36:37]
	s_cbranch_execz .LBB65_12
; %bb.11:                               ;   in Loop: Header=BB65_2 Depth=1
	ds_read_u8 v63, v65 offset:1
.LBB65_12:                              ;   in Loop: Header=BB65_2 Depth=1
	s_or_saveexec_b64 s[24:25], s[24:25]
	v_mov_b32_e32 v66, v62
	s_xor_b64 exec, exec, s[24:25]
	s_cbranch_execz .LBB65_14
; %bb.13:                               ;   in Loop: Header=BB65_2 Depth=1
	ds_read_u8 v66, v64 offset:1
	s_waitcnt lgkmcnt(1)
	v_mov_b32_e32 v63, v61
.LBB65_14:                              ;   in Loop: Header=BB65_2 Depth=1
	s_or_b64 exec, exec, s[24:25]
	v_perm_b32 v67, v56, v56, s31
	v_cndmask_b32_e64 v56, v56, v67, s[16:17]
	v_cndmask_b32_e64 v57, v57, v58, s[20:21]
	v_lshrrev_b32_e32 v58, 16, v56
	v_cndmask_b32_e64 v59, v59, v60, s[20:21]
	v_lshlrev_b16_e32 v58, 8, v58
	v_lshrrev_b16_e32 v60, 8, v56
	v_or_b32_sdwa v58, v56, v58 dst_sel:DWORD dst_unused:UNUSED_PAD src0_sel:BYTE_0 src1_sel:DWORD
	v_lshlrev_b32_e32 v60, 16, v60
	v_or_b32_sdwa v58, v58, v60 dst_sel:DWORD dst_unused:UNUSED_PAD src0_sel:WORD_0 src1_sel:DWORD
	v_cndmask_b32_e64 v56, v56, v58, s[14:15]
	v_add_u32_e32 v68, 1, v65
	v_perm_b32 v58, 0, v56, s35
	v_cndmask_b32_e64 v61, v61, v62, s[22:23]
	v_add_u32_e32 v62, 1, v64
	v_cndmask_b32_e64 v68, v68, v65, s[22:23]
	v_and_or_b32 v58, v56, s34, v58
	v_cndmask_b32_e64 v62, v64, v62, s[22:23]
	v_cndmask_b32_e64 v56, v56, v58, s[18:19]
	v_cmp_ge_i32_e64 s[16:17], v68, v11
	s_waitcnt lgkmcnt(0)
	v_cmp_lt_i16_sdwa s[18:19], sext(v66), sext(v63) src0_sel:BYTE_0 src1_sel:BYTE_0
	v_cmp_lt_i32_e64 s[14:15], v62, v12
	s_or_b64 s[16:17], s[16:17], s[18:19]
	s_and_b64 s[14:15], s[14:15], s[16:17]
	v_cndmask_b32_e64 v58, v68, v62, s[14:15]
	v_lshrrev_b32_e32 v62, 8, v56
	v_cndmask_b32_e64 v64, v65, v64, s[22:23]
	s_barrier
	ds_write_b8 v2, v56
	ds_write_b8 v2, v62 offset:1
	ds_write_b8_d16_hi v2, v56 offset:2
	s_waitcnt lgkmcnt(0)
	s_barrier
	ds_read_u8 v56, v58
	ds_read_u8 v57, v57
	;; [unrolled: 1-line block ×3, first 2 shown]
	v_cndmask_b32_e64 v60, v63, v66, s[14:15]
	s_waitcnt lgkmcnt(0)
	s_barrier
	ds_write_b8 v2, v59
	ds_write_b8 v2, v61 offset:1
	ds_write_b8 v2, v60 offset:2
	v_mov_b32_e32 v60, v27
	s_waitcnt lgkmcnt(0)
	s_barrier
	s_and_saveexec_b64 s[16:17], s[0:1]
	s_cbranch_execz .LBB65_18
; %bb.15:                               ;   in Loop: Header=BB65_2 Depth=1
	s_mov_b64 s[18:19], 0
	v_mov_b32_e32 v60, v27
	v_mov_b32_e32 v59, v23
.LBB65_16:                              ;   Parent Loop BB65_2 Depth=1
                                        ; =>  This Inner Loop Header: Depth=2
	v_sub_u32_e32 v61, v59, v60
	v_lshrrev_b32_e32 v62, 31, v61
	v_add_u32_e32 v61, v61, v62
	v_ashrrev_i32_e32 v61, 1, v61
	v_add_u32_e32 v61, v61, v60
	v_not_b32_e32 v63, v61
	v_add_u32_e32 v62, v8, v61
	v_add3_u32 v63, v4, v63, v13
	ds_read_i8 v62, v62
	ds_read_i8 v63, v63
	v_add_u32_e32 v64, 1, v61
	s_waitcnt lgkmcnt(0)
	v_cmp_lt_i16_e64 s[14:15], v63, v62
	s_nop 1
	v_cndmask_b32_e64 v59, v59, v61, s[14:15]
	v_cndmask_b32_e64 v60, v64, v60, s[14:15]
	v_cmp_ge_i32_e64 s[14:15], v60, v59
	s_or_b64 s[18:19], s[14:15], s[18:19]
	s_andn2_b64 exec, exec, s[18:19]
	s_cbranch_execnz .LBB65_16
; %bb.17:                               ;   in Loop: Header=BB65_2 Depth=1
	s_or_b64 exec, exec, s[18:19]
.LBB65_18:                              ;   in Loop: Header=BB65_2 Depth=1
	s_or_b64 exec, exec, s[16:17]
	v_add_u32_e32 v59, v60, v8
	v_sub_u32_e32 v60, v20, v60
	ds_read_u8 v61, v59
	ds_read_u8 v62, v60
	v_cmp_le_i32_e64 s[16:17], v13, v59
	v_cmp_gt_i32_e64 s[14:15], v14, v60
                                        ; implicit-def: $vgpr63
	s_waitcnt lgkmcnt(1)
	v_bfe_i32 v61, v61, 0, 8
	s_waitcnt lgkmcnt(0)
	v_bfe_i32 v62, v62, 0, 8
	v_cmp_lt_i16_e64 s[18:19], v62, v61
	s_or_b64 s[16:17], s[16:17], s[18:19]
	s_and_b64 s[14:15], s[14:15], s[16:17]
	s_xor_b64 s[16:17], s[14:15], -1
	s_and_saveexec_b64 s[18:19], s[16:17]
	s_xor_b64 s[16:17], exec, s[18:19]
	s_cbranch_execz .LBB65_20
; %bb.19:                               ;   in Loop: Header=BB65_2 Depth=1
	ds_read_u8 v63, v59 offset:1
.LBB65_20:                              ;   in Loop: Header=BB65_2 Depth=1
	s_or_saveexec_b64 s[16:17], s[16:17]
	v_mov_b32_e32 v64, v62
	s_xor_b64 exec, exec, s[16:17]
	s_cbranch_execz .LBB65_22
; %bb.21:                               ;   in Loop: Header=BB65_2 Depth=1
	ds_read_u8 v64, v60 offset:1
	s_waitcnt lgkmcnt(1)
	v_mov_b32_e32 v63, v61
.LBB65_22:                              ;   in Loop: Header=BB65_2 Depth=1
	s_or_b64 exec, exec, s[16:17]
	v_add_u32_e32 v66, 1, v59
	v_add_u32_e32 v65, 1, v60
	v_cndmask_b32_e64 v66, v66, v59, s[14:15]
	v_cndmask_b32_e64 v65, v60, v65, s[14:15]
	v_cmp_ge_i32_e64 s[18:19], v66, v13
	s_waitcnt lgkmcnt(0)
	v_cmp_lt_i16_sdwa s[20:21], sext(v64), sext(v63) src0_sel:BYTE_0 src1_sel:BYTE_0
	v_cmp_lt_i32_e64 s[16:17], v65, v14
	s_or_b64 s[18:19], s[18:19], s[20:21]
	s_and_b64 s[16:17], s[16:17], s[18:19]
	s_xor_b64 s[18:19], s[16:17], -1
                                        ; implicit-def: $vgpr67
	s_and_saveexec_b64 s[20:21], s[18:19]
	s_xor_b64 s[18:19], exec, s[20:21]
	s_cbranch_execz .LBB65_24
; %bb.23:                               ;   in Loop: Header=BB65_2 Depth=1
	ds_read_u8 v67, v66 offset:1
.LBB65_24:                              ;   in Loop: Header=BB65_2 Depth=1
	s_or_saveexec_b64 s[18:19], s[18:19]
	v_mov_b32_e32 v68, v64
	s_xor_b64 exec, exec, s[18:19]
	s_cbranch_execz .LBB65_26
; %bb.25:                               ;   in Loop: Header=BB65_2 Depth=1
	ds_read_u8 v68, v65 offset:1
	s_waitcnt lgkmcnt(1)
	v_mov_b32_e32 v67, v63
.LBB65_26:                              ;   in Loop: Header=BB65_2 Depth=1
	s_or_b64 exec, exec, s[18:19]
	v_add_u32_e32 v69, 1, v66
	v_cndmask_b32_e64 v63, v63, v64, s[16:17]
	v_add_u32_e32 v64, 1, v65
	v_cndmask_b32_e64 v69, v69, v66, s[16:17]
	v_cndmask_b32_e64 v64, v65, v64, s[16:17]
	;; [unrolled: 1-line block ×3, first 2 shown]
	v_cmp_ge_i32_e64 s[16:17], v69, v13
	s_waitcnt lgkmcnt(0)
	v_cmp_lt_i16_sdwa s[18:19], sext(v68), sext(v67) src0_sel:BYTE_0 src1_sel:BYTE_0
	v_cndmask_b32_e64 v61, v61, v62, s[14:15]
	v_cndmask_b32_e64 v59, v59, v60, s[14:15]
	v_cmp_lt_i32_e64 s[14:15], v64, v14
	s_or_b64 s[16:17], s[16:17], s[18:19]
	s_and_b64 s[14:15], s[14:15], s[16:17]
	v_cndmask_b32_e64 v62, v69, v64, s[14:15]
	s_barrier
	ds_write_b8 v2, v57
	ds_write_b8 v2, v58 offset:1
	ds_write_b8 v2, v56 offset:2
	s_waitcnt lgkmcnt(0)
	s_barrier
	ds_read_u8 v56, v62
	ds_read_u8 v57, v59
	;; [unrolled: 1-line block ×3, first 2 shown]
	v_cndmask_b32_e64 v60, v67, v68, s[14:15]
	s_waitcnt lgkmcnt(0)
	s_barrier
	ds_write_b8 v2, v61
	ds_write_b8 v2, v63 offset:1
	ds_write_b8 v2, v60 offset:2
	v_mov_b32_e32 v60, v28
	s_waitcnt lgkmcnt(0)
	s_barrier
	s_and_saveexec_b64 s[16:17], s[2:3]
	s_cbranch_execz .LBB65_30
; %bb.27:                               ;   in Loop: Header=BB65_2 Depth=1
	s_mov_b64 s[18:19], 0
	v_mov_b32_e32 v60, v28
	v_mov_b32_e32 v59, v24
.LBB65_28:                              ;   Parent Loop BB65_2 Depth=1
                                        ; =>  This Inner Loop Header: Depth=2
	v_sub_u32_e32 v61, v59, v60
	v_lshrrev_b32_e32 v62, 31, v61
	v_add_u32_e32 v61, v61, v62
	v_ashrrev_i32_e32 v61, 1, v61
	v_add_u32_e32 v61, v61, v60
	v_not_b32_e32 v63, v61
	v_add_u32_e32 v62, v9, v61
	v_add3_u32 v63, v5, v63, v15
	ds_read_i8 v62, v62
	ds_read_i8 v63, v63
	v_add_u32_e32 v64, 1, v61
	s_waitcnt lgkmcnt(0)
	v_cmp_lt_i16_e64 s[14:15], v63, v62
	s_nop 1
	v_cndmask_b32_e64 v59, v59, v61, s[14:15]
	v_cndmask_b32_e64 v60, v64, v60, s[14:15]
	v_cmp_ge_i32_e64 s[14:15], v60, v59
	s_or_b64 s[18:19], s[14:15], s[18:19]
	s_andn2_b64 exec, exec, s[18:19]
	s_cbranch_execnz .LBB65_28
; %bb.29:                               ;   in Loop: Header=BB65_2 Depth=1
	s_or_b64 exec, exec, s[18:19]
.LBB65_30:                              ;   in Loop: Header=BB65_2 Depth=1
	s_or_b64 exec, exec, s[16:17]
	v_add_u32_e32 v59, v60, v9
	v_sub_u32_e32 v60, v21, v60
	ds_read_u8 v61, v59
	ds_read_u8 v62, v60
	v_cmp_le_i32_e64 s[16:17], v15, v59
	v_cmp_gt_i32_e64 s[14:15], v16, v60
                                        ; implicit-def: $vgpr63
	s_waitcnt lgkmcnt(1)
	v_bfe_i32 v61, v61, 0, 8
	s_waitcnt lgkmcnt(0)
	v_bfe_i32 v62, v62, 0, 8
	v_cmp_lt_i16_e64 s[18:19], v62, v61
	s_or_b64 s[16:17], s[16:17], s[18:19]
	s_and_b64 s[14:15], s[14:15], s[16:17]
	s_xor_b64 s[16:17], s[14:15], -1
	s_and_saveexec_b64 s[18:19], s[16:17]
	s_xor_b64 s[16:17], exec, s[18:19]
	s_cbranch_execz .LBB65_32
; %bb.31:                               ;   in Loop: Header=BB65_2 Depth=1
	ds_read_u8 v63, v59 offset:1
.LBB65_32:                              ;   in Loop: Header=BB65_2 Depth=1
	s_or_saveexec_b64 s[16:17], s[16:17]
	v_mov_b32_e32 v64, v62
	s_xor_b64 exec, exec, s[16:17]
	s_cbranch_execz .LBB65_34
; %bb.33:                               ;   in Loop: Header=BB65_2 Depth=1
	ds_read_u8 v64, v60 offset:1
	s_waitcnt lgkmcnt(1)
	v_mov_b32_e32 v63, v61
.LBB65_34:                              ;   in Loop: Header=BB65_2 Depth=1
	s_or_b64 exec, exec, s[16:17]
	v_add_u32_e32 v66, 1, v59
	v_add_u32_e32 v65, 1, v60
	v_cndmask_b32_e64 v66, v66, v59, s[14:15]
	v_cndmask_b32_e64 v65, v60, v65, s[14:15]
	v_cmp_ge_i32_e64 s[18:19], v66, v15
	s_waitcnt lgkmcnt(0)
	v_cmp_lt_i16_sdwa s[20:21], sext(v64), sext(v63) src0_sel:BYTE_0 src1_sel:BYTE_0
	v_cmp_lt_i32_e64 s[16:17], v65, v16
	s_or_b64 s[18:19], s[18:19], s[20:21]
	s_and_b64 s[16:17], s[16:17], s[18:19]
	s_xor_b64 s[18:19], s[16:17], -1
                                        ; implicit-def: $vgpr67
	s_and_saveexec_b64 s[20:21], s[18:19]
	s_xor_b64 s[18:19], exec, s[20:21]
	s_cbranch_execz .LBB65_36
; %bb.35:                               ;   in Loop: Header=BB65_2 Depth=1
	ds_read_u8 v67, v66 offset:1
.LBB65_36:                              ;   in Loop: Header=BB65_2 Depth=1
	s_or_saveexec_b64 s[18:19], s[18:19]
	v_mov_b32_e32 v68, v64
	s_xor_b64 exec, exec, s[18:19]
	s_cbranch_execz .LBB65_38
; %bb.37:                               ;   in Loop: Header=BB65_2 Depth=1
	ds_read_u8 v68, v65 offset:1
	s_waitcnt lgkmcnt(1)
	v_mov_b32_e32 v67, v63
.LBB65_38:                              ;   in Loop: Header=BB65_2 Depth=1
	s_or_b64 exec, exec, s[18:19]
	v_add_u32_e32 v69, 1, v66
	v_cndmask_b32_e64 v63, v63, v64, s[16:17]
	v_add_u32_e32 v64, 1, v65
	v_cndmask_b32_e64 v69, v69, v66, s[16:17]
	v_cndmask_b32_e64 v64, v65, v64, s[16:17]
	;; [unrolled: 1-line block ×3, first 2 shown]
	v_cmp_ge_i32_e64 s[16:17], v69, v15
	s_waitcnt lgkmcnt(0)
	v_cmp_lt_i16_sdwa s[18:19], sext(v68), sext(v67) src0_sel:BYTE_0 src1_sel:BYTE_0
	v_cndmask_b32_e64 v61, v61, v62, s[14:15]
	v_cndmask_b32_e64 v59, v59, v60, s[14:15]
	v_cmp_lt_i32_e64 s[14:15], v64, v16
	s_or_b64 s[16:17], s[16:17], s[18:19]
	s_and_b64 s[14:15], s[14:15], s[16:17]
	v_cndmask_b32_e64 v62, v69, v64, s[14:15]
	s_barrier
	ds_write_b8 v2, v57
	ds_write_b8 v2, v58 offset:1
	ds_write_b8 v2, v56 offset:2
	s_waitcnt lgkmcnt(0)
	s_barrier
	ds_read_u8 v56, v62
	ds_read_u8 v57, v59
	ds_read_u8 v58, v65
	v_cndmask_b32_e64 v60, v67, v68, s[14:15]
	s_waitcnt lgkmcnt(0)
	s_barrier
	ds_write_b8 v2, v61
	ds_write_b8 v2, v63 offset:1
	ds_write_b8 v2, v60 offset:2
	v_mov_b32_e32 v60, v29
	s_waitcnt lgkmcnt(0)
	s_barrier
	s_and_saveexec_b64 s[16:17], s[4:5]
	s_cbranch_execz .LBB65_42
; %bb.39:                               ;   in Loop: Header=BB65_2 Depth=1
	s_mov_b64 s[18:19], 0
	v_mov_b32_e32 v60, v29
	v_mov_b32_e32 v59, v25
.LBB65_40:                              ;   Parent Loop BB65_2 Depth=1
                                        ; =>  This Inner Loop Header: Depth=2
	v_sub_u32_e32 v61, v59, v60
	v_lshrrev_b32_e32 v62, 31, v61
	v_add_u32_e32 v61, v61, v62
	v_ashrrev_i32_e32 v61, 1, v61
	v_add_u32_e32 v61, v61, v60
	v_not_b32_e32 v63, v61
	v_add_u32_e32 v62, v10, v61
	v_add3_u32 v63, v6, v63, v17
	ds_read_i8 v62, v62
	ds_read_i8 v63, v63
	v_add_u32_e32 v64, 1, v61
	s_waitcnt lgkmcnt(0)
	v_cmp_lt_i16_e64 s[14:15], v63, v62
	s_nop 1
	v_cndmask_b32_e64 v59, v59, v61, s[14:15]
	v_cndmask_b32_e64 v60, v64, v60, s[14:15]
	v_cmp_ge_i32_e64 s[14:15], v60, v59
	s_or_b64 s[18:19], s[14:15], s[18:19]
	s_andn2_b64 exec, exec, s[18:19]
	s_cbranch_execnz .LBB65_40
; %bb.41:                               ;   in Loop: Header=BB65_2 Depth=1
	s_or_b64 exec, exec, s[18:19]
.LBB65_42:                              ;   in Loop: Header=BB65_2 Depth=1
	s_or_b64 exec, exec, s[16:17]
	v_add_u32_e32 v59, v60, v10
	v_sub_u32_e32 v60, v30, v60
	ds_read_u8 v61, v59
	ds_read_u8 v62, v60
	v_cmp_le_i32_e64 s[16:17], v17, v59
	v_cmp_gt_i32_e64 s[14:15], v18, v60
                                        ; implicit-def: $vgpr63
	s_waitcnt lgkmcnt(1)
	v_bfe_i32 v61, v61, 0, 8
	s_waitcnt lgkmcnt(0)
	v_bfe_i32 v62, v62, 0, 8
	v_cmp_lt_i16_e64 s[18:19], v62, v61
	s_or_b64 s[16:17], s[16:17], s[18:19]
	s_and_b64 s[14:15], s[14:15], s[16:17]
	s_xor_b64 s[16:17], s[14:15], -1
	s_and_saveexec_b64 s[18:19], s[16:17]
	s_xor_b64 s[16:17], exec, s[18:19]
	s_cbranch_execz .LBB65_44
; %bb.43:                               ;   in Loop: Header=BB65_2 Depth=1
	ds_read_u8 v63, v59 offset:1
.LBB65_44:                              ;   in Loop: Header=BB65_2 Depth=1
	s_or_saveexec_b64 s[16:17], s[16:17]
	v_mov_b32_e32 v64, v62
	s_xor_b64 exec, exec, s[16:17]
	s_cbranch_execz .LBB65_46
; %bb.45:                               ;   in Loop: Header=BB65_2 Depth=1
	ds_read_u8 v64, v60 offset:1
	s_waitcnt lgkmcnt(1)
	v_mov_b32_e32 v63, v61
.LBB65_46:                              ;   in Loop: Header=BB65_2 Depth=1
	s_or_b64 exec, exec, s[16:17]
	v_add_u32_e32 v66, 1, v59
	v_add_u32_e32 v65, 1, v60
	v_cndmask_b32_e64 v66, v66, v59, s[14:15]
	v_cndmask_b32_e64 v65, v60, v65, s[14:15]
	v_cmp_ge_i32_e64 s[18:19], v66, v17
	s_waitcnt lgkmcnt(0)
	v_cmp_lt_i16_sdwa s[20:21], sext(v64), sext(v63) src0_sel:BYTE_0 src1_sel:BYTE_0
	v_cmp_lt_i32_e64 s[16:17], v65, v18
	s_or_b64 s[18:19], s[18:19], s[20:21]
	s_and_b64 s[16:17], s[16:17], s[18:19]
	s_xor_b64 s[18:19], s[16:17], -1
                                        ; implicit-def: $vgpr67
	s_and_saveexec_b64 s[20:21], s[18:19]
	s_xor_b64 s[18:19], exec, s[20:21]
	s_cbranch_execz .LBB65_48
; %bb.47:                               ;   in Loop: Header=BB65_2 Depth=1
	ds_read_u8 v67, v66 offset:1
.LBB65_48:                              ;   in Loop: Header=BB65_2 Depth=1
	s_or_saveexec_b64 s[18:19], s[18:19]
	v_mov_b32_e32 v68, v64
	s_xor_b64 exec, exec, s[18:19]
	s_cbranch_execz .LBB65_50
; %bb.49:                               ;   in Loop: Header=BB65_2 Depth=1
	ds_read_u8 v68, v65 offset:1
	s_waitcnt lgkmcnt(1)
	v_mov_b32_e32 v67, v63
.LBB65_50:                              ;   in Loop: Header=BB65_2 Depth=1
	s_or_b64 exec, exec, s[18:19]
	v_add_u32_e32 v69, 1, v66
	v_cndmask_b32_e64 v63, v63, v64, s[16:17]
	v_add_u32_e32 v64, 1, v65
	v_cndmask_b32_e64 v69, v69, v66, s[16:17]
	v_cndmask_b32_e64 v64, v65, v64, s[16:17]
	;; [unrolled: 1-line block ×3, first 2 shown]
	v_cmp_ge_i32_e64 s[16:17], v69, v17
	s_waitcnt lgkmcnt(0)
	v_cmp_lt_i16_sdwa s[18:19], sext(v68), sext(v67) src0_sel:BYTE_0 src1_sel:BYTE_0
	v_cndmask_b32_e64 v61, v61, v62, s[14:15]
	v_cndmask_b32_e64 v59, v59, v60, s[14:15]
	v_cmp_lt_i32_e64 s[14:15], v64, v18
	s_or_b64 s[16:17], s[16:17], s[18:19]
	s_and_b64 s[14:15], s[14:15], s[16:17]
	v_cndmask_b32_e64 v62, v69, v64, s[14:15]
	s_barrier
	ds_write_b8 v2, v57
	ds_write_b8 v2, v58 offset:1
	ds_write_b8 v2, v56 offset:2
	s_waitcnt lgkmcnt(0)
	s_barrier
	ds_read_u8 v56, v62
	ds_read_u8 v57, v59
	;; [unrolled: 1-line block ×3, first 2 shown]
	v_cndmask_b32_e64 v60, v67, v68, s[14:15]
	s_waitcnt lgkmcnt(0)
	s_barrier
	ds_write_b8 v2, v61
	ds_write_b8 v2, v63 offset:1
	ds_write_b8 v2, v60 offset:2
	v_mov_b32_e32 v60, v35
	s_waitcnt lgkmcnt(0)
	s_barrier
	s_and_saveexec_b64 s[16:17], s[6:7]
	s_cbranch_execz .LBB65_54
; %bb.51:                               ;   in Loop: Header=BB65_2 Depth=1
	s_mov_b64 s[18:19], 0
	v_mov_b32_e32 v60, v35
	v_mov_b32_e32 v59, v36
.LBB65_52:                              ;   Parent Loop BB65_2 Depth=1
                                        ; =>  This Inner Loop Header: Depth=2
	v_sub_u32_e32 v61, v59, v60
	v_lshrrev_b32_e32 v62, 31, v61
	v_add_u32_e32 v61, v61, v62
	v_ashrrev_i32_e32 v61, 1, v61
	v_add_u32_e32 v61, v61, v60
	v_not_b32_e32 v63, v61
	v_add_u32_e32 v62, v32, v61
	v_add3_u32 v63, v31, v63, v33
	ds_read_i8 v62, v62
	ds_read_i8 v63, v63
	v_add_u32_e32 v64, 1, v61
	s_waitcnt lgkmcnt(0)
	v_cmp_lt_i16_e64 s[14:15], v63, v62
	s_nop 1
	v_cndmask_b32_e64 v59, v59, v61, s[14:15]
	v_cndmask_b32_e64 v60, v64, v60, s[14:15]
	v_cmp_ge_i32_e64 s[14:15], v60, v59
	s_or_b64 s[18:19], s[14:15], s[18:19]
	s_andn2_b64 exec, exec, s[18:19]
	s_cbranch_execnz .LBB65_52
; %bb.53:                               ;   in Loop: Header=BB65_2 Depth=1
	s_or_b64 exec, exec, s[18:19]
.LBB65_54:                              ;   in Loop: Header=BB65_2 Depth=1
	s_or_b64 exec, exec, s[16:17]
	v_add_u32_e32 v59, v60, v32
	v_sub_u32_e32 v60, v37, v60
	ds_read_u8 v61, v59
	ds_read_u8 v62, v60
	v_cmp_le_i32_e64 s[16:17], v33, v59
	v_cmp_gt_i32_e64 s[14:15], v34, v60
                                        ; implicit-def: $vgpr63
	s_waitcnt lgkmcnt(1)
	v_bfe_i32 v61, v61, 0, 8
	s_waitcnt lgkmcnt(0)
	v_bfe_i32 v62, v62, 0, 8
	v_cmp_lt_i16_e64 s[18:19], v62, v61
	s_or_b64 s[16:17], s[16:17], s[18:19]
	s_and_b64 s[14:15], s[14:15], s[16:17]
	s_xor_b64 s[16:17], s[14:15], -1
	s_and_saveexec_b64 s[18:19], s[16:17]
	s_xor_b64 s[16:17], exec, s[18:19]
	s_cbranch_execz .LBB65_56
; %bb.55:                               ;   in Loop: Header=BB65_2 Depth=1
	ds_read_u8 v63, v59 offset:1
.LBB65_56:                              ;   in Loop: Header=BB65_2 Depth=1
	s_or_saveexec_b64 s[16:17], s[16:17]
	v_mov_b32_e32 v64, v62
	s_xor_b64 exec, exec, s[16:17]
	s_cbranch_execz .LBB65_58
; %bb.57:                               ;   in Loop: Header=BB65_2 Depth=1
	ds_read_u8 v64, v60 offset:1
	s_waitcnt lgkmcnt(1)
	v_mov_b32_e32 v63, v61
.LBB65_58:                              ;   in Loop: Header=BB65_2 Depth=1
	s_or_b64 exec, exec, s[16:17]
	v_add_u32_e32 v66, 1, v59
	v_add_u32_e32 v65, 1, v60
	v_cndmask_b32_e64 v66, v66, v59, s[14:15]
	v_cndmask_b32_e64 v65, v60, v65, s[14:15]
	v_cmp_ge_i32_e64 s[18:19], v66, v33
	s_waitcnt lgkmcnt(0)
	v_cmp_lt_i16_sdwa s[20:21], sext(v64), sext(v63) src0_sel:BYTE_0 src1_sel:BYTE_0
	v_cmp_lt_i32_e64 s[16:17], v65, v34
	s_or_b64 s[18:19], s[18:19], s[20:21]
	s_and_b64 s[16:17], s[16:17], s[18:19]
	s_xor_b64 s[18:19], s[16:17], -1
                                        ; implicit-def: $vgpr67
	s_and_saveexec_b64 s[20:21], s[18:19]
	s_xor_b64 s[18:19], exec, s[20:21]
	s_cbranch_execz .LBB65_60
; %bb.59:                               ;   in Loop: Header=BB65_2 Depth=1
	ds_read_u8 v67, v66 offset:1
.LBB65_60:                              ;   in Loop: Header=BB65_2 Depth=1
	s_or_saveexec_b64 s[18:19], s[18:19]
	v_mov_b32_e32 v68, v64
	s_xor_b64 exec, exec, s[18:19]
	s_cbranch_execz .LBB65_62
; %bb.61:                               ;   in Loop: Header=BB65_2 Depth=1
	ds_read_u8 v68, v65 offset:1
	s_waitcnt lgkmcnt(1)
	v_mov_b32_e32 v67, v63
.LBB65_62:                              ;   in Loop: Header=BB65_2 Depth=1
	s_or_b64 exec, exec, s[18:19]
	v_add_u32_e32 v69, 1, v66
	v_cndmask_b32_e64 v63, v63, v64, s[16:17]
	v_add_u32_e32 v64, 1, v65
	v_cndmask_b32_e64 v69, v69, v66, s[16:17]
	v_cndmask_b32_e64 v64, v65, v64, s[16:17]
	;; [unrolled: 1-line block ×3, first 2 shown]
	v_cmp_ge_i32_e64 s[16:17], v69, v33
	s_waitcnt lgkmcnt(0)
	v_cmp_lt_i16_sdwa s[18:19], sext(v68), sext(v67) src0_sel:BYTE_0 src1_sel:BYTE_0
	v_cndmask_b32_e64 v61, v61, v62, s[14:15]
	v_cndmask_b32_e64 v59, v59, v60, s[14:15]
	v_cmp_lt_i32_e64 s[14:15], v64, v34
	s_or_b64 s[16:17], s[16:17], s[18:19]
	s_and_b64 s[14:15], s[14:15], s[16:17]
	v_cndmask_b32_e64 v62, v69, v64, s[14:15]
	s_barrier
	ds_write_b8 v2, v57
	ds_write_b8 v2, v58 offset:1
	ds_write_b8 v2, v56 offset:2
	s_waitcnt lgkmcnt(0)
	s_barrier
	ds_read_u8 v56, v62
	ds_read_u8 v57, v59
	;; [unrolled: 1-line block ×3, first 2 shown]
	v_cndmask_b32_e64 v60, v67, v68, s[14:15]
	s_waitcnt lgkmcnt(0)
	s_barrier
	ds_write_b8 v2, v61
	ds_write_b8 v2, v63 offset:1
	ds_write_b8 v2, v60 offset:2
	v_mov_b32_e32 v60, v42
	s_waitcnt lgkmcnt(0)
	s_barrier
	s_and_saveexec_b64 s[16:17], s[8:9]
	s_cbranch_execz .LBB65_66
; %bb.63:                               ;   in Loop: Header=BB65_2 Depth=1
	s_mov_b64 s[18:19], 0
	v_mov_b32_e32 v60, v42
	v_mov_b32_e32 v59, v43
.LBB65_64:                              ;   Parent Loop BB65_2 Depth=1
                                        ; =>  This Inner Loop Header: Depth=2
	v_sub_u32_e32 v61, v59, v60
	v_lshrrev_b32_e32 v62, 31, v61
	v_add_u32_e32 v61, v61, v62
	v_ashrrev_i32_e32 v61, 1, v61
	v_add_u32_e32 v61, v61, v60
	v_not_b32_e32 v63, v61
	v_add_u32_e32 v62, v39, v61
	v_add3_u32 v63, v38, v63, v40
	ds_read_i8 v62, v62
	ds_read_i8 v63, v63
	v_add_u32_e32 v64, 1, v61
	s_waitcnt lgkmcnt(0)
	v_cmp_lt_i16_e64 s[14:15], v63, v62
	s_nop 1
	v_cndmask_b32_e64 v59, v59, v61, s[14:15]
	v_cndmask_b32_e64 v60, v64, v60, s[14:15]
	v_cmp_ge_i32_e64 s[14:15], v60, v59
	s_or_b64 s[18:19], s[14:15], s[18:19]
	s_andn2_b64 exec, exec, s[18:19]
	s_cbranch_execnz .LBB65_64
; %bb.65:                               ;   in Loop: Header=BB65_2 Depth=1
	s_or_b64 exec, exec, s[18:19]
.LBB65_66:                              ;   in Loop: Header=BB65_2 Depth=1
	s_or_b64 exec, exec, s[16:17]
	v_add_u32_e32 v59, v60, v39
	v_sub_u32_e32 v60, v44, v60
	ds_read_u8 v61, v59
	ds_read_u8 v62, v60
	v_cmp_le_i32_e64 s[16:17], v40, v59
	v_cmp_gt_i32_e64 s[14:15], v41, v60
                                        ; implicit-def: $vgpr63
	s_waitcnt lgkmcnt(1)
	v_bfe_i32 v61, v61, 0, 8
	s_waitcnt lgkmcnt(0)
	v_bfe_i32 v62, v62, 0, 8
	v_cmp_lt_i16_e64 s[18:19], v62, v61
	s_or_b64 s[16:17], s[16:17], s[18:19]
	s_and_b64 s[14:15], s[14:15], s[16:17]
	s_xor_b64 s[16:17], s[14:15], -1
	s_and_saveexec_b64 s[18:19], s[16:17]
	s_xor_b64 s[16:17], exec, s[18:19]
	s_cbranch_execz .LBB65_68
; %bb.67:                               ;   in Loop: Header=BB65_2 Depth=1
	ds_read_u8 v63, v59 offset:1
.LBB65_68:                              ;   in Loop: Header=BB65_2 Depth=1
	s_or_saveexec_b64 s[16:17], s[16:17]
	v_mov_b32_e32 v64, v62
	s_xor_b64 exec, exec, s[16:17]
	s_cbranch_execz .LBB65_70
; %bb.69:                               ;   in Loop: Header=BB65_2 Depth=1
	ds_read_u8 v64, v60 offset:1
	s_waitcnt lgkmcnt(1)
	v_mov_b32_e32 v63, v61
.LBB65_70:                              ;   in Loop: Header=BB65_2 Depth=1
	s_or_b64 exec, exec, s[16:17]
	v_add_u32_e32 v66, 1, v59
	v_add_u32_e32 v65, 1, v60
	v_cndmask_b32_e64 v66, v66, v59, s[14:15]
	v_cndmask_b32_e64 v65, v60, v65, s[14:15]
	v_cmp_ge_i32_e64 s[18:19], v66, v40
	s_waitcnt lgkmcnt(0)
	v_cmp_lt_i16_sdwa s[20:21], sext(v64), sext(v63) src0_sel:BYTE_0 src1_sel:BYTE_0
	v_cmp_lt_i32_e64 s[16:17], v65, v41
	s_or_b64 s[18:19], s[18:19], s[20:21]
	s_and_b64 s[16:17], s[16:17], s[18:19]
	s_xor_b64 s[18:19], s[16:17], -1
                                        ; implicit-def: $vgpr67
	s_and_saveexec_b64 s[20:21], s[18:19]
	s_xor_b64 s[18:19], exec, s[20:21]
	s_cbranch_execz .LBB65_72
; %bb.71:                               ;   in Loop: Header=BB65_2 Depth=1
	ds_read_u8 v67, v66 offset:1
.LBB65_72:                              ;   in Loop: Header=BB65_2 Depth=1
	s_or_saveexec_b64 s[18:19], s[18:19]
	v_mov_b32_e32 v68, v64
	s_xor_b64 exec, exec, s[18:19]
	s_cbranch_execz .LBB65_74
; %bb.73:                               ;   in Loop: Header=BB65_2 Depth=1
	ds_read_u8 v68, v65 offset:1
	s_waitcnt lgkmcnt(1)
	v_mov_b32_e32 v67, v63
.LBB65_74:                              ;   in Loop: Header=BB65_2 Depth=1
	s_or_b64 exec, exec, s[18:19]
	v_add_u32_e32 v69, 1, v66
	v_cndmask_b32_e64 v63, v63, v64, s[16:17]
	v_add_u32_e32 v64, 1, v65
	v_cndmask_b32_e64 v69, v69, v66, s[16:17]
	v_cndmask_b32_e64 v64, v65, v64, s[16:17]
	;; [unrolled: 1-line block ×3, first 2 shown]
	v_cmp_ge_i32_e64 s[16:17], v69, v40
	s_waitcnt lgkmcnt(0)
	v_cmp_lt_i16_sdwa s[18:19], sext(v68), sext(v67) src0_sel:BYTE_0 src1_sel:BYTE_0
	v_cndmask_b32_e64 v61, v61, v62, s[14:15]
	v_cndmask_b32_e64 v59, v59, v60, s[14:15]
	v_cmp_lt_i32_e64 s[14:15], v64, v41
	s_or_b64 s[16:17], s[16:17], s[18:19]
	s_and_b64 s[14:15], s[14:15], s[16:17]
	v_cndmask_b32_e64 v62, v69, v64, s[14:15]
	s_barrier
	ds_write_b8 v2, v57
	ds_write_b8 v2, v58 offset:1
	ds_write_b8 v2, v56 offset:2
	s_waitcnt lgkmcnt(0)
	s_barrier
	ds_read_u8 v56, v62
	ds_read_u8 v57, v59
	;; [unrolled: 1-line block ×3, first 2 shown]
	v_cndmask_b32_e64 v60, v67, v68, s[14:15]
	s_waitcnt lgkmcnt(0)
	s_barrier
	ds_write_b8 v2, v61
	ds_write_b8 v2, v63 offset:1
	ds_write_b8 v2, v60 offset:2
	v_mov_b32_e32 v60, v50
	s_waitcnt lgkmcnt(0)
	s_barrier
	s_and_saveexec_b64 s[16:17], s[10:11]
	s_cbranch_execz .LBB65_78
; %bb.75:                               ;   in Loop: Header=BB65_2 Depth=1
	s_mov_b64 s[18:19], 0
	v_mov_b32_e32 v60, v50
	v_mov_b32_e32 v59, v51
.LBB65_76:                              ;   Parent Loop BB65_2 Depth=1
                                        ; =>  This Inner Loop Header: Depth=2
	v_sub_u32_e32 v61, v59, v60
	v_lshrrev_b32_e32 v62, 31, v61
	v_add_u32_e32 v61, v61, v62
	v_ashrrev_i32_e32 v61, 1, v61
	v_add_u32_e32 v61, v61, v60
	v_not_b32_e32 v63, v61
	v_add_u32_e32 v62, v46, v61
	v_add3_u32 v63, v45, v63, v47
	ds_read_i8 v62, v62
	ds_read_i8 v63, v63
	v_add_u32_e32 v64, 1, v61
	s_waitcnt lgkmcnt(0)
	v_cmp_lt_i16_e64 s[14:15], v63, v62
	s_nop 1
	v_cndmask_b32_e64 v59, v59, v61, s[14:15]
	v_cndmask_b32_e64 v60, v64, v60, s[14:15]
	v_cmp_ge_i32_e64 s[14:15], v60, v59
	s_or_b64 s[18:19], s[14:15], s[18:19]
	s_andn2_b64 exec, exec, s[18:19]
	s_cbranch_execnz .LBB65_76
; %bb.77:                               ;   in Loop: Header=BB65_2 Depth=1
	s_or_b64 exec, exec, s[18:19]
.LBB65_78:                              ;   in Loop: Header=BB65_2 Depth=1
	s_or_b64 exec, exec, s[16:17]
	v_add_u32_e32 v59, v60, v46
	v_sub_u32_e32 v60, v52, v60
	ds_read_u8 v61, v59
	ds_read_u8 v62, v60
	v_cmp_le_i32_e64 s[16:17], v47, v59
	v_cmp_gt_i32_e64 s[14:15], v49, v60
                                        ; implicit-def: $vgpr63
	s_waitcnt lgkmcnt(1)
	v_bfe_i32 v61, v61, 0, 8
	s_waitcnt lgkmcnt(0)
	v_bfe_i32 v62, v62, 0, 8
	v_cmp_lt_i16_e64 s[18:19], v62, v61
	s_or_b64 s[16:17], s[16:17], s[18:19]
	s_and_b64 s[14:15], s[14:15], s[16:17]
	s_xor_b64 s[16:17], s[14:15], -1
	s_and_saveexec_b64 s[18:19], s[16:17]
	s_xor_b64 s[16:17], exec, s[18:19]
	s_cbranch_execz .LBB65_80
; %bb.79:                               ;   in Loop: Header=BB65_2 Depth=1
	ds_read_u8 v63, v59 offset:1
.LBB65_80:                              ;   in Loop: Header=BB65_2 Depth=1
	s_or_saveexec_b64 s[16:17], s[16:17]
	v_mov_b32_e32 v64, v62
	s_xor_b64 exec, exec, s[16:17]
	s_cbranch_execz .LBB65_82
; %bb.81:                               ;   in Loop: Header=BB65_2 Depth=1
	ds_read_u8 v64, v60 offset:1
	s_waitcnt lgkmcnt(1)
	v_mov_b32_e32 v63, v61
.LBB65_82:                              ;   in Loop: Header=BB65_2 Depth=1
	s_or_b64 exec, exec, s[16:17]
	v_add_u32_e32 v66, 1, v59
	v_add_u32_e32 v65, 1, v60
	v_cndmask_b32_e64 v66, v66, v59, s[14:15]
	v_cndmask_b32_e64 v65, v60, v65, s[14:15]
	v_cmp_ge_i32_e64 s[18:19], v66, v47
	s_waitcnt lgkmcnt(0)
	v_cmp_lt_i16_sdwa s[20:21], sext(v64), sext(v63) src0_sel:BYTE_0 src1_sel:BYTE_0
	v_cmp_lt_i32_e64 s[16:17], v65, v49
	s_or_b64 s[18:19], s[18:19], s[20:21]
	s_and_b64 s[16:17], s[16:17], s[18:19]
	s_xor_b64 s[18:19], s[16:17], -1
                                        ; implicit-def: $vgpr67
	s_and_saveexec_b64 s[20:21], s[18:19]
	s_xor_b64 s[18:19], exec, s[20:21]
	s_cbranch_execz .LBB65_84
; %bb.83:                               ;   in Loop: Header=BB65_2 Depth=1
	ds_read_u8 v67, v66 offset:1
.LBB65_84:                              ;   in Loop: Header=BB65_2 Depth=1
	s_or_saveexec_b64 s[18:19], s[18:19]
	v_mov_b32_e32 v68, v64
	s_xor_b64 exec, exec, s[18:19]
	s_cbranch_execz .LBB65_86
; %bb.85:                               ;   in Loop: Header=BB65_2 Depth=1
	ds_read_u8 v68, v65 offset:1
	s_waitcnt lgkmcnt(1)
	v_mov_b32_e32 v67, v63
.LBB65_86:                              ;   in Loop: Header=BB65_2 Depth=1
	s_or_b64 exec, exec, s[18:19]
	v_add_u32_e32 v69, 1, v66
	v_cndmask_b32_e64 v63, v63, v64, s[16:17]
	v_add_u32_e32 v64, 1, v65
	v_cndmask_b32_e64 v69, v69, v66, s[16:17]
	v_cndmask_b32_e64 v64, v65, v64, s[16:17]
	;; [unrolled: 1-line block ×3, first 2 shown]
	v_cmp_ge_i32_e64 s[16:17], v69, v47
	s_waitcnt lgkmcnt(0)
	v_cmp_lt_i16_sdwa s[18:19], sext(v68), sext(v67) src0_sel:BYTE_0 src1_sel:BYTE_0
	v_cndmask_b32_e64 v61, v61, v62, s[14:15]
	v_cndmask_b32_e64 v59, v59, v60, s[14:15]
	v_cmp_lt_i32_e64 s[14:15], v64, v49
	s_or_b64 s[16:17], s[16:17], s[18:19]
	s_and_b64 s[14:15], s[14:15], s[16:17]
	v_cndmask_b32_e64 v62, v69, v64, s[14:15]
	s_barrier
	ds_write_b8 v2, v57
	ds_write_b8 v2, v58 offset:1
	ds_write_b8 v2, v56 offset:2
	s_waitcnt lgkmcnt(0)
	s_barrier
	ds_read_u8 v56, v62
	ds_read_u8 v57, v59
	;; [unrolled: 1-line block ×3, first 2 shown]
	v_mov_b32_e32 v59, v53
	v_cndmask_b32_e64 v60, v67, v68, s[14:15]
	s_waitcnt lgkmcnt(0)
	s_barrier
	ds_write_b8 v2, v61
	ds_write_b8 v2, v63 offset:1
	ds_write_b8 v2, v60 offset:2
	s_waitcnt lgkmcnt(0)
	s_barrier
	s_and_saveexec_b64 s[16:17], s[12:13]
	s_cbranch_execz .LBB65_90
; %bb.87:                               ;   in Loop: Header=BB65_2 Depth=1
	s_mov_b64 s[18:19], 0
	v_mov_b32_e32 v59, v53
	v_mov_b32_e32 v60, v54
.LBB65_88:                              ;   Parent Loop BB65_2 Depth=1
                                        ; =>  This Inner Loop Header: Depth=2
	v_sub_u32_e32 v61, v60, v59
	v_lshrrev_b32_e32 v62, 31, v61
	v_add_u32_e32 v61, v61, v62
	v_ashrrev_i32_e32 v61, 1, v61
	v_add_u32_e32 v61, v61, v59
	v_not_b32_e32 v62, v61
	v_add3_u32 v62, v2, v62, v48
	ds_read_i8 v63, v61
	ds_read_i8 v62, v62
	v_add_u32_e32 v64, 1, v61
	s_waitcnt lgkmcnt(0)
	v_cmp_lt_i16_e64 s[14:15], v62, v63
	s_nop 1
	v_cndmask_b32_e64 v60, v60, v61, s[14:15]
	v_cndmask_b32_e64 v59, v64, v59, s[14:15]
	v_cmp_ge_i32_e64 s[14:15], v59, v60
	s_or_b64 s[18:19], s[14:15], s[18:19]
	s_andn2_b64 exec, exec, s[18:19]
	s_cbranch_execnz .LBB65_88
; %bb.89:                               ;   in Loop: Header=BB65_2 Depth=1
	s_or_b64 exec, exec, s[18:19]
.LBB65_90:                              ;   in Loop: Header=BB65_2 Depth=1
	s_or_b64 exec, exec, s[16:17]
	v_sub_u32_e32 v60, v55, v59
	ds_read_u8 v61, v59
	ds_read_u8 v62, v60
	v_cmp_le_i32_e64 s[16:17], v48, v59
	v_cmp_gt_i32_e64 s[14:15], s29, v60
                                        ; implicit-def: $vgpr63
	s_waitcnt lgkmcnt(1)
	v_bfe_i32 v61, v61, 0, 8
	s_waitcnt lgkmcnt(0)
	v_bfe_i32 v62, v62, 0, 8
	v_cmp_lt_i16_e64 s[18:19], v62, v61
	s_or_b64 s[16:17], s[16:17], s[18:19]
	s_and_b64 s[14:15], s[14:15], s[16:17]
	s_xor_b64 s[16:17], s[14:15], -1
	s_and_saveexec_b64 s[18:19], s[16:17]
	s_xor_b64 s[16:17], exec, s[18:19]
	s_cbranch_execz .LBB65_92
; %bb.91:                               ;   in Loop: Header=BB65_2 Depth=1
	ds_read_u8 v63, v59 offset:1
.LBB65_92:                              ;   in Loop: Header=BB65_2 Depth=1
	s_or_saveexec_b64 s[16:17], s[16:17]
	v_mov_b32_e32 v64, v62
	s_xor_b64 exec, exec, s[16:17]
	s_cbranch_execz .LBB65_94
; %bb.93:                               ;   in Loop: Header=BB65_2 Depth=1
	ds_read_u8 v64, v60 offset:1
	s_waitcnt lgkmcnt(1)
	v_mov_b32_e32 v63, v61
.LBB65_94:                              ;   in Loop: Header=BB65_2 Depth=1
	s_or_b64 exec, exec, s[16:17]
	v_add_u32_e32 v66, 1, v59
	v_add_u32_e32 v65, 1, v60
	v_cndmask_b32_e64 v68, v66, v59, s[14:15]
	v_cndmask_b32_e64 v65, v60, v65, s[14:15]
	v_cmp_ge_i32_e64 s[18:19], v68, v48
	s_waitcnt lgkmcnt(0)
	v_cmp_lt_i16_sdwa s[20:21], sext(v64), sext(v63) src0_sel:BYTE_0 src1_sel:BYTE_0
	v_cmp_gt_i32_e64 s[16:17], s29, v65
	s_or_b64 s[18:19], s[18:19], s[20:21]
	s_and_b64 s[16:17], s[16:17], s[18:19]
	s_xor_b64 s[18:19], s[16:17], -1
                                        ; implicit-def: $vgpr67
                                        ; implicit-def: $vgpr66
	s_and_saveexec_b64 s[20:21], s[18:19]
	s_xor_b64 s[18:19], exec, s[20:21]
	s_cbranch_execz .LBB65_96
; %bb.95:                               ;   in Loop: Header=BB65_2 Depth=1
	ds_read_u8 v67, v68 offset:1
	v_add_u32_e32 v66, 1, v68
.LBB65_96:                              ;   in Loop: Header=BB65_2 Depth=1
	s_or_saveexec_b64 s[18:19], s[18:19]
	v_mov_b32_e32 v69, v68
	v_mov_b32_e32 v70, v64
	s_xor_b64 exec, exec, s[18:19]
	s_cbranch_execz .LBB65_1
; %bb.97:                               ;   in Loop: Header=BB65_2 Depth=1
	ds_read_u8 v70, v65 offset:1
	s_waitcnt lgkmcnt(1)
	v_add_u32_e32 v67, 1, v65
	v_mov_b32_e32 v69, v65
	v_mov_b32_e32 v66, v68
	;; [unrolled: 1-line block ×4, first 2 shown]
	s_branch .LBB65_1
.LBB65_98:
	s_add_u32 s0, s26, s28
	s_addc_u32 s1, s27, 0
	v_add_u16_e32 v2, v61, v63
	v_lshl_add_u64 v[0:1], s[0:1], 0, v[0:1]
	v_add_u16_e32 v3, v62, v58
	v_add_u16_e32 v4, v59, v60
	global_store_byte v[0:1], v2, off
	global_store_byte v[0:1], v3, off offset:256
	global_store_byte v[0:1], v4, off offset:512
	s_endpgm
	.section	.rodata,"a",@progbits
	.p2align	6, 0x0
	.amdhsa_kernel _Z17sort_pairs_kernelIaLj256ELj3EN10test_utils4lessELj10EEvPKT_PS2_T2_
		.amdhsa_group_segment_fixed_size 769
		.amdhsa_private_segment_fixed_size 0
		.amdhsa_kernarg_size 20
		.amdhsa_user_sgpr_count 2
		.amdhsa_user_sgpr_dispatch_ptr 0
		.amdhsa_user_sgpr_queue_ptr 0
		.amdhsa_user_sgpr_kernarg_segment_ptr 1
		.amdhsa_user_sgpr_dispatch_id 0
		.amdhsa_user_sgpr_kernarg_preload_length 0
		.amdhsa_user_sgpr_kernarg_preload_offset 0
		.amdhsa_user_sgpr_private_segment_size 0
		.amdhsa_uses_dynamic_stack 0
		.amdhsa_enable_private_segment 0
		.amdhsa_system_sgpr_workgroup_id_x 1
		.amdhsa_system_sgpr_workgroup_id_y 0
		.amdhsa_system_sgpr_workgroup_id_z 0
		.amdhsa_system_sgpr_workgroup_info 0
		.amdhsa_system_vgpr_workitem_id 0
		.amdhsa_next_free_vgpr 71
		.amdhsa_next_free_sgpr 38
		.amdhsa_accum_offset 72
		.amdhsa_reserve_vcc 1
		.amdhsa_float_round_mode_32 0
		.amdhsa_float_round_mode_16_64 0
		.amdhsa_float_denorm_mode_32 3
		.amdhsa_float_denorm_mode_16_64 3
		.amdhsa_dx10_clamp 1
		.amdhsa_ieee_mode 1
		.amdhsa_fp16_overflow 0
		.amdhsa_tg_split 0
		.amdhsa_exception_fp_ieee_invalid_op 0
		.amdhsa_exception_fp_denorm_src 0
		.amdhsa_exception_fp_ieee_div_zero 0
		.amdhsa_exception_fp_ieee_overflow 0
		.amdhsa_exception_fp_ieee_underflow 0
		.amdhsa_exception_fp_ieee_inexact 0
		.amdhsa_exception_int_div_zero 0
	.end_amdhsa_kernel
	.section	.text._Z17sort_pairs_kernelIaLj256ELj3EN10test_utils4lessELj10EEvPKT_PS2_T2_,"axG",@progbits,_Z17sort_pairs_kernelIaLj256ELj3EN10test_utils4lessELj10EEvPKT_PS2_T2_,comdat
.Lfunc_end65:
	.size	_Z17sort_pairs_kernelIaLj256ELj3EN10test_utils4lessELj10EEvPKT_PS2_T2_, .Lfunc_end65-_Z17sort_pairs_kernelIaLj256ELj3EN10test_utils4lessELj10EEvPKT_PS2_T2_
                                        ; -- End function
	.section	.AMDGPU.csdata,"",@progbits
; Kernel info:
; codeLenInByte = 6104
; NumSgprs: 44
; NumVgprs: 71
; NumAgprs: 0
; TotalNumVgprs: 71
; ScratchSize: 0
; MemoryBound: 0
; FloatMode: 240
; IeeeMode: 1
; LDSByteSize: 769 bytes/workgroup (compile time only)
; SGPRBlocks: 5
; VGPRBlocks: 8
; NumSGPRsForWavesPerEU: 44
; NumVGPRsForWavesPerEU: 71
; AccumOffset: 72
; Occupancy: 7
; WaveLimiterHint : 1
; COMPUTE_PGM_RSRC2:SCRATCH_EN: 0
; COMPUTE_PGM_RSRC2:USER_SGPR: 2
; COMPUTE_PGM_RSRC2:TRAP_HANDLER: 0
; COMPUTE_PGM_RSRC2:TGID_X_EN: 1
; COMPUTE_PGM_RSRC2:TGID_Y_EN: 0
; COMPUTE_PGM_RSRC2:TGID_Z_EN: 0
; COMPUTE_PGM_RSRC2:TIDIG_COMP_CNT: 0
; COMPUTE_PGM_RSRC3_GFX90A:ACCUM_OFFSET: 17
; COMPUTE_PGM_RSRC3_GFX90A:TG_SPLIT: 0
	.section	.text._Z16sort_keys_kernelIaLj256ELj4EN10test_utils4lessELj10EEvPKT_PS2_T2_,"axG",@progbits,_Z16sort_keys_kernelIaLj256ELj4EN10test_utils4lessELj10EEvPKT_PS2_T2_,comdat
	.protected	_Z16sort_keys_kernelIaLj256ELj4EN10test_utils4lessELj10EEvPKT_PS2_T2_ ; -- Begin function _Z16sort_keys_kernelIaLj256ELj4EN10test_utils4lessELj10EEvPKT_PS2_T2_
	.globl	_Z16sort_keys_kernelIaLj256ELj4EN10test_utils4lessELj10EEvPKT_PS2_T2_
	.p2align	8
	.type	_Z16sort_keys_kernelIaLj256ELj4EN10test_utils4lessELj10EEvPKT_PS2_T2_,@function
_Z16sort_keys_kernelIaLj256ELj4EN10test_utils4lessELj10EEvPKT_PS2_T2_: ; @_Z16sort_keys_kernelIaLj256ELj4EN10test_utils4lessELj10EEvPKT_PS2_T2_
; %bb.0:
	s_load_dwordx4 s[20:23], s[0:1], 0x0
	s_lshl_b32 s24, s2, 10
	v_lshlrev_b32_e32 v2, 2, v0
	v_and_b32_e32 v3, 0x3f8, v2
	v_and_b32_e32 v5, 0x3f0, v2
	s_waitcnt lgkmcnt(0)
	s_add_u32 s0, s20, s24
	s_addc_u32 s1, s21, 0
	global_load_ubyte v44, v0, s[0:1] offset:256
	global_load_ubyte v45, v0, s[0:1] offset:768
	global_load_ubyte v46, v0, s[0:1]
	global_load_ubyte v47, v0, s[0:1] offset:512
	v_or_b32_e32 v15, 4, v3
	v_add_u32_e32 v16, 8, v3
	v_and_b32_e32 v4, 4, v2
	v_and_b32_e32 v7, 0x3e0, v2
	v_or_b32_e32 v17, 8, v5
	v_add_u32_e32 v18, 16, v5
	v_sub_u32_e32 v38, v16, v15
	v_and_b32_e32 v6, 12, v2
	v_and_b32_e32 v9, 0x3c0, v2
	v_or_b32_e32 v19, 16, v7
	v_add_u32_e32 v20, 32, v7
	v_sub_u32_e32 v39, v18, v17
	v_sub_u32_e32 v48, v4, v38
	v_cmp_ge_i32_e32 vcc, v4, v38
	v_and_b32_e32 v8, 28, v2
	v_and_b32_e32 v11, 0x380, v2
	v_or_b32_e32 v21, 32, v9
	v_add_u32_e32 v22, 64, v9
	v_sub_u32_e32 v40, v20, v19
	v_sub_u32_e32 v49, v6, v39
	v_cndmask_b32_e32 v38, 0, v48, vcc
	v_cmp_ge_i32_e32 vcc, v6, v39
	v_and_b32_e32 v10, 60, v2
	v_and_b32_e32 v13, 0x300, v2
	v_or_b32_e32 v23, 64, v11
	v_add_u32_e32 v24, 0x80, v11
	v_sub_u32_e32 v41, v22, v21
	v_sub_u32_e32 v50, v8, v40
	v_cndmask_b32_e32 v39, 0, v49, vcc
	v_cmp_ge_i32_e32 vcc, v8, v40
	v_and_b32_e32 v12, 0x7c, v2
	v_or_b32_e32 v25, 0x80, v13
	v_add_u32_e32 v26, 0x100, v13
	v_sub_u32_e32 v42, v24, v23
	v_sub_u32_e32 v51, v10, v41
	v_cndmask_b32_e32 v40, 0, v50, vcc
	v_cmp_ge_i32_e32 vcc, v10, v41
	v_and_b32_e32 v14, 0xfc, v2
	v_sub_u32_e32 v43, v26, v25
	v_sub_u32_e32 v52, v12, v42
	v_cndmask_b32_e32 v41, 0, v51, vcc
	v_cmp_ge_i32_e32 vcc, v12, v42
	v_sub_u32_e32 v32, v15, v3
	v_sub_u32_e32 v33, v17, v5
	;; [unrolled: 1-line block ×7, first 2 shown]
	v_cndmask_b32_e32 v42, 0, v52, vcc
	v_cmp_ge_i32_e32 vcc, v14, v43
	v_min_i32_e32 v32, v4, v32
	v_min_i32_e32 v33, v6, v33
	;; [unrolled: 1-line block ×6, first 2 shown]
	v_cndmask_b32_e32 v43, 0, v53, vcc
	v_min_i32_e32 v54, 0x200, v2
	s_mov_b32 s25, 0
	v_mov_b32_e32 v1, 0
	s_mov_b32 s26, 0xffff
	v_add_u32_e32 v27, v15, v4
	v_add_u32_e32 v28, v17, v6
	;; [unrolled: 1-line block ×5, first 2 shown]
	v_cmp_lt_i32_e32 vcc, v38, v32
	v_cmp_lt_i32_e64 s[0:1], v39, v33
	v_cmp_lt_i32_e64 s[2:3], v40, v34
	;; [unrolled: 1-line block ×5, first 2 shown]
	v_add_u32_e32 v55, 0x200, v2
	s_mov_b32 s27, 0x7060405
	s_mov_b32 s28, 0xc0c0001
	s_waitcnt vmcnt(3)
	v_lshlrev_b16_e32 v44, 8, v44
	s_waitcnt vmcnt(2)
	v_lshlrev_b16_e32 v45, 8, v45
	s_waitcnt vmcnt(1)
	v_or_b32_e32 v44, v46, v44
	v_and_b32_e32 v46, 0x200, v2
	v_or_b32_e32 v48, 0x100, v46
	v_add_u32_e32 v49, 0x200, v46
	s_waitcnt vmcnt(0)
	v_or_b32_sdwa v45, v47, v45 dst_sel:WORD_1 dst_unused:UNUSED_PAD src0_sel:DWORD src1_sel:DWORD
	v_and_b32_e32 v47, 0x1fc, v2
	v_sub_u32_e32 v50, v49, v48
	v_or_b32_sdwa v56, v44, v45 dst_sel:DWORD dst_unused:UNUSED_PAD src0_sel:WORD_0 src1_sel:DWORD
	v_mov_b32_e32 v45, 0x200
	v_sub_u32_e32 v51, v48, v46
	v_sub_u32_e32 v52, v47, v50
	v_cmp_ge_i32_e64 s[10:11], v47, v50
	v_min_i32_e32 v51, v47, v51
	v_sub_u32_e64 v53, v2, v45 clamp
	v_cndmask_b32_e64 v50, 0, v52, s[10:11]
	v_add_u32_e32 v44, v25, v14
	v_cmp_lt_i32_e64 s[10:11], v50, v51
	v_add_u32_e32 v52, v48, v47
	v_cmp_lt_i32_e64 s[12:13], v53, v54
	s_movk_i32 s29, 0xff00
	s_mov_b32 s30, 0xffff0000
	s_movk_i32 s31, 0x400
	s_branch .LBB66_2
.LBB66_1:                               ;   in Loop: Header=BB66_2 Depth=1
	s_or_b64 exec, exec, s[20:21]
	v_cndmask_b32_e64 v58, v58, v59, s[16:17]
	v_cndmask_b32_e64 v59, v60, v61, s[18:19]
	v_cmp_ge_i32_e64 s[16:17], v64, v45
	s_waitcnt lgkmcnt(0)
	v_cmp_lt_i16_sdwa s[18:19], sext(v66), sext(v63) src0_sel:BYTE_0 src1_sel:BYTE_0
	v_cndmask_b32_e64 v57, v56, v57, s[14:15]
	v_cmp_gt_i32_e64 s[14:15], s31, v62
	s_or_b64 s[16:17], s[16:17], s[18:19]
	s_and_b64 s[14:15], s[14:15], s[16:17]
	v_cndmask_b32_e64 v60, v63, v66, s[14:15]
	v_lshlrev_b16_e32 v56, 8, v58
	v_lshlrev_b16_e32 v61, 8, v60
	v_or_b32_sdwa v56, v57, v56 dst_sel:DWORD dst_unused:UNUSED_PAD src0_sel:BYTE_0 src1_sel:DWORD
	v_or_b32_sdwa v61, v59, v61 dst_sel:WORD_1 dst_unused:UNUSED_PAD src0_sel:BYTE_0 src1_sel:DWORD
	s_add_i32 s25, s25, 1
	s_cmp_eq_u32 s25, 10
	v_or_b32_sdwa v56, v56, v61 dst_sel:DWORD dst_unused:UNUSED_PAD src0_sel:WORD_0 src1_sel:DWORD
	s_cbranch_scc1 .LBB66_130
.LBB66_2:                               ; =>This Loop Header: Depth=1
                                        ;     Child Loop BB66_4 Depth 2
                                        ;     Child Loop BB66_20 Depth 2
	;; [unrolled: 1-line block ×8, first 2 shown]
	v_lshrrev_b32_e32 v58, 8, v56
	v_perm_b32 v57, v56, v56, s27
	v_cmp_lt_i16_sdwa s[14:15], sext(v58), sext(v56) src0_sel:BYTE_0 src1_sel:BYTE_0
	v_min_i16_sdwa v61, sext(v58), sext(v56) dst_sel:DWORD dst_unused:UNUSED_PAD src0_sel:BYTE_0 src1_sel:BYTE_0
	s_nop 0
	v_cndmask_b32_e64 v57, v56, v57, s[14:15]
	v_lshrrev_b32_e32 v59, 16, v57
	v_perm_b32 v60, 0, v59, s28
	v_max_i16_sdwa v56, sext(v58), sext(v56) dst_sel:DWORD dst_unused:UNUSED_PAD src0_sel:BYTE_0 src1_sel:BYTE_0
	v_lshrrev_b32_e32 v58, 24, v57
	v_lshlrev_b32_e32 v60, 16, v60
	v_and_or_b32 v60, v57, s26, v60
	v_cmp_lt_i16_sdwa s[14:15], sext(v58), sext(v59) src0_sel:BYTE_0 src1_sel:BYTE_0
	v_max_i16_sdwa v62, sext(v58), sext(v59) dst_sel:DWORD dst_unused:UNUSED_PAD src0_sel:BYTE_0 src1_sel:BYTE_0
	v_min_i16_sdwa v58, sext(v58), sext(v59) dst_sel:DWORD dst_unused:UNUSED_PAD src0_sel:BYTE_0 src1_sel:BYTE_0
	v_cndmask_b32_e64 v57, v57, v60, s[14:15]
	v_and_b32_sdwa v60, v57, s29 dst_sel:DWORD dst_unused:UNUSED_PAD src0_sel:WORD_1 src1_sel:DWORD
	v_lshlrev_b16_e32 v59, 8, v58
	v_or_b32_sdwa v60, v56, v60 dst_sel:WORD_1 dst_unused:UNUSED_PAD src0_sel:BYTE_0 src1_sel:DWORD
	v_or_b32_sdwa v59, v57, v59 dst_sel:DWORD dst_unused:UNUSED_PAD src0_sel:BYTE_0 src1_sel:DWORD
	v_or_b32_sdwa v59, v59, v60 dst_sel:DWORD dst_unused:UNUSED_PAD src0_sel:WORD_0 src1_sel:DWORD
	v_cmp_lt_i16_e64 s[14:15], v58, v56
	v_lshlrev_b16_e32 v60, 8, v61
	v_max_i16_e32 v63, v58, v56
	v_cndmask_b32_e64 v57, v57, v59, s[14:15]
	v_min_i16_e32 v59, v58, v56
	v_or_b32_sdwa v60, v59, v60 dst_sel:DWORD dst_unused:UNUSED_PAD src0_sel:BYTE_0 src1_sel:DWORD
	v_and_b32_e32 v60, 0xffff, v60
	v_cmp_lt_i16_e64 s[14:15], v58, v61
	v_and_or_b32 v60, v57, s30, v60
	s_barrier
	v_cndmask_b32_e64 v58, v59, v61, s[14:15]
	v_lshlrev_b16_e32 v59, 8, v63
	v_cndmask_b32_e64 v57, v57, v60, s[14:15]
	v_or_b32_sdwa v59, v62, v59 dst_sel:WORD_1 dst_unused:UNUSED_PAD src0_sel:BYTE_0 src1_sel:DWORD
	v_cmp_gt_i16_e64 s[14:15], v56, v62
	v_and_or_b32 v59, v57, s26, v59
	s_nop 0
	v_cndmask_b32_e64 v56, v57, v59, s[14:15]
	v_cndmask_b32_e64 v59, v63, v62, s[14:15]
	v_and_b32_sdwa v57, v56, s29 dst_sel:DWORD dst_unused:UNUSED_PAD src0_sel:WORD_1 src1_sel:DWORD
	v_lshlrev_b16_e32 v60, 8, v59
	v_or_b32_sdwa v57, v58, v57 dst_sel:WORD_1 dst_unused:UNUSED_PAD src0_sel:BYTE_0 src1_sel:DWORD
	v_or_b32_sdwa v60, v56, v60 dst_sel:DWORD dst_unused:UNUSED_PAD src0_sel:BYTE_0 src1_sel:DWORD
	v_or_b32_sdwa v57, v60, v57 dst_sel:DWORD dst_unused:UNUSED_PAD src0_sel:WORD_0 src1_sel:DWORD
	v_cmp_lt_i16_e64 s[14:15], v59, v58
	s_nop 1
	v_cndmask_b32_e64 v56, v56, v57, s[14:15]
	ds_write_b32 v2, v56
	v_mov_b32_e32 v56, v38
	s_waitcnt lgkmcnt(0)
	s_barrier
	s_and_saveexec_b64 s[16:17], vcc
	s_cbranch_execz .LBB66_6
; %bb.3:                                ;   in Loop: Header=BB66_2 Depth=1
	s_mov_b64 s[18:19], 0
	v_mov_b32_e32 v56, v38
	v_mov_b32_e32 v57, v32
.LBB66_4:                               ;   Parent Loop BB66_2 Depth=1
                                        ; =>  This Inner Loop Header: Depth=2
	v_sub_u32_e32 v58, v57, v56
	v_lshrrev_b32_e32 v59, 31, v58
	v_add_u32_e32 v58, v58, v59
	v_ashrrev_i32_e32 v58, 1, v58
	v_add_u32_e32 v58, v58, v56
	v_not_b32_e32 v60, v58
	v_add_u32_e32 v59, v3, v58
	v_add3_u32 v60, v4, v60, v15
	ds_read_i8 v59, v59
	ds_read_i8 v60, v60
	v_add_u32_e32 v61, 1, v58
	s_waitcnt lgkmcnt(0)
	v_cmp_lt_i16_e64 s[14:15], v60, v59
	s_nop 1
	v_cndmask_b32_e64 v57, v57, v58, s[14:15]
	v_cndmask_b32_e64 v56, v61, v56, s[14:15]
	v_cmp_ge_i32_e64 s[14:15], v56, v57
	s_or_b64 s[18:19], s[14:15], s[18:19]
	s_andn2_b64 exec, exec, s[18:19]
	s_cbranch_execnz .LBB66_4
; %bb.5:                                ;   in Loop: Header=BB66_2 Depth=1
	s_or_b64 exec, exec, s[18:19]
.LBB66_6:                               ;   in Loop: Header=BB66_2 Depth=1
	s_or_b64 exec, exec, s[16:17]
	v_add_u32_e32 v60, v56, v3
	v_sub_u32_e32 v61, v27, v56
	ds_read_u8 v56, v60
	ds_read_u8 v57, v61
	v_cmp_le_i32_e64 s[16:17], v15, v60
	v_cmp_gt_i32_e64 s[14:15], v16, v61
                                        ; implicit-def: $vgpr58
	s_waitcnt lgkmcnt(1)
	v_bfe_i32 v56, v56, 0, 8
	s_waitcnt lgkmcnt(0)
	v_bfe_i32 v57, v57, 0, 8
	v_cmp_lt_i16_e64 s[18:19], v57, v56
	s_or_b64 s[16:17], s[16:17], s[18:19]
	s_and_b64 s[14:15], s[14:15], s[16:17]
	s_xor_b64 s[16:17], s[14:15], -1
	s_and_saveexec_b64 s[18:19], s[16:17]
	s_xor_b64 s[16:17], exec, s[18:19]
	s_cbranch_execz .LBB66_8
; %bb.7:                                ;   in Loop: Header=BB66_2 Depth=1
	ds_read_u8 v58, v60 offset:1
.LBB66_8:                               ;   in Loop: Header=BB66_2 Depth=1
	s_or_saveexec_b64 s[16:17], s[16:17]
	v_mov_b32_e32 v59, v57
	s_xor_b64 exec, exec, s[16:17]
	s_cbranch_execz .LBB66_10
; %bb.9:                                ;   in Loop: Header=BB66_2 Depth=1
	ds_read_u8 v59, v61 offset:1
	s_waitcnt lgkmcnt(1)
	v_mov_b32_e32 v58, v56
.LBB66_10:                              ;   in Loop: Header=BB66_2 Depth=1
	s_or_b64 exec, exec, s[16:17]
	v_add_u32_e32 v63, 1, v60
	v_add_u32_e32 v62, 1, v61
	v_cndmask_b32_e64 v63, v63, v60, s[14:15]
	v_cndmask_b32_e64 v62, v61, v62, s[14:15]
	v_cmp_ge_i32_e64 s[18:19], v63, v15
	s_waitcnt lgkmcnt(0)
	v_cmp_lt_i16_sdwa s[20:21], sext(v59), sext(v58) src0_sel:BYTE_0 src1_sel:BYTE_0
	v_cmp_lt_i32_e64 s[16:17], v62, v16
	s_or_b64 s[18:19], s[18:19], s[20:21]
	s_and_b64 s[16:17], s[16:17], s[18:19]
	s_xor_b64 s[18:19], s[16:17], -1
                                        ; implicit-def: $vgpr60
	s_and_saveexec_b64 s[20:21], s[18:19]
	s_xor_b64 s[18:19], exec, s[20:21]
	s_cbranch_execz .LBB66_12
; %bb.11:                               ;   in Loop: Header=BB66_2 Depth=1
	ds_read_u8 v60, v63 offset:1
.LBB66_12:                              ;   in Loop: Header=BB66_2 Depth=1
	s_or_saveexec_b64 s[18:19], s[18:19]
	v_mov_b32_e32 v61, v59
	s_xor_b64 exec, exec, s[18:19]
	s_cbranch_execz .LBB66_14
; %bb.13:                               ;   in Loop: Header=BB66_2 Depth=1
	ds_read_u8 v61, v62 offset:1
	s_waitcnt lgkmcnt(1)
	v_mov_b32_e32 v60, v58
.LBB66_14:                              ;   in Loop: Header=BB66_2 Depth=1
	s_or_b64 exec, exec, s[18:19]
	v_add_u32_e32 v65, 1, v63
	v_add_u32_e32 v64, 1, v62
	v_cndmask_b32_e64 v63, v65, v63, s[16:17]
	v_cndmask_b32_e64 v62, v62, v64, s[16:17]
	v_cmp_ge_i32_e64 s[20:21], v63, v15
	s_waitcnt lgkmcnt(0)
	v_cmp_lt_i16_sdwa s[34:35], sext(v61), sext(v60) src0_sel:BYTE_0 src1_sel:BYTE_0
	v_cmp_lt_i32_e64 s[18:19], v62, v16
	s_or_b64 s[20:21], s[20:21], s[34:35]
	s_and_b64 s[18:19], s[18:19], s[20:21]
	s_xor_b64 s[20:21], s[18:19], -1
                                        ; implicit-def: $vgpr64
	s_and_saveexec_b64 s[34:35], s[20:21]
	s_xor_b64 s[20:21], exec, s[34:35]
	s_cbranch_execz .LBB66_16
; %bb.15:                               ;   in Loop: Header=BB66_2 Depth=1
	ds_read_u8 v64, v63 offset:1
.LBB66_16:                              ;   in Loop: Header=BB66_2 Depth=1
	s_or_saveexec_b64 s[20:21], s[20:21]
	v_mov_b32_e32 v65, v61
	s_xor_b64 exec, exec, s[20:21]
	s_cbranch_execz .LBB66_18
; %bb.17:                               ;   in Loop: Header=BB66_2 Depth=1
	ds_read_u8 v65, v62 offset:1
	s_waitcnt lgkmcnt(1)
	v_mov_b32_e32 v64, v60
.LBB66_18:                              ;   in Loop: Header=BB66_2 Depth=1
	s_or_b64 exec, exec, s[20:21]
	v_cndmask_b32_e64 v60, v60, v61, s[18:19]
	v_add_u32_e32 v61, 1, v62
	v_add_u32_e32 v66, 1, v63
	v_cndmask_b32_e64 v61, v62, v61, s[18:19]
	v_cndmask_b32_e64 v62, v66, v63, s[18:19]
	;; [unrolled: 1-line block ×3, first 2 shown]
	v_cmp_ge_i32_e64 s[16:17], v62, v15
	s_waitcnt lgkmcnt(0)
	v_cmp_lt_i16_sdwa s[18:19], sext(v65), sext(v64) src0_sel:BYTE_0 src1_sel:BYTE_0
	v_cndmask_b32_e64 v56, v56, v57, s[14:15]
	v_cmp_lt_i32_e64 s[14:15], v61, v16
	s_or_b64 s[16:17], s[16:17], s[18:19]
	s_and_b64 s[14:15], s[14:15], s[16:17]
	v_cndmask_b32_e64 v57, v64, v65, s[14:15]
	s_barrier
	ds_write_b8 v2, v56
	ds_write_b8 v2, v58 offset:1
	ds_write_b8 v2, v60 offset:2
	;; [unrolled: 1-line block ×3, first 2 shown]
	v_mov_b32_e32 v56, v39
	s_waitcnt lgkmcnt(0)
	s_barrier
	s_and_saveexec_b64 s[16:17], s[0:1]
	s_cbranch_execz .LBB66_22
; %bb.19:                               ;   in Loop: Header=BB66_2 Depth=1
	s_mov_b64 s[18:19], 0
	v_mov_b32_e32 v56, v39
	v_mov_b32_e32 v57, v33
.LBB66_20:                              ;   Parent Loop BB66_2 Depth=1
                                        ; =>  This Inner Loop Header: Depth=2
	v_sub_u32_e32 v58, v57, v56
	v_lshrrev_b32_e32 v59, 31, v58
	v_add_u32_e32 v58, v58, v59
	v_ashrrev_i32_e32 v58, 1, v58
	v_add_u32_e32 v58, v58, v56
	v_not_b32_e32 v60, v58
	v_add_u32_e32 v59, v5, v58
	v_add3_u32 v60, v6, v60, v17
	ds_read_i8 v59, v59
	ds_read_i8 v60, v60
	v_add_u32_e32 v61, 1, v58
	s_waitcnt lgkmcnt(0)
	v_cmp_lt_i16_e64 s[14:15], v60, v59
	s_nop 1
	v_cndmask_b32_e64 v57, v57, v58, s[14:15]
	v_cndmask_b32_e64 v56, v61, v56, s[14:15]
	v_cmp_ge_i32_e64 s[14:15], v56, v57
	s_or_b64 s[18:19], s[14:15], s[18:19]
	s_andn2_b64 exec, exec, s[18:19]
	s_cbranch_execnz .LBB66_20
; %bb.21:                               ;   in Loop: Header=BB66_2 Depth=1
	s_or_b64 exec, exec, s[18:19]
.LBB66_22:                              ;   in Loop: Header=BB66_2 Depth=1
	s_or_b64 exec, exec, s[16:17]
	v_add_u32_e32 v60, v56, v5
	v_sub_u32_e32 v61, v28, v56
	ds_read_u8 v56, v60
	ds_read_u8 v57, v61
	v_cmp_le_i32_e64 s[16:17], v17, v60
	v_cmp_gt_i32_e64 s[14:15], v18, v61
                                        ; implicit-def: $vgpr58
	s_waitcnt lgkmcnt(1)
	v_bfe_i32 v56, v56, 0, 8
	s_waitcnt lgkmcnt(0)
	v_bfe_i32 v57, v57, 0, 8
	v_cmp_lt_i16_e64 s[18:19], v57, v56
	s_or_b64 s[16:17], s[16:17], s[18:19]
	s_and_b64 s[14:15], s[14:15], s[16:17]
	s_xor_b64 s[16:17], s[14:15], -1
	s_and_saveexec_b64 s[18:19], s[16:17]
	s_xor_b64 s[16:17], exec, s[18:19]
	s_cbranch_execz .LBB66_24
; %bb.23:                               ;   in Loop: Header=BB66_2 Depth=1
	ds_read_u8 v58, v60 offset:1
.LBB66_24:                              ;   in Loop: Header=BB66_2 Depth=1
	s_or_saveexec_b64 s[16:17], s[16:17]
	v_mov_b32_e32 v59, v57
	s_xor_b64 exec, exec, s[16:17]
	s_cbranch_execz .LBB66_26
; %bb.25:                               ;   in Loop: Header=BB66_2 Depth=1
	ds_read_u8 v59, v61 offset:1
	s_waitcnt lgkmcnt(1)
	v_mov_b32_e32 v58, v56
.LBB66_26:                              ;   in Loop: Header=BB66_2 Depth=1
	s_or_b64 exec, exec, s[16:17]
	v_add_u32_e32 v63, 1, v60
	v_add_u32_e32 v62, 1, v61
	v_cndmask_b32_e64 v63, v63, v60, s[14:15]
	v_cndmask_b32_e64 v62, v61, v62, s[14:15]
	v_cmp_ge_i32_e64 s[18:19], v63, v17
	s_waitcnt lgkmcnt(0)
	v_cmp_lt_i16_sdwa s[20:21], sext(v59), sext(v58) src0_sel:BYTE_0 src1_sel:BYTE_0
	v_cmp_lt_i32_e64 s[16:17], v62, v18
	s_or_b64 s[18:19], s[18:19], s[20:21]
	s_and_b64 s[16:17], s[16:17], s[18:19]
	s_xor_b64 s[18:19], s[16:17], -1
                                        ; implicit-def: $vgpr60
	s_and_saveexec_b64 s[20:21], s[18:19]
	s_xor_b64 s[18:19], exec, s[20:21]
	s_cbranch_execz .LBB66_28
; %bb.27:                               ;   in Loop: Header=BB66_2 Depth=1
	ds_read_u8 v60, v63 offset:1
.LBB66_28:                              ;   in Loop: Header=BB66_2 Depth=1
	s_or_saveexec_b64 s[18:19], s[18:19]
	v_mov_b32_e32 v61, v59
	s_xor_b64 exec, exec, s[18:19]
	s_cbranch_execz .LBB66_30
; %bb.29:                               ;   in Loop: Header=BB66_2 Depth=1
	ds_read_u8 v61, v62 offset:1
	s_waitcnt lgkmcnt(1)
	v_mov_b32_e32 v60, v58
.LBB66_30:                              ;   in Loop: Header=BB66_2 Depth=1
	s_or_b64 exec, exec, s[18:19]
	v_add_u32_e32 v65, 1, v63
	v_add_u32_e32 v64, 1, v62
	v_cndmask_b32_e64 v63, v65, v63, s[16:17]
	v_cndmask_b32_e64 v62, v62, v64, s[16:17]
	v_cmp_ge_i32_e64 s[20:21], v63, v17
	s_waitcnt lgkmcnt(0)
	v_cmp_lt_i16_sdwa s[34:35], sext(v61), sext(v60) src0_sel:BYTE_0 src1_sel:BYTE_0
	v_cmp_lt_i32_e64 s[18:19], v62, v18
	s_or_b64 s[20:21], s[20:21], s[34:35]
	s_and_b64 s[18:19], s[18:19], s[20:21]
	s_xor_b64 s[20:21], s[18:19], -1
                                        ; implicit-def: $vgpr64
	s_and_saveexec_b64 s[34:35], s[20:21]
	s_xor_b64 s[20:21], exec, s[34:35]
	s_cbranch_execz .LBB66_32
; %bb.31:                               ;   in Loop: Header=BB66_2 Depth=1
	ds_read_u8 v64, v63 offset:1
.LBB66_32:                              ;   in Loop: Header=BB66_2 Depth=1
	s_or_saveexec_b64 s[20:21], s[20:21]
	v_mov_b32_e32 v65, v61
	s_xor_b64 exec, exec, s[20:21]
	s_cbranch_execz .LBB66_34
; %bb.33:                               ;   in Loop: Header=BB66_2 Depth=1
	ds_read_u8 v65, v62 offset:1
	s_waitcnt lgkmcnt(1)
	v_mov_b32_e32 v64, v60
.LBB66_34:                              ;   in Loop: Header=BB66_2 Depth=1
	s_or_b64 exec, exec, s[20:21]
	v_cndmask_b32_e64 v60, v60, v61, s[18:19]
	v_add_u32_e32 v61, 1, v62
	v_add_u32_e32 v66, 1, v63
	v_cndmask_b32_e64 v61, v62, v61, s[18:19]
	v_cndmask_b32_e64 v62, v66, v63, s[18:19]
	v_cndmask_b32_e64 v58, v58, v59, s[16:17]
	v_cmp_ge_i32_e64 s[16:17], v62, v17
	s_waitcnt lgkmcnt(0)
	v_cmp_lt_i16_sdwa s[18:19], sext(v65), sext(v64) src0_sel:BYTE_0 src1_sel:BYTE_0
	v_cndmask_b32_e64 v56, v56, v57, s[14:15]
	v_cmp_lt_i32_e64 s[14:15], v61, v18
	s_or_b64 s[16:17], s[16:17], s[18:19]
	s_and_b64 s[14:15], s[14:15], s[16:17]
	v_cndmask_b32_e64 v57, v64, v65, s[14:15]
	s_barrier
	ds_write_b8 v2, v56
	ds_write_b8 v2, v58 offset:1
	ds_write_b8 v2, v60 offset:2
	;; [unrolled: 1-line block ×3, first 2 shown]
	v_mov_b32_e32 v56, v40
	s_waitcnt lgkmcnt(0)
	s_barrier
	s_and_saveexec_b64 s[16:17], s[2:3]
	s_cbranch_execz .LBB66_38
; %bb.35:                               ;   in Loop: Header=BB66_2 Depth=1
	s_mov_b64 s[18:19], 0
	v_mov_b32_e32 v56, v40
	v_mov_b32_e32 v57, v34
.LBB66_36:                              ;   Parent Loop BB66_2 Depth=1
                                        ; =>  This Inner Loop Header: Depth=2
	v_sub_u32_e32 v58, v57, v56
	v_lshrrev_b32_e32 v59, 31, v58
	v_add_u32_e32 v58, v58, v59
	v_ashrrev_i32_e32 v58, 1, v58
	v_add_u32_e32 v58, v58, v56
	v_not_b32_e32 v60, v58
	v_add_u32_e32 v59, v7, v58
	v_add3_u32 v60, v8, v60, v19
	ds_read_i8 v59, v59
	ds_read_i8 v60, v60
	v_add_u32_e32 v61, 1, v58
	s_waitcnt lgkmcnt(0)
	v_cmp_lt_i16_e64 s[14:15], v60, v59
	s_nop 1
	v_cndmask_b32_e64 v57, v57, v58, s[14:15]
	v_cndmask_b32_e64 v56, v61, v56, s[14:15]
	v_cmp_ge_i32_e64 s[14:15], v56, v57
	s_or_b64 s[18:19], s[14:15], s[18:19]
	s_andn2_b64 exec, exec, s[18:19]
	s_cbranch_execnz .LBB66_36
; %bb.37:                               ;   in Loop: Header=BB66_2 Depth=1
	s_or_b64 exec, exec, s[18:19]
.LBB66_38:                              ;   in Loop: Header=BB66_2 Depth=1
	s_or_b64 exec, exec, s[16:17]
	v_add_u32_e32 v60, v56, v7
	v_sub_u32_e32 v61, v29, v56
	ds_read_u8 v56, v60
	ds_read_u8 v57, v61
	v_cmp_le_i32_e64 s[16:17], v19, v60
	v_cmp_gt_i32_e64 s[14:15], v20, v61
                                        ; implicit-def: $vgpr58
	s_waitcnt lgkmcnt(1)
	v_bfe_i32 v56, v56, 0, 8
	s_waitcnt lgkmcnt(0)
	v_bfe_i32 v57, v57, 0, 8
	v_cmp_lt_i16_e64 s[18:19], v57, v56
	s_or_b64 s[16:17], s[16:17], s[18:19]
	s_and_b64 s[14:15], s[14:15], s[16:17]
	s_xor_b64 s[16:17], s[14:15], -1
	s_and_saveexec_b64 s[18:19], s[16:17]
	s_xor_b64 s[16:17], exec, s[18:19]
	s_cbranch_execz .LBB66_40
; %bb.39:                               ;   in Loop: Header=BB66_2 Depth=1
	ds_read_u8 v58, v60 offset:1
.LBB66_40:                              ;   in Loop: Header=BB66_2 Depth=1
	s_or_saveexec_b64 s[16:17], s[16:17]
	v_mov_b32_e32 v59, v57
	s_xor_b64 exec, exec, s[16:17]
	s_cbranch_execz .LBB66_42
; %bb.41:                               ;   in Loop: Header=BB66_2 Depth=1
	ds_read_u8 v59, v61 offset:1
	s_waitcnt lgkmcnt(1)
	v_mov_b32_e32 v58, v56
.LBB66_42:                              ;   in Loop: Header=BB66_2 Depth=1
	s_or_b64 exec, exec, s[16:17]
	v_add_u32_e32 v63, 1, v60
	v_add_u32_e32 v62, 1, v61
	v_cndmask_b32_e64 v63, v63, v60, s[14:15]
	v_cndmask_b32_e64 v62, v61, v62, s[14:15]
	v_cmp_ge_i32_e64 s[18:19], v63, v19
	s_waitcnt lgkmcnt(0)
	v_cmp_lt_i16_sdwa s[20:21], sext(v59), sext(v58) src0_sel:BYTE_0 src1_sel:BYTE_0
	v_cmp_lt_i32_e64 s[16:17], v62, v20
	s_or_b64 s[18:19], s[18:19], s[20:21]
	s_and_b64 s[16:17], s[16:17], s[18:19]
	s_xor_b64 s[18:19], s[16:17], -1
                                        ; implicit-def: $vgpr60
	s_and_saveexec_b64 s[20:21], s[18:19]
	s_xor_b64 s[18:19], exec, s[20:21]
	s_cbranch_execz .LBB66_44
; %bb.43:                               ;   in Loop: Header=BB66_2 Depth=1
	ds_read_u8 v60, v63 offset:1
.LBB66_44:                              ;   in Loop: Header=BB66_2 Depth=1
	s_or_saveexec_b64 s[18:19], s[18:19]
	v_mov_b32_e32 v61, v59
	s_xor_b64 exec, exec, s[18:19]
	s_cbranch_execz .LBB66_46
; %bb.45:                               ;   in Loop: Header=BB66_2 Depth=1
	ds_read_u8 v61, v62 offset:1
	s_waitcnt lgkmcnt(1)
	v_mov_b32_e32 v60, v58
.LBB66_46:                              ;   in Loop: Header=BB66_2 Depth=1
	s_or_b64 exec, exec, s[18:19]
	v_add_u32_e32 v65, 1, v63
	v_add_u32_e32 v64, 1, v62
	v_cndmask_b32_e64 v63, v65, v63, s[16:17]
	v_cndmask_b32_e64 v62, v62, v64, s[16:17]
	v_cmp_ge_i32_e64 s[20:21], v63, v19
	s_waitcnt lgkmcnt(0)
	v_cmp_lt_i16_sdwa s[34:35], sext(v61), sext(v60) src0_sel:BYTE_0 src1_sel:BYTE_0
	v_cmp_lt_i32_e64 s[18:19], v62, v20
	s_or_b64 s[20:21], s[20:21], s[34:35]
	s_and_b64 s[18:19], s[18:19], s[20:21]
	s_xor_b64 s[20:21], s[18:19], -1
                                        ; implicit-def: $vgpr64
	s_and_saveexec_b64 s[34:35], s[20:21]
	s_xor_b64 s[20:21], exec, s[34:35]
	s_cbranch_execz .LBB66_48
; %bb.47:                               ;   in Loop: Header=BB66_2 Depth=1
	ds_read_u8 v64, v63 offset:1
.LBB66_48:                              ;   in Loop: Header=BB66_2 Depth=1
	s_or_saveexec_b64 s[20:21], s[20:21]
	v_mov_b32_e32 v65, v61
	s_xor_b64 exec, exec, s[20:21]
	s_cbranch_execz .LBB66_50
; %bb.49:                               ;   in Loop: Header=BB66_2 Depth=1
	ds_read_u8 v65, v62 offset:1
	s_waitcnt lgkmcnt(1)
	v_mov_b32_e32 v64, v60
.LBB66_50:                              ;   in Loop: Header=BB66_2 Depth=1
	s_or_b64 exec, exec, s[20:21]
	v_cndmask_b32_e64 v60, v60, v61, s[18:19]
	v_add_u32_e32 v61, 1, v62
	v_add_u32_e32 v66, 1, v63
	v_cndmask_b32_e64 v61, v62, v61, s[18:19]
	v_cndmask_b32_e64 v62, v66, v63, s[18:19]
	;; [unrolled: 1-line block ×3, first 2 shown]
	v_cmp_ge_i32_e64 s[16:17], v62, v19
	s_waitcnt lgkmcnt(0)
	v_cmp_lt_i16_sdwa s[18:19], sext(v65), sext(v64) src0_sel:BYTE_0 src1_sel:BYTE_0
	v_cndmask_b32_e64 v56, v56, v57, s[14:15]
	v_cmp_lt_i32_e64 s[14:15], v61, v20
	s_or_b64 s[16:17], s[16:17], s[18:19]
	s_and_b64 s[14:15], s[14:15], s[16:17]
	v_cndmask_b32_e64 v57, v64, v65, s[14:15]
	s_barrier
	ds_write_b8 v2, v56
	ds_write_b8 v2, v58 offset:1
	ds_write_b8 v2, v60 offset:2
	;; [unrolled: 1-line block ×3, first 2 shown]
	v_mov_b32_e32 v56, v41
	s_waitcnt lgkmcnt(0)
	s_barrier
	s_and_saveexec_b64 s[16:17], s[4:5]
	s_cbranch_execz .LBB66_54
; %bb.51:                               ;   in Loop: Header=BB66_2 Depth=1
	s_mov_b64 s[18:19], 0
	v_mov_b32_e32 v56, v41
	v_mov_b32_e32 v57, v35
.LBB66_52:                              ;   Parent Loop BB66_2 Depth=1
                                        ; =>  This Inner Loop Header: Depth=2
	v_sub_u32_e32 v58, v57, v56
	v_lshrrev_b32_e32 v59, 31, v58
	v_add_u32_e32 v58, v58, v59
	v_ashrrev_i32_e32 v58, 1, v58
	v_add_u32_e32 v58, v58, v56
	v_not_b32_e32 v60, v58
	v_add_u32_e32 v59, v9, v58
	v_add3_u32 v60, v10, v60, v21
	ds_read_i8 v59, v59
	ds_read_i8 v60, v60
	v_add_u32_e32 v61, 1, v58
	s_waitcnt lgkmcnt(0)
	v_cmp_lt_i16_e64 s[14:15], v60, v59
	s_nop 1
	v_cndmask_b32_e64 v57, v57, v58, s[14:15]
	v_cndmask_b32_e64 v56, v61, v56, s[14:15]
	v_cmp_ge_i32_e64 s[14:15], v56, v57
	s_or_b64 s[18:19], s[14:15], s[18:19]
	s_andn2_b64 exec, exec, s[18:19]
	s_cbranch_execnz .LBB66_52
; %bb.53:                               ;   in Loop: Header=BB66_2 Depth=1
	s_or_b64 exec, exec, s[18:19]
.LBB66_54:                              ;   in Loop: Header=BB66_2 Depth=1
	s_or_b64 exec, exec, s[16:17]
	v_add_u32_e32 v60, v56, v9
	v_sub_u32_e32 v61, v30, v56
	ds_read_u8 v56, v60
	ds_read_u8 v57, v61
	v_cmp_le_i32_e64 s[16:17], v21, v60
	v_cmp_gt_i32_e64 s[14:15], v22, v61
                                        ; implicit-def: $vgpr58
	s_waitcnt lgkmcnt(1)
	v_bfe_i32 v56, v56, 0, 8
	s_waitcnt lgkmcnt(0)
	v_bfe_i32 v57, v57, 0, 8
	v_cmp_lt_i16_e64 s[18:19], v57, v56
	s_or_b64 s[16:17], s[16:17], s[18:19]
	s_and_b64 s[14:15], s[14:15], s[16:17]
	s_xor_b64 s[16:17], s[14:15], -1
	s_and_saveexec_b64 s[18:19], s[16:17]
	s_xor_b64 s[16:17], exec, s[18:19]
	s_cbranch_execz .LBB66_56
; %bb.55:                               ;   in Loop: Header=BB66_2 Depth=1
	ds_read_u8 v58, v60 offset:1
.LBB66_56:                              ;   in Loop: Header=BB66_2 Depth=1
	s_or_saveexec_b64 s[16:17], s[16:17]
	v_mov_b32_e32 v59, v57
	s_xor_b64 exec, exec, s[16:17]
	s_cbranch_execz .LBB66_58
; %bb.57:                               ;   in Loop: Header=BB66_2 Depth=1
	ds_read_u8 v59, v61 offset:1
	s_waitcnt lgkmcnt(1)
	v_mov_b32_e32 v58, v56
.LBB66_58:                              ;   in Loop: Header=BB66_2 Depth=1
	s_or_b64 exec, exec, s[16:17]
	v_add_u32_e32 v63, 1, v60
	v_add_u32_e32 v62, 1, v61
	v_cndmask_b32_e64 v63, v63, v60, s[14:15]
	v_cndmask_b32_e64 v62, v61, v62, s[14:15]
	v_cmp_ge_i32_e64 s[18:19], v63, v21
	s_waitcnt lgkmcnt(0)
	v_cmp_lt_i16_sdwa s[20:21], sext(v59), sext(v58) src0_sel:BYTE_0 src1_sel:BYTE_0
	v_cmp_lt_i32_e64 s[16:17], v62, v22
	s_or_b64 s[18:19], s[18:19], s[20:21]
	s_and_b64 s[16:17], s[16:17], s[18:19]
	s_xor_b64 s[18:19], s[16:17], -1
                                        ; implicit-def: $vgpr60
	s_and_saveexec_b64 s[20:21], s[18:19]
	s_xor_b64 s[18:19], exec, s[20:21]
	s_cbranch_execz .LBB66_60
; %bb.59:                               ;   in Loop: Header=BB66_2 Depth=1
	ds_read_u8 v60, v63 offset:1
.LBB66_60:                              ;   in Loop: Header=BB66_2 Depth=1
	s_or_saveexec_b64 s[18:19], s[18:19]
	v_mov_b32_e32 v61, v59
	s_xor_b64 exec, exec, s[18:19]
	s_cbranch_execz .LBB66_62
; %bb.61:                               ;   in Loop: Header=BB66_2 Depth=1
	ds_read_u8 v61, v62 offset:1
	s_waitcnt lgkmcnt(1)
	v_mov_b32_e32 v60, v58
.LBB66_62:                              ;   in Loop: Header=BB66_2 Depth=1
	s_or_b64 exec, exec, s[18:19]
	v_add_u32_e32 v65, 1, v63
	v_add_u32_e32 v64, 1, v62
	v_cndmask_b32_e64 v63, v65, v63, s[16:17]
	v_cndmask_b32_e64 v62, v62, v64, s[16:17]
	v_cmp_ge_i32_e64 s[20:21], v63, v21
	s_waitcnt lgkmcnt(0)
	v_cmp_lt_i16_sdwa s[34:35], sext(v61), sext(v60) src0_sel:BYTE_0 src1_sel:BYTE_0
	v_cmp_lt_i32_e64 s[18:19], v62, v22
	s_or_b64 s[20:21], s[20:21], s[34:35]
	s_and_b64 s[18:19], s[18:19], s[20:21]
	s_xor_b64 s[20:21], s[18:19], -1
                                        ; implicit-def: $vgpr64
	s_and_saveexec_b64 s[34:35], s[20:21]
	s_xor_b64 s[20:21], exec, s[34:35]
	s_cbranch_execz .LBB66_64
; %bb.63:                               ;   in Loop: Header=BB66_2 Depth=1
	ds_read_u8 v64, v63 offset:1
.LBB66_64:                              ;   in Loop: Header=BB66_2 Depth=1
	s_or_saveexec_b64 s[20:21], s[20:21]
	v_mov_b32_e32 v65, v61
	s_xor_b64 exec, exec, s[20:21]
	s_cbranch_execz .LBB66_66
; %bb.65:                               ;   in Loop: Header=BB66_2 Depth=1
	ds_read_u8 v65, v62 offset:1
	s_waitcnt lgkmcnt(1)
	v_mov_b32_e32 v64, v60
.LBB66_66:                              ;   in Loop: Header=BB66_2 Depth=1
	s_or_b64 exec, exec, s[20:21]
	v_cndmask_b32_e64 v60, v60, v61, s[18:19]
	v_add_u32_e32 v61, 1, v62
	v_add_u32_e32 v66, 1, v63
	v_cndmask_b32_e64 v61, v62, v61, s[18:19]
	v_cndmask_b32_e64 v62, v66, v63, s[18:19]
	;; [unrolled: 1-line block ×3, first 2 shown]
	v_cmp_ge_i32_e64 s[16:17], v62, v21
	s_waitcnt lgkmcnt(0)
	v_cmp_lt_i16_sdwa s[18:19], sext(v65), sext(v64) src0_sel:BYTE_0 src1_sel:BYTE_0
	v_cndmask_b32_e64 v56, v56, v57, s[14:15]
	v_cmp_lt_i32_e64 s[14:15], v61, v22
	s_or_b64 s[16:17], s[16:17], s[18:19]
	s_and_b64 s[14:15], s[14:15], s[16:17]
	v_cndmask_b32_e64 v57, v64, v65, s[14:15]
	s_barrier
	ds_write_b8 v2, v56
	ds_write_b8 v2, v58 offset:1
	ds_write_b8 v2, v60 offset:2
	;; [unrolled: 1-line block ×3, first 2 shown]
	v_mov_b32_e32 v56, v42
	s_waitcnt lgkmcnt(0)
	s_barrier
	s_and_saveexec_b64 s[16:17], s[6:7]
	s_cbranch_execz .LBB66_70
; %bb.67:                               ;   in Loop: Header=BB66_2 Depth=1
	s_mov_b64 s[18:19], 0
	v_mov_b32_e32 v56, v42
	v_mov_b32_e32 v57, v36
.LBB66_68:                              ;   Parent Loop BB66_2 Depth=1
                                        ; =>  This Inner Loop Header: Depth=2
	v_sub_u32_e32 v58, v57, v56
	v_lshrrev_b32_e32 v59, 31, v58
	v_add_u32_e32 v58, v58, v59
	v_ashrrev_i32_e32 v58, 1, v58
	v_add_u32_e32 v58, v58, v56
	v_not_b32_e32 v60, v58
	v_add_u32_e32 v59, v11, v58
	v_add3_u32 v60, v12, v60, v23
	ds_read_i8 v59, v59
	ds_read_i8 v60, v60
	v_add_u32_e32 v61, 1, v58
	s_waitcnt lgkmcnt(0)
	v_cmp_lt_i16_e64 s[14:15], v60, v59
	s_nop 1
	v_cndmask_b32_e64 v57, v57, v58, s[14:15]
	v_cndmask_b32_e64 v56, v61, v56, s[14:15]
	v_cmp_ge_i32_e64 s[14:15], v56, v57
	s_or_b64 s[18:19], s[14:15], s[18:19]
	s_andn2_b64 exec, exec, s[18:19]
	s_cbranch_execnz .LBB66_68
; %bb.69:                               ;   in Loop: Header=BB66_2 Depth=1
	s_or_b64 exec, exec, s[18:19]
.LBB66_70:                              ;   in Loop: Header=BB66_2 Depth=1
	s_or_b64 exec, exec, s[16:17]
	v_add_u32_e32 v60, v56, v11
	v_sub_u32_e32 v61, v31, v56
	ds_read_u8 v56, v60
	ds_read_u8 v57, v61
	v_cmp_le_i32_e64 s[16:17], v23, v60
	v_cmp_gt_i32_e64 s[14:15], v24, v61
                                        ; implicit-def: $vgpr58
	s_waitcnt lgkmcnt(1)
	v_bfe_i32 v56, v56, 0, 8
	s_waitcnt lgkmcnt(0)
	v_bfe_i32 v57, v57, 0, 8
	v_cmp_lt_i16_e64 s[18:19], v57, v56
	s_or_b64 s[16:17], s[16:17], s[18:19]
	s_and_b64 s[14:15], s[14:15], s[16:17]
	s_xor_b64 s[16:17], s[14:15], -1
	s_and_saveexec_b64 s[18:19], s[16:17]
	s_xor_b64 s[16:17], exec, s[18:19]
	s_cbranch_execz .LBB66_72
; %bb.71:                               ;   in Loop: Header=BB66_2 Depth=1
	ds_read_u8 v58, v60 offset:1
.LBB66_72:                              ;   in Loop: Header=BB66_2 Depth=1
	s_or_saveexec_b64 s[16:17], s[16:17]
	v_mov_b32_e32 v59, v57
	s_xor_b64 exec, exec, s[16:17]
	s_cbranch_execz .LBB66_74
; %bb.73:                               ;   in Loop: Header=BB66_2 Depth=1
	ds_read_u8 v59, v61 offset:1
	s_waitcnt lgkmcnt(1)
	v_mov_b32_e32 v58, v56
.LBB66_74:                              ;   in Loop: Header=BB66_2 Depth=1
	s_or_b64 exec, exec, s[16:17]
	v_add_u32_e32 v63, 1, v60
	v_add_u32_e32 v62, 1, v61
	v_cndmask_b32_e64 v63, v63, v60, s[14:15]
	v_cndmask_b32_e64 v62, v61, v62, s[14:15]
	v_cmp_ge_i32_e64 s[18:19], v63, v23
	s_waitcnt lgkmcnt(0)
	v_cmp_lt_i16_sdwa s[20:21], sext(v59), sext(v58) src0_sel:BYTE_0 src1_sel:BYTE_0
	v_cmp_lt_i32_e64 s[16:17], v62, v24
	s_or_b64 s[18:19], s[18:19], s[20:21]
	s_and_b64 s[16:17], s[16:17], s[18:19]
	s_xor_b64 s[18:19], s[16:17], -1
                                        ; implicit-def: $vgpr60
	s_and_saveexec_b64 s[20:21], s[18:19]
	s_xor_b64 s[18:19], exec, s[20:21]
	s_cbranch_execz .LBB66_76
; %bb.75:                               ;   in Loop: Header=BB66_2 Depth=1
	ds_read_u8 v60, v63 offset:1
.LBB66_76:                              ;   in Loop: Header=BB66_2 Depth=1
	s_or_saveexec_b64 s[18:19], s[18:19]
	v_mov_b32_e32 v61, v59
	s_xor_b64 exec, exec, s[18:19]
	s_cbranch_execz .LBB66_78
; %bb.77:                               ;   in Loop: Header=BB66_2 Depth=1
	ds_read_u8 v61, v62 offset:1
	s_waitcnt lgkmcnt(1)
	v_mov_b32_e32 v60, v58
.LBB66_78:                              ;   in Loop: Header=BB66_2 Depth=1
	s_or_b64 exec, exec, s[18:19]
	v_add_u32_e32 v65, 1, v63
	v_add_u32_e32 v64, 1, v62
	v_cndmask_b32_e64 v63, v65, v63, s[16:17]
	v_cndmask_b32_e64 v62, v62, v64, s[16:17]
	v_cmp_ge_i32_e64 s[20:21], v63, v23
	s_waitcnt lgkmcnt(0)
	v_cmp_lt_i16_sdwa s[34:35], sext(v61), sext(v60) src0_sel:BYTE_0 src1_sel:BYTE_0
	v_cmp_lt_i32_e64 s[18:19], v62, v24
	s_or_b64 s[20:21], s[20:21], s[34:35]
	s_and_b64 s[18:19], s[18:19], s[20:21]
	s_xor_b64 s[20:21], s[18:19], -1
                                        ; implicit-def: $vgpr64
	s_and_saveexec_b64 s[34:35], s[20:21]
	s_xor_b64 s[20:21], exec, s[34:35]
	s_cbranch_execz .LBB66_80
; %bb.79:                               ;   in Loop: Header=BB66_2 Depth=1
	ds_read_u8 v64, v63 offset:1
.LBB66_80:                              ;   in Loop: Header=BB66_2 Depth=1
	s_or_saveexec_b64 s[20:21], s[20:21]
	v_mov_b32_e32 v65, v61
	s_xor_b64 exec, exec, s[20:21]
	s_cbranch_execz .LBB66_82
; %bb.81:                               ;   in Loop: Header=BB66_2 Depth=1
	ds_read_u8 v65, v62 offset:1
	s_waitcnt lgkmcnt(1)
	v_mov_b32_e32 v64, v60
.LBB66_82:                              ;   in Loop: Header=BB66_2 Depth=1
	s_or_b64 exec, exec, s[20:21]
	v_cndmask_b32_e64 v60, v60, v61, s[18:19]
	v_add_u32_e32 v61, 1, v62
	v_add_u32_e32 v66, 1, v63
	v_cndmask_b32_e64 v61, v62, v61, s[18:19]
	v_cndmask_b32_e64 v62, v66, v63, s[18:19]
	;; [unrolled: 1-line block ×3, first 2 shown]
	v_cmp_ge_i32_e64 s[16:17], v62, v23
	s_waitcnt lgkmcnt(0)
	v_cmp_lt_i16_sdwa s[18:19], sext(v65), sext(v64) src0_sel:BYTE_0 src1_sel:BYTE_0
	v_cndmask_b32_e64 v56, v56, v57, s[14:15]
	v_cmp_lt_i32_e64 s[14:15], v61, v24
	s_or_b64 s[16:17], s[16:17], s[18:19]
	s_and_b64 s[14:15], s[14:15], s[16:17]
	v_cndmask_b32_e64 v57, v64, v65, s[14:15]
	s_barrier
	ds_write_b8 v2, v56
	ds_write_b8 v2, v58 offset:1
	ds_write_b8 v2, v60 offset:2
	;; [unrolled: 1-line block ×3, first 2 shown]
	v_mov_b32_e32 v56, v43
	s_waitcnt lgkmcnt(0)
	s_barrier
	s_and_saveexec_b64 s[16:17], s[8:9]
	s_cbranch_execz .LBB66_86
; %bb.83:                               ;   in Loop: Header=BB66_2 Depth=1
	s_mov_b64 s[18:19], 0
	v_mov_b32_e32 v56, v43
	v_mov_b32_e32 v57, v37
.LBB66_84:                              ;   Parent Loop BB66_2 Depth=1
                                        ; =>  This Inner Loop Header: Depth=2
	v_sub_u32_e32 v58, v57, v56
	v_lshrrev_b32_e32 v59, 31, v58
	v_add_u32_e32 v58, v58, v59
	v_ashrrev_i32_e32 v58, 1, v58
	v_add_u32_e32 v58, v58, v56
	v_not_b32_e32 v60, v58
	v_add_u32_e32 v59, v13, v58
	v_add3_u32 v60, v14, v60, v25
	ds_read_i8 v59, v59
	ds_read_i8 v60, v60
	v_add_u32_e32 v61, 1, v58
	s_waitcnt lgkmcnt(0)
	v_cmp_lt_i16_e64 s[14:15], v60, v59
	s_nop 1
	v_cndmask_b32_e64 v57, v57, v58, s[14:15]
	v_cndmask_b32_e64 v56, v61, v56, s[14:15]
	v_cmp_ge_i32_e64 s[14:15], v56, v57
	s_or_b64 s[18:19], s[14:15], s[18:19]
	s_andn2_b64 exec, exec, s[18:19]
	s_cbranch_execnz .LBB66_84
; %bb.85:                               ;   in Loop: Header=BB66_2 Depth=1
	s_or_b64 exec, exec, s[18:19]
.LBB66_86:                              ;   in Loop: Header=BB66_2 Depth=1
	s_or_b64 exec, exec, s[16:17]
	v_add_u32_e32 v60, v56, v13
	v_sub_u32_e32 v61, v44, v56
	ds_read_u8 v56, v60
	ds_read_u8 v57, v61
	v_cmp_le_i32_e64 s[16:17], v25, v60
	v_cmp_gt_i32_e64 s[14:15], v26, v61
                                        ; implicit-def: $vgpr58
	s_waitcnt lgkmcnt(1)
	v_bfe_i32 v56, v56, 0, 8
	s_waitcnt lgkmcnt(0)
	v_bfe_i32 v57, v57, 0, 8
	v_cmp_lt_i16_e64 s[18:19], v57, v56
	s_or_b64 s[16:17], s[16:17], s[18:19]
	s_and_b64 s[14:15], s[14:15], s[16:17]
	s_xor_b64 s[16:17], s[14:15], -1
	s_and_saveexec_b64 s[18:19], s[16:17]
	s_xor_b64 s[16:17], exec, s[18:19]
	s_cbranch_execz .LBB66_88
; %bb.87:                               ;   in Loop: Header=BB66_2 Depth=1
	ds_read_u8 v58, v60 offset:1
.LBB66_88:                              ;   in Loop: Header=BB66_2 Depth=1
	s_or_saveexec_b64 s[16:17], s[16:17]
	v_mov_b32_e32 v59, v57
	s_xor_b64 exec, exec, s[16:17]
	s_cbranch_execz .LBB66_90
; %bb.89:                               ;   in Loop: Header=BB66_2 Depth=1
	ds_read_u8 v59, v61 offset:1
	s_waitcnt lgkmcnt(1)
	v_mov_b32_e32 v58, v56
.LBB66_90:                              ;   in Loop: Header=BB66_2 Depth=1
	s_or_b64 exec, exec, s[16:17]
	v_add_u32_e32 v63, 1, v60
	v_add_u32_e32 v62, 1, v61
	v_cndmask_b32_e64 v63, v63, v60, s[14:15]
	v_cndmask_b32_e64 v62, v61, v62, s[14:15]
	v_cmp_ge_i32_e64 s[18:19], v63, v25
	s_waitcnt lgkmcnt(0)
	v_cmp_lt_i16_sdwa s[20:21], sext(v59), sext(v58) src0_sel:BYTE_0 src1_sel:BYTE_0
	v_cmp_lt_i32_e64 s[16:17], v62, v26
	s_or_b64 s[18:19], s[18:19], s[20:21]
	s_and_b64 s[16:17], s[16:17], s[18:19]
	s_xor_b64 s[18:19], s[16:17], -1
                                        ; implicit-def: $vgpr60
	s_and_saveexec_b64 s[20:21], s[18:19]
	s_xor_b64 s[18:19], exec, s[20:21]
	s_cbranch_execz .LBB66_92
; %bb.91:                               ;   in Loop: Header=BB66_2 Depth=1
	ds_read_u8 v60, v63 offset:1
.LBB66_92:                              ;   in Loop: Header=BB66_2 Depth=1
	s_or_saveexec_b64 s[18:19], s[18:19]
	v_mov_b32_e32 v61, v59
	s_xor_b64 exec, exec, s[18:19]
	s_cbranch_execz .LBB66_94
; %bb.93:                               ;   in Loop: Header=BB66_2 Depth=1
	ds_read_u8 v61, v62 offset:1
	s_waitcnt lgkmcnt(1)
	v_mov_b32_e32 v60, v58
.LBB66_94:                              ;   in Loop: Header=BB66_2 Depth=1
	s_or_b64 exec, exec, s[18:19]
	v_add_u32_e32 v65, 1, v63
	v_add_u32_e32 v64, 1, v62
	v_cndmask_b32_e64 v63, v65, v63, s[16:17]
	v_cndmask_b32_e64 v62, v62, v64, s[16:17]
	v_cmp_ge_i32_e64 s[20:21], v63, v25
	s_waitcnt lgkmcnt(0)
	v_cmp_lt_i16_sdwa s[34:35], sext(v61), sext(v60) src0_sel:BYTE_0 src1_sel:BYTE_0
	v_cmp_lt_i32_e64 s[18:19], v62, v26
	s_or_b64 s[20:21], s[20:21], s[34:35]
	s_and_b64 s[18:19], s[18:19], s[20:21]
	s_xor_b64 s[20:21], s[18:19], -1
                                        ; implicit-def: $vgpr64
	s_and_saveexec_b64 s[34:35], s[20:21]
	s_xor_b64 s[20:21], exec, s[34:35]
	s_cbranch_execz .LBB66_96
; %bb.95:                               ;   in Loop: Header=BB66_2 Depth=1
	ds_read_u8 v64, v63 offset:1
.LBB66_96:                              ;   in Loop: Header=BB66_2 Depth=1
	s_or_saveexec_b64 s[20:21], s[20:21]
	v_mov_b32_e32 v65, v61
	s_xor_b64 exec, exec, s[20:21]
	s_cbranch_execz .LBB66_98
; %bb.97:                               ;   in Loop: Header=BB66_2 Depth=1
	ds_read_u8 v65, v62 offset:1
	s_waitcnt lgkmcnt(1)
	v_mov_b32_e32 v64, v60
.LBB66_98:                              ;   in Loop: Header=BB66_2 Depth=1
	s_or_b64 exec, exec, s[20:21]
	v_cndmask_b32_e64 v60, v60, v61, s[18:19]
	v_add_u32_e32 v61, 1, v62
	v_add_u32_e32 v66, 1, v63
	v_cndmask_b32_e64 v61, v62, v61, s[18:19]
	v_cndmask_b32_e64 v62, v66, v63, s[18:19]
	v_cndmask_b32_e64 v58, v58, v59, s[16:17]
	v_cmp_ge_i32_e64 s[16:17], v62, v25
	s_waitcnt lgkmcnt(0)
	v_cmp_lt_i16_sdwa s[18:19], sext(v65), sext(v64) src0_sel:BYTE_0 src1_sel:BYTE_0
	v_cndmask_b32_e64 v56, v56, v57, s[14:15]
	v_cmp_lt_i32_e64 s[14:15], v61, v26
	s_or_b64 s[16:17], s[16:17], s[18:19]
	s_and_b64 s[14:15], s[14:15], s[16:17]
	v_cndmask_b32_e64 v57, v64, v65, s[14:15]
	s_barrier
	ds_write_b8 v2, v56
	ds_write_b8 v2, v58 offset:1
	ds_write_b8 v2, v60 offset:2
	;; [unrolled: 1-line block ×3, first 2 shown]
	v_mov_b32_e32 v56, v50
	s_waitcnt lgkmcnt(0)
	s_barrier
	s_and_saveexec_b64 s[16:17], s[10:11]
	s_cbranch_execz .LBB66_102
; %bb.99:                               ;   in Loop: Header=BB66_2 Depth=1
	s_mov_b64 s[18:19], 0
	v_mov_b32_e32 v56, v50
	v_mov_b32_e32 v57, v51
.LBB66_100:                             ;   Parent Loop BB66_2 Depth=1
                                        ; =>  This Inner Loop Header: Depth=2
	v_sub_u32_e32 v58, v57, v56
	v_lshrrev_b32_e32 v59, 31, v58
	v_add_u32_e32 v58, v58, v59
	v_ashrrev_i32_e32 v58, 1, v58
	v_add_u32_e32 v58, v58, v56
	v_not_b32_e32 v60, v58
	v_add_u32_e32 v59, v46, v58
	v_add3_u32 v60, v47, v60, v48
	ds_read_i8 v59, v59
	ds_read_i8 v60, v60
	v_add_u32_e32 v61, 1, v58
	s_waitcnt lgkmcnt(0)
	v_cmp_lt_i16_e64 s[14:15], v60, v59
	s_nop 1
	v_cndmask_b32_e64 v57, v57, v58, s[14:15]
	v_cndmask_b32_e64 v56, v61, v56, s[14:15]
	v_cmp_ge_i32_e64 s[14:15], v56, v57
	s_or_b64 s[18:19], s[14:15], s[18:19]
	s_andn2_b64 exec, exec, s[18:19]
	s_cbranch_execnz .LBB66_100
; %bb.101:                              ;   in Loop: Header=BB66_2 Depth=1
	s_or_b64 exec, exec, s[18:19]
.LBB66_102:                             ;   in Loop: Header=BB66_2 Depth=1
	s_or_b64 exec, exec, s[16:17]
	v_add_u32_e32 v60, v56, v46
	v_sub_u32_e32 v61, v52, v56
	ds_read_u8 v56, v60
	ds_read_u8 v57, v61
	v_cmp_le_i32_e64 s[16:17], v48, v60
	v_cmp_gt_i32_e64 s[14:15], v49, v61
                                        ; implicit-def: $vgpr58
	s_waitcnt lgkmcnt(1)
	v_bfe_i32 v56, v56, 0, 8
	s_waitcnt lgkmcnt(0)
	v_bfe_i32 v57, v57, 0, 8
	v_cmp_lt_i16_e64 s[18:19], v57, v56
	s_or_b64 s[16:17], s[16:17], s[18:19]
	s_and_b64 s[14:15], s[14:15], s[16:17]
	s_xor_b64 s[16:17], s[14:15], -1
	s_and_saveexec_b64 s[18:19], s[16:17]
	s_xor_b64 s[16:17], exec, s[18:19]
	s_cbranch_execz .LBB66_104
; %bb.103:                              ;   in Loop: Header=BB66_2 Depth=1
	ds_read_u8 v58, v60 offset:1
.LBB66_104:                             ;   in Loop: Header=BB66_2 Depth=1
	s_or_saveexec_b64 s[16:17], s[16:17]
	v_mov_b32_e32 v59, v57
	s_xor_b64 exec, exec, s[16:17]
	s_cbranch_execz .LBB66_106
; %bb.105:                              ;   in Loop: Header=BB66_2 Depth=1
	ds_read_u8 v59, v61 offset:1
	s_waitcnt lgkmcnt(1)
	v_mov_b32_e32 v58, v56
.LBB66_106:                             ;   in Loop: Header=BB66_2 Depth=1
	s_or_b64 exec, exec, s[16:17]
	v_add_u32_e32 v63, 1, v60
	v_add_u32_e32 v62, 1, v61
	v_cndmask_b32_e64 v63, v63, v60, s[14:15]
	v_cndmask_b32_e64 v62, v61, v62, s[14:15]
	v_cmp_ge_i32_e64 s[18:19], v63, v48
	s_waitcnt lgkmcnt(0)
	v_cmp_lt_i16_sdwa s[20:21], sext(v59), sext(v58) src0_sel:BYTE_0 src1_sel:BYTE_0
	v_cmp_lt_i32_e64 s[16:17], v62, v49
	s_or_b64 s[18:19], s[18:19], s[20:21]
	s_and_b64 s[16:17], s[16:17], s[18:19]
	s_xor_b64 s[18:19], s[16:17], -1
                                        ; implicit-def: $vgpr60
	s_and_saveexec_b64 s[20:21], s[18:19]
	s_xor_b64 s[18:19], exec, s[20:21]
	s_cbranch_execz .LBB66_108
; %bb.107:                              ;   in Loop: Header=BB66_2 Depth=1
	ds_read_u8 v60, v63 offset:1
.LBB66_108:                             ;   in Loop: Header=BB66_2 Depth=1
	s_or_saveexec_b64 s[18:19], s[18:19]
	v_mov_b32_e32 v61, v59
	s_xor_b64 exec, exec, s[18:19]
	s_cbranch_execz .LBB66_110
; %bb.109:                              ;   in Loop: Header=BB66_2 Depth=1
	ds_read_u8 v61, v62 offset:1
	s_waitcnt lgkmcnt(1)
	v_mov_b32_e32 v60, v58
.LBB66_110:                             ;   in Loop: Header=BB66_2 Depth=1
	s_or_b64 exec, exec, s[18:19]
	v_add_u32_e32 v65, 1, v63
	v_add_u32_e32 v64, 1, v62
	v_cndmask_b32_e64 v63, v65, v63, s[16:17]
	v_cndmask_b32_e64 v62, v62, v64, s[16:17]
	v_cmp_ge_i32_e64 s[20:21], v63, v48
	s_waitcnt lgkmcnt(0)
	v_cmp_lt_i16_sdwa s[34:35], sext(v61), sext(v60) src0_sel:BYTE_0 src1_sel:BYTE_0
	v_cmp_lt_i32_e64 s[18:19], v62, v49
	s_or_b64 s[20:21], s[20:21], s[34:35]
	s_and_b64 s[18:19], s[18:19], s[20:21]
	s_xor_b64 s[20:21], s[18:19], -1
                                        ; implicit-def: $vgpr64
	s_and_saveexec_b64 s[34:35], s[20:21]
	s_xor_b64 s[20:21], exec, s[34:35]
	s_cbranch_execz .LBB66_112
; %bb.111:                              ;   in Loop: Header=BB66_2 Depth=1
	ds_read_u8 v64, v63 offset:1
.LBB66_112:                             ;   in Loop: Header=BB66_2 Depth=1
	s_or_saveexec_b64 s[20:21], s[20:21]
	v_mov_b32_e32 v65, v61
	s_xor_b64 exec, exec, s[20:21]
	s_cbranch_execz .LBB66_114
; %bb.113:                              ;   in Loop: Header=BB66_2 Depth=1
	ds_read_u8 v65, v62 offset:1
	s_waitcnt lgkmcnt(1)
	v_mov_b32_e32 v64, v60
.LBB66_114:                             ;   in Loop: Header=BB66_2 Depth=1
	s_or_b64 exec, exec, s[20:21]
	v_cndmask_b32_e64 v60, v60, v61, s[18:19]
	v_add_u32_e32 v61, 1, v62
	v_add_u32_e32 v66, 1, v63
	v_cndmask_b32_e64 v61, v62, v61, s[18:19]
	v_cndmask_b32_e64 v62, v66, v63, s[18:19]
	;; [unrolled: 1-line block ×3, first 2 shown]
	v_cmp_ge_i32_e64 s[16:17], v62, v48
	s_waitcnt lgkmcnt(0)
	v_cmp_lt_i16_sdwa s[18:19], sext(v65), sext(v64) src0_sel:BYTE_0 src1_sel:BYTE_0
	v_cndmask_b32_e64 v56, v56, v57, s[14:15]
	v_cmp_lt_i32_e64 s[14:15], v61, v49
	s_or_b64 s[16:17], s[16:17], s[18:19]
	s_and_b64 s[14:15], s[14:15], s[16:17]
	v_cndmask_b32_e64 v57, v64, v65, s[14:15]
	s_barrier
	ds_write_b8 v2, v56
	ds_write_b8 v2, v58 offset:1
	ds_write_b8 v2, v60 offset:2
	;; [unrolled: 1-line block ×3, first 2 shown]
	v_mov_b32_e32 v60, v53
	s_waitcnt lgkmcnt(0)
	s_barrier
	s_and_saveexec_b64 s[16:17], s[12:13]
	s_cbranch_execz .LBB66_118
; %bb.115:                              ;   in Loop: Header=BB66_2 Depth=1
	s_mov_b64 s[18:19], 0
	v_mov_b32_e32 v60, v53
	v_mov_b32_e32 v56, v54
.LBB66_116:                             ;   Parent Loop BB66_2 Depth=1
                                        ; =>  This Inner Loop Header: Depth=2
	v_sub_u32_e32 v57, v56, v60
	v_lshrrev_b32_e32 v58, 31, v57
	v_add_u32_e32 v57, v57, v58
	v_ashrrev_i32_e32 v57, 1, v57
	v_add_u32_e32 v57, v57, v60
	v_not_b32_e32 v58, v57
	v_add3_u32 v58, v2, v58, v45
	ds_read_i8 v59, v57
	ds_read_i8 v58, v58
	v_add_u32_e32 v61, 1, v57
	s_waitcnt lgkmcnt(0)
	v_cmp_lt_i16_e64 s[14:15], v58, v59
	s_nop 1
	v_cndmask_b32_e64 v56, v56, v57, s[14:15]
	v_cndmask_b32_e64 v60, v61, v60, s[14:15]
	v_cmp_ge_i32_e64 s[14:15], v60, v56
	s_or_b64 s[18:19], s[14:15], s[18:19]
	s_andn2_b64 exec, exec, s[18:19]
	s_cbranch_execnz .LBB66_116
; %bb.117:                              ;   in Loop: Header=BB66_2 Depth=1
	s_or_b64 exec, exec, s[18:19]
.LBB66_118:                             ;   in Loop: Header=BB66_2 Depth=1
	s_or_b64 exec, exec, s[16:17]
	v_sub_u32_e32 v61, v55, v60
	ds_read_u8 v56, v60
	ds_read_u8 v57, v61
	v_cmp_le_i32_e64 s[16:17], v45, v60
	v_cmp_gt_i32_e64 s[14:15], s31, v61
                                        ; implicit-def: $vgpr58
	s_waitcnt lgkmcnt(1)
	v_bfe_i32 v56, v56, 0, 8
	s_waitcnt lgkmcnt(0)
	v_bfe_i32 v57, v57, 0, 8
	v_cmp_lt_i16_e64 s[18:19], v57, v56
	s_or_b64 s[16:17], s[16:17], s[18:19]
	s_and_b64 s[14:15], s[14:15], s[16:17]
	s_xor_b64 s[16:17], s[14:15], -1
	s_and_saveexec_b64 s[18:19], s[16:17]
	s_xor_b64 s[16:17], exec, s[18:19]
	s_cbranch_execz .LBB66_120
; %bb.119:                              ;   in Loop: Header=BB66_2 Depth=1
	ds_read_u8 v58, v60 offset:1
.LBB66_120:                             ;   in Loop: Header=BB66_2 Depth=1
	s_or_saveexec_b64 s[16:17], s[16:17]
	v_mov_b32_e32 v59, v57
	s_xor_b64 exec, exec, s[16:17]
	s_cbranch_execz .LBB66_122
; %bb.121:                              ;   in Loop: Header=BB66_2 Depth=1
	ds_read_u8 v59, v61 offset:1
	s_waitcnt lgkmcnt(1)
	v_mov_b32_e32 v58, v56
.LBB66_122:                             ;   in Loop: Header=BB66_2 Depth=1
	s_or_b64 exec, exec, s[16:17]
	v_add_u32_e32 v63, 1, v60
	v_add_u32_e32 v62, 1, v61
	v_cndmask_b32_e64 v63, v63, v60, s[14:15]
	v_cndmask_b32_e64 v62, v61, v62, s[14:15]
	v_cmp_ge_i32_e64 s[18:19], v63, v45
	s_waitcnt lgkmcnt(0)
	v_cmp_lt_i16_sdwa s[20:21], sext(v59), sext(v58) src0_sel:BYTE_0 src1_sel:BYTE_0
	v_cmp_gt_i32_e64 s[16:17], s31, v62
	s_or_b64 s[18:19], s[18:19], s[20:21]
	s_and_b64 s[16:17], s[16:17], s[18:19]
	s_xor_b64 s[18:19], s[16:17], -1
                                        ; implicit-def: $vgpr60
	s_and_saveexec_b64 s[20:21], s[18:19]
	s_xor_b64 s[18:19], exec, s[20:21]
	s_cbranch_execz .LBB66_124
; %bb.123:                              ;   in Loop: Header=BB66_2 Depth=1
	ds_read_u8 v60, v63 offset:1
.LBB66_124:                             ;   in Loop: Header=BB66_2 Depth=1
	s_or_saveexec_b64 s[18:19], s[18:19]
	v_mov_b32_e32 v61, v59
	s_xor_b64 exec, exec, s[18:19]
	s_cbranch_execz .LBB66_126
; %bb.125:                              ;   in Loop: Header=BB66_2 Depth=1
	ds_read_u8 v61, v62 offset:1
	s_waitcnt lgkmcnt(1)
	v_mov_b32_e32 v60, v58
.LBB66_126:                             ;   in Loop: Header=BB66_2 Depth=1
	s_or_b64 exec, exec, s[18:19]
	v_add_u32_e32 v65, 1, v63
	v_add_u32_e32 v64, 1, v62
	v_cndmask_b32_e64 v65, v65, v63, s[16:17]
	v_cndmask_b32_e64 v62, v62, v64, s[16:17]
	v_cmp_ge_i32_e64 s[20:21], v65, v45
	s_waitcnt lgkmcnt(0)
	v_cmp_lt_i16_sdwa s[34:35], sext(v61), sext(v60) src0_sel:BYTE_0 src1_sel:BYTE_0
	v_cmp_gt_i32_e64 s[18:19], s31, v62
	s_or_b64 s[20:21], s[20:21], s[34:35]
	s_and_b64 s[18:19], s[18:19], s[20:21]
	s_xor_b64 s[20:21], s[18:19], -1
                                        ; implicit-def: $vgpr63
                                        ; implicit-def: $vgpr64
	s_and_saveexec_b64 s[34:35], s[20:21]
	s_xor_b64 s[20:21], exec, s[34:35]
	s_cbranch_execz .LBB66_128
; %bb.127:                              ;   in Loop: Header=BB66_2 Depth=1
	ds_read_u8 v63, v65 offset:1
	v_add_u32_e32 v64, 1, v65
                                        ; implicit-def: $vgpr65
.LBB66_128:                             ;   in Loop: Header=BB66_2 Depth=1
	s_or_saveexec_b64 s[20:21], s[20:21]
	v_mov_b32_e32 v66, v61
	s_xor_b64 exec, exec, s[20:21]
	s_cbranch_execz .LBB66_1
; %bb.129:                              ;   in Loop: Header=BB66_2 Depth=1
	ds_read_u8 v66, v62 offset:1
	v_add_u32_e32 v62, 1, v62
	v_mov_b32_e32 v64, v65
	s_waitcnt lgkmcnt(1)
	v_mov_b32_e32 v63, v60
	s_branch .LBB66_1
.LBB66_130:
	s_add_u32 s0, s22, s24
	s_addc_u32 s1, s23, 0
	v_lshl_add_u64 v[0:1], s[0:1], 0, v[0:1]
	global_store_byte v[0:1], v57, off
	global_store_byte v[0:1], v58, off offset:256
	global_store_byte v[0:1], v59, off offset:512
	;; [unrolled: 1-line block ×3, first 2 shown]
	s_endpgm
	.section	.rodata,"a",@progbits
	.p2align	6, 0x0
	.amdhsa_kernel _Z16sort_keys_kernelIaLj256ELj4EN10test_utils4lessELj10EEvPKT_PS2_T2_
		.amdhsa_group_segment_fixed_size 1025
		.amdhsa_private_segment_fixed_size 0
		.amdhsa_kernarg_size 20
		.amdhsa_user_sgpr_count 2
		.amdhsa_user_sgpr_dispatch_ptr 0
		.amdhsa_user_sgpr_queue_ptr 0
		.amdhsa_user_sgpr_kernarg_segment_ptr 1
		.amdhsa_user_sgpr_dispatch_id 0
		.amdhsa_user_sgpr_kernarg_preload_length 0
		.amdhsa_user_sgpr_kernarg_preload_offset 0
		.amdhsa_user_sgpr_private_segment_size 0
		.amdhsa_uses_dynamic_stack 0
		.amdhsa_enable_private_segment 0
		.amdhsa_system_sgpr_workgroup_id_x 1
		.amdhsa_system_sgpr_workgroup_id_y 0
		.amdhsa_system_sgpr_workgroup_id_z 0
		.amdhsa_system_sgpr_workgroup_info 0
		.amdhsa_system_vgpr_workitem_id 0
		.amdhsa_next_free_vgpr 67
		.amdhsa_next_free_sgpr 36
		.amdhsa_accum_offset 68
		.amdhsa_reserve_vcc 1
		.amdhsa_float_round_mode_32 0
		.amdhsa_float_round_mode_16_64 0
		.amdhsa_float_denorm_mode_32 3
		.amdhsa_float_denorm_mode_16_64 3
		.amdhsa_dx10_clamp 1
		.amdhsa_ieee_mode 1
		.amdhsa_fp16_overflow 0
		.amdhsa_tg_split 0
		.amdhsa_exception_fp_ieee_invalid_op 0
		.amdhsa_exception_fp_denorm_src 0
		.amdhsa_exception_fp_ieee_div_zero 0
		.amdhsa_exception_fp_ieee_overflow 0
		.amdhsa_exception_fp_ieee_underflow 0
		.amdhsa_exception_fp_ieee_inexact 0
		.amdhsa_exception_int_div_zero 0
	.end_amdhsa_kernel
	.section	.text._Z16sort_keys_kernelIaLj256ELj4EN10test_utils4lessELj10EEvPKT_PS2_T2_,"axG",@progbits,_Z16sort_keys_kernelIaLj256ELj4EN10test_utils4lessELj10EEvPKT_PS2_T2_,comdat
.Lfunc_end66:
	.size	_Z16sort_keys_kernelIaLj256ELj4EN10test_utils4lessELj10EEvPKT_PS2_T2_, .Lfunc_end66-_Z16sort_keys_kernelIaLj256ELj4EN10test_utils4lessELj10EEvPKT_PS2_T2_
                                        ; -- End function
	.section	.AMDGPU.csdata,"",@progbits
; Kernel info:
; codeLenInByte = 6252
; NumSgprs: 42
; NumVgprs: 67
; NumAgprs: 0
; TotalNumVgprs: 67
; ScratchSize: 0
; MemoryBound: 0
; FloatMode: 240
; IeeeMode: 1
; LDSByteSize: 1025 bytes/workgroup (compile time only)
; SGPRBlocks: 5
; VGPRBlocks: 8
; NumSGPRsForWavesPerEU: 42
; NumVGPRsForWavesPerEU: 67
; AccumOffset: 68
; Occupancy: 7
; WaveLimiterHint : 1
; COMPUTE_PGM_RSRC2:SCRATCH_EN: 0
; COMPUTE_PGM_RSRC2:USER_SGPR: 2
; COMPUTE_PGM_RSRC2:TRAP_HANDLER: 0
; COMPUTE_PGM_RSRC2:TGID_X_EN: 1
; COMPUTE_PGM_RSRC2:TGID_Y_EN: 0
; COMPUTE_PGM_RSRC2:TGID_Z_EN: 0
; COMPUTE_PGM_RSRC2:TIDIG_COMP_CNT: 0
; COMPUTE_PGM_RSRC3_GFX90A:ACCUM_OFFSET: 16
; COMPUTE_PGM_RSRC3_GFX90A:TG_SPLIT: 0
	.section	.text._Z17sort_pairs_kernelIaLj256ELj4EN10test_utils4lessELj10EEvPKT_PS2_T2_,"axG",@progbits,_Z17sort_pairs_kernelIaLj256ELj4EN10test_utils4lessELj10EEvPKT_PS2_T2_,comdat
	.protected	_Z17sort_pairs_kernelIaLj256ELj4EN10test_utils4lessELj10EEvPKT_PS2_T2_ ; -- Begin function _Z17sort_pairs_kernelIaLj256ELj4EN10test_utils4lessELj10EEvPKT_PS2_T2_
	.globl	_Z17sort_pairs_kernelIaLj256ELj4EN10test_utils4lessELj10EEvPKT_PS2_T2_
	.p2align	8
	.type	_Z17sort_pairs_kernelIaLj256ELj4EN10test_utils4lessELj10EEvPKT_PS2_T2_,@function
_Z17sort_pairs_kernelIaLj256ELj4EN10test_utils4lessELj10EEvPKT_PS2_T2_: ; @_Z17sort_pairs_kernelIaLj256ELj4EN10test_utils4lessELj10EEvPKT_PS2_T2_
; %bb.0:
	s_load_dwordx4 s[36:39], s[0:1], 0x0
	s_lshl_b32 s33, s2, 10
	v_lshlrev_b32_e32 v2, 2, v0
	v_and_b32_e32 v3, 0x3f8, v2
	v_and_b32_e32 v5, 0x3f0, v2
	s_waitcnt lgkmcnt(0)
	s_add_u32 s0, s36, s33
	s_addc_u32 s1, s37, 0
	global_load_ubyte v42, v0, s[0:1] offset:256
	global_load_ubyte v43, v0, s[0:1] offset:768
	global_load_ubyte v44, v0, s[0:1]
	global_load_ubyte v45, v0, s[0:1] offset:512
	v_or_b32_e32 v15, 4, v3
	v_add_u32_e32 v16, 8, v3
	v_and_b32_e32 v4, 4, v2
	v_and_b32_e32 v7, 0x3e0, v2
	v_or_b32_e32 v17, 8, v5
	v_add_u32_e32 v18, 16, v5
	v_sub_u32_e32 v37, v16, v15
	v_and_b32_e32 v6, 12, v2
	v_and_b32_e32 v9, 0x3c0, v2
	v_or_b32_e32 v19, 16, v7
	v_add_u32_e32 v20, 32, v7
	v_sub_u32_e32 v38, v18, v17
	v_sub_u32_e32 v46, v4, v37
	v_cmp_ge_i32_e32 vcc, v4, v37
	v_and_b32_e32 v8, 28, v2
	v_and_b32_e32 v11, 0x380, v2
	v_or_b32_e32 v21, 32, v9
	v_add_u32_e32 v22, 64, v9
	v_sub_u32_e32 v39, v20, v19
	v_sub_u32_e32 v47, v6, v38
	v_cndmask_b32_e32 v37, 0, v46, vcc
	v_cmp_ge_i32_e32 vcc, v6, v38
	v_and_b32_e32 v10, 60, v2
	v_or_b32_e32 v23, 64, v11
	v_add_u32_e32 v24, 0x80, v11
	v_sub_u32_e32 v40, v22, v21
	v_sub_u32_e32 v48, v8, v39
	v_cndmask_b32_e32 v38, 0, v47, vcc
	v_cmp_ge_i32_e32 vcc, v8, v39
	s_movk_i32 s8, 0x100
	v_and_b32_e32 v12, 0x7c, v2
	v_and_b32_e32 v13, 0x300, v2
	v_sub_u32_e32 v41, v24, v23
	v_sub_u32_e32 v49, v10, v40
	v_cndmask_b32_e32 v39, 0, v48, vcc
	v_cmp_ge_i32_e32 vcc, v10, v40
	v_or_b32_e32 v25, 0x80, v13
	v_add_u32_e32 v26, 0x100, v13
	v_sub_u32_e32 v50, v12, v41
	v_cndmask_b32_e32 v40, 0, v49, vcc
	v_cmp_ge_i32_e32 vcc, v12, v41
	v_and_b32_e32 v14, 0xfc, v2
	v_sub_u32_e32 v32, v15, v3
	v_cndmask_b32_e32 v41, 0, v50, vcc
	v_sub_u32_e32 v33, v17, v5
	v_sub_u32_e32 v34, v19, v7
	v_sub_u32_e32 v35, v21, v9
	v_sub_u32_e32 v36, v23, v11
	v_min_i32_e32 v32, v4, v32
	v_min_i32_e32 v33, v6, v33
	;; [unrolled: 1-line block ×6, first 2 shown]
	s_mov_b32 s36, 0
	v_mov_b32_e32 v1, 0
	s_mov_b32 s37, 0xffff
	v_add_u32_e32 v27, v15, v4
	v_add_u32_e32 v28, v17, v6
	;; [unrolled: 1-line block ×5, first 2 shown]
	v_cmp_lt_i32_e32 vcc, v37, v32
	v_cmp_lt_i32_e64 s[0:1], v38, v33
	v_cmp_lt_i32_e64 s[2:3], v39, v34
	;; [unrolled: 1-line block ×4, first 2 shown]
	v_add_u32_e32 v55, 0x200, v2
	s_mov_b32 s40, 0x7060405
	s_mov_b32 s41, 0xc0c0001
	s_movk_i32 s42, 0xff00
	s_mov_b32 s43, 0xffff0000
	s_mov_b32 s44, 0x7050604
	s_movk_i32 s45, 0x400
	s_waitcnt vmcnt(3)
	v_lshlrev_b16_e32 v42, 8, v42
	s_waitcnt vmcnt(2)
	v_lshlrev_b16_e32 v43, 8, v43
	s_waitcnt vmcnt(1)
	v_add_u16_e32 v46, 1, v44
	s_waitcnt vmcnt(0)
	v_add_u16_e32 v47, 1, v45
	v_or_b32_e32 v44, v44, v42
	v_or_b32_sdwa v45, v45, v43 dst_sel:WORD_1 dst_unused:UNUSED_PAD src0_sel:DWORD src1_sel:DWORD
	v_or_b32_sdwa v42, v42, v46 dst_sel:DWORD dst_unused:UNUSED_PAD src0_sel:DWORD src1_sel:BYTE_0
	v_or_b32_sdwa v43, v43, v47 dst_sel:DWORD dst_unused:UNUSED_PAD src0_sel:DWORD src1_sel:BYTE_0
	v_and_b32_e32 v46, 0x200, v2
	v_add_u16_e32 v42, 0x100, v42
	v_add_u16_sdwa v43, v43, s8 dst_sel:WORD_1 dst_unused:UNUSED_PAD src0_sel:DWORD src1_sel:DWORD
	v_or_b32_e32 v48, 0x100, v46
	v_add_u32_e32 v49, 0x200, v46
	v_or_b32_e32 v56, v42, v43
	v_sub_u32_e32 v42, v26, v25
	v_and_b32_e32 v47, 0x1fc, v2
	v_sub_u32_e32 v50, v49, v48
	v_or_b32_sdwa v57, v44, v45 dst_sel:DWORD dst_unused:UNUSED_PAD src0_sel:WORD_0 src1_sel:DWORD
	v_sub_u32_e32 v43, v25, v13
	v_sub_u32_e32 v44, v14, v42
	v_cmp_ge_i32_e64 s[8:9], v14, v42
	v_mov_b32_e32 v45, 0x200
	v_sub_u32_e32 v51, v48, v46
	v_sub_u32_e32 v52, v47, v50
	v_cmp_ge_i32_e64 s[10:11], v47, v50
	v_cndmask_b32_e64 v42, 0, v44, s[8:9]
	v_min_i32_e32 v43, v14, v43
	v_cndmask_b32_e64 v50, 0, v52, s[10:11]
	v_min_i32_e32 v51, v47, v51
	v_sub_u32_e64 v53, v2, v45 clamp
	v_cmp_lt_i32_e64 s[8:9], v42, v43
	v_add_u32_e32 v44, v25, v14
	v_cmp_lt_i32_e64 s[10:11], v50, v51
	v_add_u32_e32 v52, v48, v47
	v_cmp_lt_i32_e64 s[12:13], v53, v54
	s_branch .LBB67_2
.LBB67_1:                               ;   in Loop: Header=BB67_2 Depth=1
	s_or_b64 exec, exec, s[20:21]
	v_cndmask_b32_e64 v62, v62, v63, s[14:15]
	v_cndmask_b32_e64 v63, v64, v65, s[16:17]
	;; [unrolled: 1-line block ×4, first 2 shown]
	v_cmp_ge_i32_e64 s[16:17], v71, v45
	s_waitcnt lgkmcnt(0)
	v_cmp_lt_i16_sdwa s[18:19], sext(v75), sext(v72) src0_sel:BYTE_0 src1_sel:BYTE_0
	v_cndmask_b32_e64 v61, v60, v61, s[14:15]
	v_cmp_gt_i32_e64 s[14:15], s45, v70
	s_or_b64 s[16:17], s[16:17], s[18:19]
	s_and_b64 s[14:15], s[14:15], s[16:17]
	v_cndmask_b32_e64 v67, v71, v70, s[14:15]
	s_barrier
	ds_write_b8 v2, v57
	ds_write_b8 v2, v58 offset:1
	ds_write_b8 v2, v59 offset:2
	;; [unrolled: 1-line block ×3, first 2 shown]
	s_waitcnt lgkmcnt(0)
	s_barrier
	ds_read_u8 v58, v73
	ds_read_u8 v59, v67
	;; [unrolled: 1-line block ×4, first 2 shown]
	v_cndmask_b32_e64 v60, v72, v75, s[14:15]
	v_lshlrev_b16_e32 v66, 8, v63
	v_lshlrev_b16_e32 v57, 8, v60
	v_or_b32_sdwa v56, v62, v66 dst_sel:DWORD dst_unused:UNUSED_PAD src0_sel:BYTE_0 src1_sel:DWORD
	v_or_b32_sdwa v57, v64, v57 dst_sel:WORD_1 dst_unused:UNUSED_PAD src0_sel:BYTE_0 src1_sel:DWORD
	s_waitcnt lgkmcnt(2)
	v_lshlrev_b16_e32 v66, 8, v59
	v_or_b32_sdwa v57, v56, v57 dst_sel:DWORD dst_unused:UNUSED_PAD src0_sel:WORD_0 src1_sel:DWORD
	s_waitcnt lgkmcnt(0)
	v_lshlrev_b16_e32 v56, 8, v65
	v_or_b32_e32 v56, v61, v56
	v_or_b32_sdwa v66, v58, v66 dst_sel:WORD_1 dst_unused:UNUSED_PAD src0_sel:DWORD src1_sel:DWORD
	s_add_i32 s36, s36, 1
	s_cmp_eq_u32 s36, 10
	v_or_b32_sdwa v56, v56, v66 dst_sel:DWORD dst_unused:UNUSED_PAD src0_sel:WORD_0 src1_sel:DWORD
	s_cbranch_scc1 .LBB67_130
.LBB67_2:                               ; =>This Loop Header: Depth=1
                                        ;     Child Loop BB67_4 Depth 2
                                        ;     Child Loop BB67_20 Depth 2
	;; [unrolled: 1-line block ×8, first 2 shown]
	v_lshrrev_b32_e32 v59, 8, v57
	v_perm_b32 v58, v57, v57, s40
	v_cmp_lt_i16_sdwa s[14:15], sext(v59), sext(v57) src0_sel:BYTE_0 src1_sel:BYTE_0
	s_barrier
	s_nop 0
	v_cndmask_b32_e64 v57, v57, v58, s[14:15]
	v_lshrrev_b32_e32 v58, 16, v57
	v_perm_b32 v59, 0, v58, s41
	v_lshrrev_b32_e32 v60, 24, v57
	v_lshlrev_b32_e32 v59, 16, v59
	v_and_or_b32 v59, v57, s37, v59
	v_cmp_lt_i16_sdwa s[16:17], sext(v60), sext(v58) src0_sel:BYTE_0 src1_sel:BYTE_0
	v_min_i16_sdwa v58, sext(v60), sext(v58) dst_sel:DWORD dst_unused:UNUSED_PAD src0_sel:BYTE_0 src1_sel:BYTE_0
	v_lshlrev_b16_e32 v61, 8, v58
	v_cndmask_b32_e64 v57, v57, v59, s[16:17]
	v_and_b32_sdwa v59, v57, s42 dst_sel:DWORD dst_unused:UNUSED_PAD src0_sel:WORD_1 src1_sel:DWORD
	v_or_b32_sdwa v59, v57, v59 dst_sel:WORD_1 dst_unused:UNUSED_PAD src0_sel:BYTE_1 src1_sel:DWORD
	v_lshrrev_b32_e32 v60, 8, v57
	v_or_b32_sdwa v61, v57, v61 dst_sel:DWORD dst_unused:UNUSED_PAD src0_sel:BYTE_0 src1_sel:DWORD
	v_or_b32_sdwa v59, v61, v59 dst_sel:DWORD dst_unused:UNUSED_PAD src0_sel:WORD_0 src1_sel:DWORD
	v_cmp_lt_i16_sdwa s[18:19], v58, sext(v60) src0_sel:DWORD src1_sel:BYTE_0
	v_min_i16_sdwa v58, v58, sext(v60) dst_sel:DWORD dst_unused:UNUSED_PAD src0_sel:DWORD src1_sel:BYTE_0
	s_nop 0
	v_cndmask_b32_e64 v57, v57, v59, s[18:19]
	v_lshlrev_b16_e32 v59, 8, v57
	v_or_b32_sdwa v59, v58, v59 dst_sel:DWORD dst_unused:UNUSED_PAD src0_sel:BYTE_0 src1_sel:DWORD
	v_and_b32_e32 v59, 0xffff, v59
	v_and_or_b32 v59, v57, s43, v59
	v_cmp_lt_i16_sdwa s[20:21], v58, sext(v57) src0_sel:DWORD src1_sel:BYTE_0
	s_nop 1
	v_cndmask_b32_e64 v57, v57, v59, s[20:21]
	v_lshrrev_b32_e32 v58, 16, v57
	v_perm_b32 v59, 0, v58, s41
	v_lshrrev_b32_e32 v60, 24, v57
	v_lshlrev_b32_e32 v59, 16, v59
	v_and_or_b32 v59, v57, s37, v59
	v_cmp_lt_i16_sdwa s[22:23], sext(v60), sext(v58) src0_sel:BYTE_0 src1_sel:BYTE_0
	v_min_i16_sdwa v58, sext(v60), sext(v58) dst_sel:DWORD dst_unused:UNUSED_PAD src0_sel:BYTE_0 src1_sel:BYTE_0
	v_lshlrev_b16_e32 v61, 8, v58
	v_cndmask_b32_e64 v57, v57, v59, s[22:23]
	v_and_b32_sdwa v59, v57, s42 dst_sel:DWORD dst_unused:UNUSED_PAD src0_sel:WORD_1 src1_sel:DWORD
	v_or_b32_sdwa v59, v57, v59 dst_sel:WORD_1 dst_unused:UNUSED_PAD src0_sel:BYTE_1 src1_sel:DWORD
	v_lshrrev_b32_e32 v60, 8, v57
	v_or_b32_sdwa v61, v57, v61 dst_sel:DWORD dst_unused:UNUSED_PAD src0_sel:BYTE_0 src1_sel:DWORD
	v_or_b32_sdwa v59, v61, v59 dst_sel:DWORD dst_unused:UNUSED_PAD src0_sel:WORD_0 src1_sel:DWORD
	v_cmp_lt_i16_sdwa s[24:25], v58, sext(v60) src0_sel:DWORD src1_sel:BYTE_0
	v_mov_b32_e32 v58, v37
	s_nop 0
	v_cndmask_b32_e64 v57, v57, v59, s[24:25]
	ds_write_b32 v2, v57
	s_waitcnt lgkmcnt(0)
	s_barrier
	s_and_saveexec_b64 s[28:29], vcc
	s_cbranch_execz .LBB67_6
; %bb.3:                                ;   in Loop: Header=BB67_2 Depth=1
	s_mov_b64 s[30:31], 0
	v_mov_b32_e32 v58, v37
	v_mov_b32_e32 v57, v32
.LBB67_4:                               ;   Parent Loop BB67_2 Depth=1
                                        ; =>  This Inner Loop Header: Depth=2
	v_sub_u32_e32 v59, v57, v58
	v_lshrrev_b32_e32 v60, 31, v59
	v_add_u32_e32 v59, v59, v60
	v_ashrrev_i32_e32 v59, 1, v59
	v_add_u32_e32 v59, v59, v58
	v_not_b32_e32 v61, v59
	v_add_u32_e32 v60, v3, v59
	v_add3_u32 v61, v4, v61, v15
	ds_read_i8 v60, v60
	ds_read_i8 v61, v61
	v_add_u32_e32 v62, 1, v59
	s_waitcnt lgkmcnt(0)
	v_cmp_lt_i16_e64 s[26:27], v61, v60
	s_nop 1
	v_cndmask_b32_e64 v57, v57, v59, s[26:27]
	v_cndmask_b32_e64 v58, v62, v58, s[26:27]
	v_cmp_ge_i32_e64 s[26:27], v58, v57
	s_or_b64 s[30:31], s[26:27], s[30:31]
	s_andn2_b64 exec, exec, s[30:31]
	s_cbranch_execnz .LBB67_4
; %bb.5:                                ;   in Loop: Header=BB67_2 Depth=1
	s_or_b64 exec, exec, s[30:31]
.LBB67_6:                               ;   in Loop: Header=BB67_2 Depth=1
	s_or_b64 exec, exec, s[28:29]
	v_add_u32_e32 v57, v58, v3
	v_sub_u32_e32 v58, v27, v58
	ds_read_u8 v59, v57
	ds_read_u8 v60, v58
	v_cmp_le_i32_e64 s[28:29], v15, v57
	v_cmp_gt_i32_e64 s[26:27], v16, v58
                                        ; implicit-def: $vgpr61
	s_waitcnt lgkmcnt(1)
	v_bfe_i32 v59, v59, 0, 8
	s_waitcnt lgkmcnt(0)
	v_bfe_i32 v60, v60, 0, 8
	v_cmp_lt_i16_e64 s[30:31], v60, v59
	s_or_b64 s[28:29], s[28:29], s[30:31]
	s_and_b64 s[26:27], s[26:27], s[28:29]
	s_xor_b64 s[28:29], s[26:27], -1
	s_and_saveexec_b64 s[30:31], s[28:29]
	s_xor_b64 s[28:29], exec, s[30:31]
	s_cbranch_execz .LBB67_8
; %bb.7:                                ;   in Loop: Header=BB67_2 Depth=1
	ds_read_u8 v61, v57 offset:1
.LBB67_8:                               ;   in Loop: Header=BB67_2 Depth=1
	s_or_saveexec_b64 s[28:29], s[28:29]
	v_mov_b32_e32 v62, v60
	s_xor_b64 exec, exec, s[28:29]
	s_cbranch_execz .LBB67_10
; %bb.9:                                ;   in Loop: Header=BB67_2 Depth=1
	ds_read_u8 v62, v58 offset:1
	s_waitcnt lgkmcnt(1)
	v_mov_b32_e32 v61, v59
.LBB67_10:                              ;   in Loop: Header=BB67_2 Depth=1
	s_or_b64 exec, exec, s[28:29]
	v_add_u32_e32 v64, 1, v57
	v_add_u32_e32 v63, 1, v58
	v_cndmask_b32_e64 v64, v64, v57, s[26:27]
	v_cndmask_b32_e64 v63, v58, v63, s[26:27]
	v_cmp_ge_i32_e64 s[30:31], v64, v15
	s_waitcnt lgkmcnt(0)
	v_cmp_lt_i16_sdwa s[34:35], sext(v62), sext(v61) src0_sel:BYTE_0 src1_sel:BYTE_0
	v_cmp_lt_i32_e64 s[28:29], v63, v16
	s_or_b64 s[30:31], s[30:31], s[34:35]
	s_and_b64 s[28:29], s[28:29], s[30:31]
	s_xor_b64 s[30:31], s[28:29], -1
                                        ; implicit-def: $vgpr65
	s_and_saveexec_b64 s[34:35], s[30:31]
	s_xor_b64 s[30:31], exec, s[34:35]
	s_cbranch_execz .LBB67_12
; %bb.11:                               ;   in Loop: Header=BB67_2 Depth=1
	ds_read_u8 v65, v64 offset:1
.LBB67_12:                              ;   in Loop: Header=BB67_2 Depth=1
	s_or_saveexec_b64 s[30:31], s[30:31]
	v_mov_b32_e32 v67, v62
	s_xor_b64 exec, exec, s[30:31]
	s_cbranch_execz .LBB67_14
; %bb.13:                               ;   in Loop: Header=BB67_2 Depth=1
	ds_read_u8 v67, v63 offset:1
	s_waitcnt lgkmcnt(1)
	v_mov_b32_e32 v65, v61
.LBB67_14:                              ;   in Loop: Header=BB67_2 Depth=1
	s_or_b64 exec, exec, s[30:31]
	v_add_u32_e32 v69, 1, v64
	v_add_u32_e32 v66, 1, v63
	v_cndmask_b32_e64 v70, v69, v64, s[28:29]
	v_cndmask_b32_e64 v68, v63, v66, s[28:29]
	v_cmp_ge_i32_e64 s[34:35], v70, v15
	s_waitcnt lgkmcnt(0)
	v_cmp_lt_i16_sdwa s[46:47], sext(v67), sext(v65) src0_sel:BYTE_0 src1_sel:BYTE_0
	v_cmp_lt_i32_e64 s[30:31], v68, v16
	s_or_b64 s[34:35], s[34:35], s[46:47]
	s_and_b64 s[30:31], s[30:31], s[34:35]
	s_xor_b64 s[34:35], s[30:31], -1
                                        ; implicit-def: $vgpr66
	s_and_saveexec_b64 s[46:47], s[34:35]
	s_xor_b64 s[34:35], exec, s[46:47]
	s_cbranch_execz .LBB67_16
; %bb.15:                               ;   in Loop: Header=BB67_2 Depth=1
	ds_read_u8 v66, v70 offset:1
.LBB67_16:                              ;   in Loop: Header=BB67_2 Depth=1
	s_or_saveexec_b64 s[34:35], s[34:35]
	v_mov_b32_e32 v69, v67
	s_xor_b64 exec, exec, s[34:35]
	s_cbranch_execz .LBB67_18
; %bb.17:                               ;   in Loop: Header=BB67_2 Depth=1
	ds_read_u8 v69, v68 offset:1
	s_waitcnt lgkmcnt(1)
	v_mov_b32_e32 v66, v65
.LBB67_18:                              ;   in Loop: Header=BB67_2 Depth=1
	s_or_b64 exec, exec, s[34:35]
	v_perm_b32 v71, v56, v56, s40
	v_cndmask_b32_e64 v56, v56, v71, s[14:15]
	v_cndmask_b32_e64 v57, v57, v58, s[26:27]
	v_lshrrev_b32_e32 v58, 16, v56
	v_perm_b32 v58, 0, v58, s41
	v_lshlrev_b32_e32 v58, 16, v58
	v_and_or_b32 v58, v56, s37, v58
	v_cndmask_b32_e64 v56, v56, v58, s[16:17]
	v_perm_b32 v58, v56, v56, s44
	v_cndmask_b32_e64 v56, v56, v58, s[18:19]
	v_perm_b32 v58, 0, v56, s41
	v_and_or_b32 v58, v56, s43, v58
	v_cndmask_b32_e64 v56, v56, v58, s[20:21]
	v_lshrrev_b32_e32 v58, 16, v56
	v_add_u32_e32 v72, 1, v70
	v_perm_b32 v58, 0, v58, s41
	v_cndmask_b32_e64 v65, v65, v67, s[30:31]
	v_add_u32_e32 v67, 1, v68
	v_cndmask_b32_e64 v72, v72, v70, s[30:31]
	v_lshlrev_b32_e32 v58, 16, v58
	v_cndmask_b32_e64 v67, v68, v67, s[30:31]
	v_and_or_b32 v58, v56, s37, v58
	v_cmp_ge_i32_e64 s[16:17], v72, v15
	s_waitcnt lgkmcnt(0)
	v_cmp_lt_i16_sdwa s[18:19], sext(v69), sext(v66) src0_sel:BYTE_0 src1_sel:BYTE_0
	v_cndmask_b32_e64 v56, v56, v58, s[22:23]
	v_cmp_lt_i32_e64 s[14:15], v67, v16
	s_or_b64 s[16:17], s[16:17], s[18:19]
	v_perm_b32 v58, v56, v56, s44
	s_and_b64 s[14:15], s[14:15], s[16:17]
	v_cndmask_b32_e64 v56, v56, v58, s[24:25]
	v_cndmask_b32_e64 v58, v72, v67, s[14:15]
	;; [unrolled: 1-line block ×6, first 2 shown]
	s_barrier
	ds_write_b32 v2, v56
	s_waitcnt lgkmcnt(0)
	s_barrier
	ds_read_u8 v56, v58
	ds_read_u8 v57, v57
	;; [unrolled: 1-line block ×4, first 2 shown]
	v_cndmask_b32_e64 v63, v66, v69, s[14:15]
	s_waitcnt lgkmcnt(0)
	s_barrier
	ds_write_b8 v2, v60
	ds_write_b8 v2, v61 offset:1
	ds_write_b8 v2, v65 offset:2
	;; [unrolled: 1-line block ×3, first 2 shown]
	v_mov_b32_e32 v61, v38
	s_waitcnt lgkmcnt(0)
	s_barrier
	s_and_saveexec_b64 s[16:17], s[0:1]
	s_cbranch_execz .LBB67_22
; %bb.19:                               ;   in Loop: Header=BB67_2 Depth=1
	s_mov_b64 s[18:19], 0
	v_mov_b32_e32 v61, v38
	v_mov_b32_e32 v60, v33
.LBB67_20:                              ;   Parent Loop BB67_2 Depth=1
                                        ; =>  This Inner Loop Header: Depth=2
	v_sub_u32_e32 v62, v60, v61
	v_lshrrev_b32_e32 v63, 31, v62
	v_add_u32_e32 v62, v62, v63
	v_ashrrev_i32_e32 v62, 1, v62
	v_add_u32_e32 v62, v62, v61
	v_not_b32_e32 v64, v62
	v_add_u32_e32 v63, v5, v62
	v_add3_u32 v64, v6, v64, v17
	ds_read_i8 v63, v63
	ds_read_i8 v64, v64
	v_add_u32_e32 v65, 1, v62
	s_waitcnt lgkmcnt(0)
	v_cmp_lt_i16_e64 s[14:15], v64, v63
	s_nop 1
	v_cndmask_b32_e64 v60, v60, v62, s[14:15]
	v_cndmask_b32_e64 v61, v65, v61, s[14:15]
	v_cmp_ge_i32_e64 s[14:15], v61, v60
	s_or_b64 s[18:19], s[14:15], s[18:19]
	s_andn2_b64 exec, exec, s[18:19]
	s_cbranch_execnz .LBB67_20
; %bb.21:                               ;   in Loop: Header=BB67_2 Depth=1
	s_or_b64 exec, exec, s[18:19]
.LBB67_22:                              ;   in Loop: Header=BB67_2 Depth=1
	s_or_b64 exec, exec, s[16:17]
	v_add_u32_e32 v60, v61, v5
	v_sub_u32_e32 v61, v28, v61
	ds_read_u8 v62, v60
	ds_read_u8 v63, v61
	v_cmp_le_i32_e64 s[16:17], v17, v60
	v_cmp_gt_i32_e64 s[14:15], v18, v61
                                        ; implicit-def: $vgpr64
	s_waitcnt lgkmcnt(1)
	v_bfe_i32 v62, v62, 0, 8
	s_waitcnt lgkmcnt(0)
	v_bfe_i32 v63, v63, 0, 8
	v_cmp_lt_i16_e64 s[18:19], v63, v62
	s_or_b64 s[16:17], s[16:17], s[18:19]
	s_and_b64 s[14:15], s[14:15], s[16:17]
	s_xor_b64 s[16:17], s[14:15], -1
	s_and_saveexec_b64 s[18:19], s[16:17]
	s_xor_b64 s[16:17], exec, s[18:19]
	s_cbranch_execz .LBB67_24
; %bb.23:                               ;   in Loop: Header=BB67_2 Depth=1
	ds_read_u8 v64, v60 offset:1
.LBB67_24:                              ;   in Loop: Header=BB67_2 Depth=1
	s_or_saveexec_b64 s[16:17], s[16:17]
	v_mov_b32_e32 v65, v63
	s_xor_b64 exec, exec, s[16:17]
	s_cbranch_execz .LBB67_26
; %bb.25:                               ;   in Loop: Header=BB67_2 Depth=1
	ds_read_u8 v65, v61 offset:1
	s_waitcnt lgkmcnt(1)
	v_mov_b32_e32 v64, v62
.LBB67_26:                              ;   in Loop: Header=BB67_2 Depth=1
	s_or_b64 exec, exec, s[16:17]
	v_add_u32_e32 v67, 1, v60
	v_add_u32_e32 v66, 1, v61
	v_cndmask_b32_e64 v67, v67, v60, s[14:15]
	v_cndmask_b32_e64 v66, v61, v66, s[14:15]
	v_cmp_ge_i32_e64 s[18:19], v67, v17
	s_waitcnt lgkmcnt(0)
	v_cmp_lt_i16_sdwa s[20:21], sext(v65), sext(v64) src0_sel:BYTE_0 src1_sel:BYTE_0
	v_cmp_lt_i32_e64 s[16:17], v66, v18
	s_or_b64 s[18:19], s[18:19], s[20:21]
	s_and_b64 s[16:17], s[16:17], s[18:19]
	s_xor_b64 s[18:19], s[16:17], -1
                                        ; implicit-def: $vgpr68
	s_and_saveexec_b64 s[20:21], s[18:19]
	s_xor_b64 s[18:19], exec, s[20:21]
	s_cbranch_execz .LBB67_28
; %bb.27:                               ;   in Loop: Header=BB67_2 Depth=1
	ds_read_u8 v68, v67 offset:1
.LBB67_28:                              ;   in Loop: Header=BB67_2 Depth=1
	s_or_saveexec_b64 s[18:19], s[18:19]
	v_mov_b32_e32 v69, v65
	s_xor_b64 exec, exec, s[18:19]
	s_cbranch_execz .LBB67_30
; %bb.29:                               ;   in Loop: Header=BB67_2 Depth=1
	ds_read_u8 v69, v66 offset:1
	s_waitcnt lgkmcnt(1)
	v_mov_b32_e32 v68, v64
.LBB67_30:                              ;   in Loop: Header=BB67_2 Depth=1
	s_or_b64 exec, exec, s[18:19]
	v_add_u32_e32 v71, 1, v67
	v_add_u32_e32 v70, 1, v66
	v_cndmask_b32_e64 v71, v71, v67, s[16:17]
	v_cndmask_b32_e64 v70, v66, v70, s[16:17]
	v_cmp_ge_i32_e64 s[20:21], v71, v17
	s_waitcnt lgkmcnt(0)
	v_cmp_lt_i16_sdwa s[22:23], sext(v69), sext(v68) src0_sel:BYTE_0 src1_sel:BYTE_0
	v_cmp_lt_i32_e64 s[18:19], v70, v18
	s_or_b64 s[20:21], s[20:21], s[22:23]
	s_and_b64 s[18:19], s[18:19], s[20:21]
	s_xor_b64 s[20:21], s[18:19], -1
                                        ; implicit-def: $vgpr72
	s_and_saveexec_b64 s[22:23], s[20:21]
	s_xor_b64 s[20:21], exec, s[22:23]
	s_cbranch_execz .LBB67_32
; %bb.31:                               ;   in Loop: Header=BB67_2 Depth=1
	ds_read_u8 v72, v71 offset:1
.LBB67_32:                              ;   in Loop: Header=BB67_2 Depth=1
	s_or_saveexec_b64 s[20:21], s[20:21]
	v_mov_b32_e32 v73, v69
	s_xor_b64 exec, exec, s[20:21]
	s_cbranch_execz .LBB67_34
; %bb.33:                               ;   in Loop: Header=BB67_2 Depth=1
	ds_read_u8 v73, v70 offset:1
	s_waitcnt lgkmcnt(1)
	v_mov_b32_e32 v72, v68
.LBB67_34:                              ;   in Loop: Header=BB67_2 Depth=1
	s_or_b64 exec, exec, s[20:21]
	v_add_u32_e32 v74, 1, v71
	v_cndmask_b32_e64 v68, v68, v69, s[18:19]
	v_add_u32_e32 v69, 1, v70
	v_cndmask_b32_e64 v74, v74, v71, s[18:19]
	v_cndmask_b32_e64 v69, v70, v69, s[18:19]
	;; [unrolled: 1-line block ×5, first 2 shown]
	v_cmp_ge_i32_e64 s[16:17], v74, v17
	s_waitcnt lgkmcnt(0)
	v_cmp_lt_i16_sdwa s[18:19], sext(v73), sext(v72) src0_sel:BYTE_0 src1_sel:BYTE_0
	v_cndmask_b32_e64 v62, v62, v63, s[14:15]
	v_cndmask_b32_e64 v60, v60, v61, s[14:15]
	v_cmp_lt_i32_e64 s[14:15], v69, v18
	s_or_b64 s[16:17], s[16:17], s[18:19]
	s_and_b64 s[14:15], s[14:15], s[16:17]
	v_cndmask_b32_e64 v63, v74, v69, s[14:15]
	s_barrier
	ds_write_b8 v2, v57
	ds_write_b8 v2, v58 offset:1
	ds_write_b8 v2, v59 offset:2
	;; [unrolled: 1-line block ×3, first 2 shown]
	s_waitcnt lgkmcnt(0)
	s_barrier
	ds_read_u8 v56, v63
	ds_read_u8 v57, v60
	;; [unrolled: 1-line block ×4, first 2 shown]
	v_cndmask_b32_e64 v61, v72, v73, s[14:15]
	s_waitcnt lgkmcnt(0)
	s_barrier
	ds_write_b8 v2, v62
	ds_write_b8 v2, v64 offset:1
	ds_write_b8 v2, v68 offset:2
	;; [unrolled: 1-line block ×3, first 2 shown]
	v_mov_b32_e32 v61, v39
	s_waitcnt lgkmcnt(0)
	s_barrier
	s_and_saveexec_b64 s[16:17], s[2:3]
	s_cbranch_execz .LBB67_38
; %bb.35:                               ;   in Loop: Header=BB67_2 Depth=1
	s_mov_b64 s[18:19], 0
	v_mov_b32_e32 v61, v39
	v_mov_b32_e32 v60, v34
.LBB67_36:                              ;   Parent Loop BB67_2 Depth=1
                                        ; =>  This Inner Loop Header: Depth=2
	v_sub_u32_e32 v62, v60, v61
	v_lshrrev_b32_e32 v63, 31, v62
	v_add_u32_e32 v62, v62, v63
	v_ashrrev_i32_e32 v62, 1, v62
	v_add_u32_e32 v62, v62, v61
	v_not_b32_e32 v64, v62
	v_add_u32_e32 v63, v7, v62
	v_add3_u32 v64, v8, v64, v19
	ds_read_i8 v63, v63
	ds_read_i8 v64, v64
	v_add_u32_e32 v65, 1, v62
	s_waitcnt lgkmcnt(0)
	v_cmp_lt_i16_e64 s[14:15], v64, v63
	s_nop 1
	v_cndmask_b32_e64 v60, v60, v62, s[14:15]
	v_cndmask_b32_e64 v61, v65, v61, s[14:15]
	v_cmp_ge_i32_e64 s[14:15], v61, v60
	s_or_b64 s[18:19], s[14:15], s[18:19]
	s_andn2_b64 exec, exec, s[18:19]
	s_cbranch_execnz .LBB67_36
; %bb.37:                               ;   in Loop: Header=BB67_2 Depth=1
	s_or_b64 exec, exec, s[18:19]
.LBB67_38:                              ;   in Loop: Header=BB67_2 Depth=1
	s_or_b64 exec, exec, s[16:17]
	v_add_u32_e32 v60, v61, v7
	v_sub_u32_e32 v61, v29, v61
	ds_read_u8 v62, v60
	ds_read_u8 v63, v61
	v_cmp_le_i32_e64 s[16:17], v19, v60
	v_cmp_gt_i32_e64 s[14:15], v20, v61
                                        ; implicit-def: $vgpr64
	s_waitcnt lgkmcnt(1)
	v_bfe_i32 v62, v62, 0, 8
	s_waitcnt lgkmcnt(0)
	v_bfe_i32 v63, v63, 0, 8
	v_cmp_lt_i16_e64 s[18:19], v63, v62
	s_or_b64 s[16:17], s[16:17], s[18:19]
	s_and_b64 s[14:15], s[14:15], s[16:17]
	s_xor_b64 s[16:17], s[14:15], -1
	s_and_saveexec_b64 s[18:19], s[16:17]
	s_xor_b64 s[16:17], exec, s[18:19]
	s_cbranch_execz .LBB67_40
; %bb.39:                               ;   in Loop: Header=BB67_2 Depth=1
	ds_read_u8 v64, v60 offset:1
.LBB67_40:                              ;   in Loop: Header=BB67_2 Depth=1
	s_or_saveexec_b64 s[16:17], s[16:17]
	v_mov_b32_e32 v65, v63
	s_xor_b64 exec, exec, s[16:17]
	s_cbranch_execz .LBB67_42
; %bb.41:                               ;   in Loop: Header=BB67_2 Depth=1
	ds_read_u8 v65, v61 offset:1
	s_waitcnt lgkmcnt(1)
	v_mov_b32_e32 v64, v62
.LBB67_42:                              ;   in Loop: Header=BB67_2 Depth=1
	s_or_b64 exec, exec, s[16:17]
	v_add_u32_e32 v67, 1, v60
	v_add_u32_e32 v66, 1, v61
	v_cndmask_b32_e64 v67, v67, v60, s[14:15]
	v_cndmask_b32_e64 v66, v61, v66, s[14:15]
	v_cmp_ge_i32_e64 s[18:19], v67, v19
	s_waitcnt lgkmcnt(0)
	v_cmp_lt_i16_sdwa s[20:21], sext(v65), sext(v64) src0_sel:BYTE_0 src1_sel:BYTE_0
	v_cmp_lt_i32_e64 s[16:17], v66, v20
	s_or_b64 s[18:19], s[18:19], s[20:21]
	s_and_b64 s[16:17], s[16:17], s[18:19]
	s_xor_b64 s[18:19], s[16:17], -1
                                        ; implicit-def: $vgpr68
	s_and_saveexec_b64 s[20:21], s[18:19]
	s_xor_b64 s[18:19], exec, s[20:21]
	s_cbranch_execz .LBB67_44
; %bb.43:                               ;   in Loop: Header=BB67_2 Depth=1
	ds_read_u8 v68, v67 offset:1
.LBB67_44:                              ;   in Loop: Header=BB67_2 Depth=1
	s_or_saveexec_b64 s[18:19], s[18:19]
	v_mov_b32_e32 v69, v65
	s_xor_b64 exec, exec, s[18:19]
	s_cbranch_execz .LBB67_46
; %bb.45:                               ;   in Loop: Header=BB67_2 Depth=1
	ds_read_u8 v69, v66 offset:1
	s_waitcnt lgkmcnt(1)
	v_mov_b32_e32 v68, v64
.LBB67_46:                              ;   in Loop: Header=BB67_2 Depth=1
	s_or_b64 exec, exec, s[18:19]
	v_add_u32_e32 v71, 1, v67
	v_add_u32_e32 v70, 1, v66
	v_cndmask_b32_e64 v71, v71, v67, s[16:17]
	v_cndmask_b32_e64 v70, v66, v70, s[16:17]
	v_cmp_ge_i32_e64 s[20:21], v71, v19
	s_waitcnt lgkmcnt(0)
	v_cmp_lt_i16_sdwa s[22:23], sext(v69), sext(v68) src0_sel:BYTE_0 src1_sel:BYTE_0
	v_cmp_lt_i32_e64 s[18:19], v70, v20
	s_or_b64 s[20:21], s[20:21], s[22:23]
	s_and_b64 s[18:19], s[18:19], s[20:21]
	s_xor_b64 s[20:21], s[18:19], -1
                                        ; implicit-def: $vgpr72
	s_and_saveexec_b64 s[22:23], s[20:21]
	s_xor_b64 s[20:21], exec, s[22:23]
	s_cbranch_execz .LBB67_48
; %bb.47:                               ;   in Loop: Header=BB67_2 Depth=1
	ds_read_u8 v72, v71 offset:1
.LBB67_48:                              ;   in Loop: Header=BB67_2 Depth=1
	s_or_saveexec_b64 s[20:21], s[20:21]
	v_mov_b32_e32 v73, v69
	s_xor_b64 exec, exec, s[20:21]
	s_cbranch_execz .LBB67_50
; %bb.49:                               ;   in Loop: Header=BB67_2 Depth=1
	ds_read_u8 v73, v70 offset:1
	s_waitcnt lgkmcnt(1)
	v_mov_b32_e32 v72, v68
.LBB67_50:                              ;   in Loop: Header=BB67_2 Depth=1
	s_or_b64 exec, exec, s[20:21]
	v_add_u32_e32 v74, 1, v71
	v_cndmask_b32_e64 v68, v68, v69, s[18:19]
	v_add_u32_e32 v69, 1, v70
	v_cndmask_b32_e64 v74, v74, v71, s[18:19]
	v_cndmask_b32_e64 v69, v70, v69, s[18:19]
	;; [unrolled: 1-line block ×5, first 2 shown]
	v_cmp_ge_i32_e64 s[16:17], v74, v19
	s_waitcnt lgkmcnt(0)
	v_cmp_lt_i16_sdwa s[18:19], sext(v73), sext(v72) src0_sel:BYTE_0 src1_sel:BYTE_0
	v_cndmask_b32_e64 v62, v62, v63, s[14:15]
	v_cndmask_b32_e64 v60, v60, v61, s[14:15]
	v_cmp_lt_i32_e64 s[14:15], v69, v20
	s_or_b64 s[16:17], s[16:17], s[18:19]
	s_and_b64 s[14:15], s[14:15], s[16:17]
	v_cndmask_b32_e64 v63, v74, v69, s[14:15]
	s_barrier
	ds_write_b8 v2, v57
	ds_write_b8 v2, v58 offset:1
	ds_write_b8 v2, v59 offset:2
	;; [unrolled: 1-line block ×3, first 2 shown]
	s_waitcnt lgkmcnt(0)
	s_barrier
	ds_read_u8 v56, v63
	ds_read_u8 v57, v60
	;; [unrolled: 1-line block ×4, first 2 shown]
	v_cndmask_b32_e64 v61, v72, v73, s[14:15]
	s_waitcnt lgkmcnt(0)
	s_barrier
	ds_write_b8 v2, v62
	ds_write_b8 v2, v64 offset:1
	ds_write_b8 v2, v68 offset:2
	;; [unrolled: 1-line block ×3, first 2 shown]
	v_mov_b32_e32 v61, v40
	s_waitcnt lgkmcnt(0)
	s_barrier
	s_and_saveexec_b64 s[16:17], s[4:5]
	s_cbranch_execz .LBB67_54
; %bb.51:                               ;   in Loop: Header=BB67_2 Depth=1
	s_mov_b64 s[18:19], 0
	v_mov_b32_e32 v61, v40
	v_mov_b32_e32 v60, v35
.LBB67_52:                              ;   Parent Loop BB67_2 Depth=1
                                        ; =>  This Inner Loop Header: Depth=2
	v_sub_u32_e32 v62, v60, v61
	v_lshrrev_b32_e32 v63, 31, v62
	v_add_u32_e32 v62, v62, v63
	v_ashrrev_i32_e32 v62, 1, v62
	v_add_u32_e32 v62, v62, v61
	v_not_b32_e32 v64, v62
	v_add_u32_e32 v63, v9, v62
	v_add3_u32 v64, v10, v64, v21
	ds_read_i8 v63, v63
	ds_read_i8 v64, v64
	v_add_u32_e32 v65, 1, v62
	s_waitcnt lgkmcnt(0)
	v_cmp_lt_i16_e64 s[14:15], v64, v63
	s_nop 1
	v_cndmask_b32_e64 v60, v60, v62, s[14:15]
	v_cndmask_b32_e64 v61, v65, v61, s[14:15]
	v_cmp_ge_i32_e64 s[14:15], v61, v60
	s_or_b64 s[18:19], s[14:15], s[18:19]
	s_andn2_b64 exec, exec, s[18:19]
	s_cbranch_execnz .LBB67_52
; %bb.53:                               ;   in Loop: Header=BB67_2 Depth=1
	s_or_b64 exec, exec, s[18:19]
.LBB67_54:                              ;   in Loop: Header=BB67_2 Depth=1
	s_or_b64 exec, exec, s[16:17]
	v_add_u32_e32 v60, v61, v9
	v_sub_u32_e32 v61, v30, v61
	ds_read_u8 v62, v60
	ds_read_u8 v63, v61
	v_cmp_le_i32_e64 s[16:17], v21, v60
	v_cmp_gt_i32_e64 s[14:15], v22, v61
                                        ; implicit-def: $vgpr64
	s_waitcnt lgkmcnt(1)
	v_bfe_i32 v62, v62, 0, 8
	s_waitcnt lgkmcnt(0)
	v_bfe_i32 v63, v63, 0, 8
	v_cmp_lt_i16_e64 s[18:19], v63, v62
	s_or_b64 s[16:17], s[16:17], s[18:19]
	s_and_b64 s[14:15], s[14:15], s[16:17]
	s_xor_b64 s[16:17], s[14:15], -1
	s_and_saveexec_b64 s[18:19], s[16:17]
	s_xor_b64 s[16:17], exec, s[18:19]
	s_cbranch_execz .LBB67_56
; %bb.55:                               ;   in Loop: Header=BB67_2 Depth=1
	ds_read_u8 v64, v60 offset:1
.LBB67_56:                              ;   in Loop: Header=BB67_2 Depth=1
	s_or_saveexec_b64 s[16:17], s[16:17]
	v_mov_b32_e32 v65, v63
	s_xor_b64 exec, exec, s[16:17]
	s_cbranch_execz .LBB67_58
; %bb.57:                               ;   in Loop: Header=BB67_2 Depth=1
	ds_read_u8 v65, v61 offset:1
	s_waitcnt lgkmcnt(1)
	v_mov_b32_e32 v64, v62
.LBB67_58:                              ;   in Loop: Header=BB67_2 Depth=1
	s_or_b64 exec, exec, s[16:17]
	v_add_u32_e32 v67, 1, v60
	v_add_u32_e32 v66, 1, v61
	v_cndmask_b32_e64 v67, v67, v60, s[14:15]
	v_cndmask_b32_e64 v66, v61, v66, s[14:15]
	v_cmp_ge_i32_e64 s[18:19], v67, v21
	s_waitcnt lgkmcnt(0)
	v_cmp_lt_i16_sdwa s[20:21], sext(v65), sext(v64) src0_sel:BYTE_0 src1_sel:BYTE_0
	v_cmp_lt_i32_e64 s[16:17], v66, v22
	s_or_b64 s[18:19], s[18:19], s[20:21]
	s_and_b64 s[16:17], s[16:17], s[18:19]
	s_xor_b64 s[18:19], s[16:17], -1
                                        ; implicit-def: $vgpr68
	s_and_saveexec_b64 s[20:21], s[18:19]
	s_xor_b64 s[18:19], exec, s[20:21]
	s_cbranch_execz .LBB67_60
; %bb.59:                               ;   in Loop: Header=BB67_2 Depth=1
	ds_read_u8 v68, v67 offset:1
.LBB67_60:                              ;   in Loop: Header=BB67_2 Depth=1
	s_or_saveexec_b64 s[18:19], s[18:19]
	v_mov_b32_e32 v69, v65
	s_xor_b64 exec, exec, s[18:19]
	s_cbranch_execz .LBB67_62
; %bb.61:                               ;   in Loop: Header=BB67_2 Depth=1
	ds_read_u8 v69, v66 offset:1
	s_waitcnt lgkmcnt(1)
	v_mov_b32_e32 v68, v64
.LBB67_62:                              ;   in Loop: Header=BB67_2 Depth=1
	s_or_b64 exec, exec, s[18:19]
	v_add_u32_e32 v71, 1, v67
	v_add_u32_e32 v70, 1, v66
	v_cndmask_b32_e64 v71, v71, v67, s[16:17]
	v_cndmask_b32_e64 v70, v66, v70, s[16:17]
	v_cmp_ge_i32_e64 s[20:21], v71, v21
	s_waitcnt lgkmcnt(0)
	v_cmp_lt_i16_sdwa s[22:23], sext(v69), sext(v68) src0_sel:BYTE_0 src1_sel:BYTE_0
	v_cmp_lt_i32_e64 s[18:19], v70, v22
	s_or_b64 s[20:21], s[20:21], s[22:23]
	s_and_b64 s[18:19], s[18:19], s[20:21]
	s_xor_b64 s[20:21], s[18:19], -1
                                        ; implicit-def: $vgpr72
	s_and_saveexec_b64 s[22:23], s[20:21]
	s_xor_b64 s[20:21], exec, s[22:23]
	s_cbranch_execz .LBB67_64
; %bb.63:                               ;   in Loop: Header=BB67_2 Depth=1
	ds_read_u8 v72, v71 offset:1
.LBB67_64:                              ;   in Loop: Header=BB67_2 Depth=1
	s_or_saveexec_b64 s[20:21], s[20:21]
	v_mov_b32_e32 v73, v69
	s_xor_b64 exec, exec, s[20:21]
	s_cbranch_execz .LBB67_66
; %bb.65:                               ;   in Loop: Header=BB67_2 Depth=1
	ds_read_u8 v73, v70 offset:1
	s_waitcnt lgkmcnt(1)
	v_mov_b32_e32 v72, v68
.LBB67_66:                              ;   in Loop: Header=BB67_2 Depth=1
	s_or_b64 exec, exec, s[20:21]
	v_add_u32_e32 v74, 1, v71
	v_cndmask_b32_e64 v68, v68, v69, s[18:19]
	v_add_u32_e32 v69, 1, v70
	v_cndmask_b32_e64 v74, v74, v71, s[18:19]
	v_cndmask_b32_e64 v69, v70, v69, s[18:19]
	;; [unrolled: 1-line block ×5, first 2 shown]
	v_cmp_ge_i32_e64 s[16:17], v74, v21
	s_waitcnt lgkmcnt(0)
	v_cmp_lt_i16_sdwa s[18:19], sext(v73), sext(v72) src0_sel:BYTE_0 src1_sel:BYTE_0
	v_cndmask_b32_e64 v62, v62, v63, s[14:15]
	v_cndmask_b32_e64 v60, v60, v61, s[14:15]
	v_cmp_lt_i32_e64 s[14:15], v69, v22
	s_or_b64 s[16:17], s[16:17], s[18:19]
	s_and_b64 s[14:15], s[14:15], s[16:17]
	v_cndmask_b32_e64 v63, v74, v69, s[14:15]
	s_barrier
	ds_write_b8 v2, v57
	ds_write_b8 v2, v58 offset:1
	ds_write_b8 v2, v59 offset:2
	;; [unrolled: 1-line block ×3, first 2 shown]
	s_waitcnt lgkmcnt(0)
	s_barrier
	ds_read_u8 v56, v63
	ds_read_u8 v57, v60
	;; [unrolled: 1-line block ×4, first 2 shown]
	v_cndmask_b32_e64 v61, v72, v73, s[14:15]
	s_waitcnt lgkmcnt(0)
	s_barrier
	ds_write_b8 v2, v62
	ds_write_b8 v2, v64 offset:1
	ds_write_b8 v2, v68 offset:2
	;; [unrolled: 1-line block ×3, first 2 shown]
	v_mov_b32_e32 v61, v41
	s_waitcnt lgkmcnt(0)
	s_barrier
	s_and_saveexec_b64 s[16:17], s[6:7]
	s_cbranch_execz .LBB67_70
; %bb.67:                               ;   in Loop: Header=BB67_2 Depth=1
	s_mov_b64 s[18:19], 0
	v_mov_b32_e32 v61, v41
	v_mov_b32_e32 v60, v36
.LBB67_68:                              ;   Parent Loop BB67_2 Depth=1
                                        ; =>  This Inner Loop Header: Depth=2
	v_sub_u32_e32 v62, v60, v61
	v_lshrrev_b32_e32 v63, 31, v62
	v_add_u32_e32 v62, v62, v63
	v_ashrrev_i32_e32 v62, 1, v62
	v_add_u32_e32 v62, v62, v61
	v_not_b32_e32 v64, v62
	v_add_u32_e32 v63, v11, v62
	v_add3_u32 v64, v12, v64, v23
	ds_read_i8 v63, v63
	ds_read_i8 v64, v64
	v_add_u32_e32 v65, 1, v62
	s_waitcnt lgkmcnt(0)
	v_cmp_lt_i16_e64 s[14:15], v64, v63
	s_nop 1
	v_cndmask_b32_e64 v60, v60, v62, s[14:15]
	v_cndmask_b32_e64 v61, v65, v61, s[14:15]
	v_cmp_ge_i32_e64 s[14:15], v61, v60
	s_or_b64 s[18:19], s[14:15], s[18:19]
	s_andn2_b64 exec, exec, s[18:19]
	s_cbranch_execnz .LBB67_68
; %bb.69:                               ;   in Loop: Header=BB67_2 Depth=1
	s_or_b64 exec, exec, s[18:19]
.LBB67_70:                              ;   in Loop: Header=BB67_2 Depth=1
	s_or_b64 exec, exec, s[16:17]
	v_add_u32_e32 v60, v61, v11
	v_sub_u32_e32 v61, v31, v61
	ds_read_u8 v62, v60
	ds_read_u8 v63, v61
	v_cmp_le_i32_e64 s[16:17], v23, v60
	v_cmp_gt_i32_e64 s[14:15], v24, v61
                                        ; implicit-def: $vgpr64
	s_waitcnt lgkmcnt(1)
	v_bfe_i32 v62, v62, 0, 8
	s_waitcnt lgkmcnt(0)
	v_bfe_i32 v63, v63, 0, 8
	v_cmp_lt_i16_e64 s[18:19], v63, v62
	s_or_b64 s[16:17], s[16:17], s[18:19]
	s_and_b64 s[14:15], s[14:15], s[16:17]
	s_xor_b64 s[16:17], s[14:15], -1
	s_and_saveexec_b64 s[18:19], s[16:17]
	s_xor_b64 s[16:17], exec, s[18:19]
	s_cbranch_execz .LBB67_72
; %bb.71:                               ;   in Loop: Header=BB67_2 Depth=1
	ds_read_u8 v64, v60 offset:1
.LBB67_72:                              ;   in Loop: Header=BB67_2 Depth=1
	s_or_saveexec_b64 s[16:17], s[16:17]
	v_mov_b32_e32 v65, v63
	s_xor_b64 exec, exec, s[16:17]
	s_cbranch_execz .LBB67_74
; %bb.73:                               ;   in Loop: Header=BB67_2 Depth=1
	ds_read_u8 v65, v61 offset:1
	s_waitcnt lgkmcnt(1)
	v_mov_b32_e32 v64, v62
.LBB67_74:                              ;   in Loop: Header=BB67_2 Depth=1
	s_or_b64 exec, exec, s[16:17]
	v_add_u32_e32 v67, 1, v60
	v_add_u32_e32 v66, 1, v61
	v_cndmask_b32_e64 v67, v67, v60, s[14:15]
	v_cndmask_b32_e64 v66, v61, v66, s[14:15]
	v_cmp_ge_i32_e64 s[18:19], v67, v23
	s_waitcnt lgkmcnt(0)
	v_cmp_lt_i16_sdwa s[20:21], sext(v65), sext(v64) src0_sel:BYTE_0 src1_sel:BYTE_0
	v_cmp_lt_i32_e64 s[16:17], v66, v24
	s_or_b64 s[18:19], s[18:19], s[20:21]
	s_and_b64 s[16:17], s[16:17], s[18:19]
	s_xor_b64 s[18:19], s[16:17], -1
                                        ; implicit-def: $vgpr68
	s_and_saveexec_b64 s[20:21], s[18:19]
	s_xor_b64 s[18:19], exec, s[20:21]
	s_cbranch_execz .LBB67_76
; %bb.75:                               ;   in Loop: Header=BB67_2 Depth=1
	ds_read_u8 v68, v67 offset:1
.LBB67_76:                              ;   in Loop: Header=BB67_2 Depth=1
	s_or_saveexec_b64 s[18:19], s[18:19]
	v_mov_b32_e32 v69, v65
	s_xor_b64 exec, exec, s[18:19]
	s_cbranch_execz .LBB67_78
; %bb.77:                               ;   in Loop: Header=BB67_2 Depth=1
	ds_read_u8 v69, v66 offset:1
	s_waitcnt lgkmcnt(1)
	v_mov_b32_e32 v68, v64
.LBB67_78:                              ;   in Loop: Header=BB67_2 Depth=1
	s_or_b64 exec, exec, s[18:19]
	v_add_u32_e32 v71, 1, v67
	v_add_u32_e32 v70, 1, v66
	v_cndmask_b32_e64 v71, v71, v67, s[16:17]
	v_cndmask_b32_e64 v70, v66, v70, s[16:17]
	v_cmp_ge_i32_e64 s[20:21], v71, v23
	s_waitcnt lgkmcnt(0)
	v_cmp_lt_i16_sdwa s[22:23], sext(v69), sext(v68) src0_sel:BYTE_0 src1_sel:BYTE_0
	v_cmp_lt_i32_e64 s[18:19], v70, v24
	s_or_b64 s[20:21], s[20:21], s[22:23]
	s_and_b64 s[18:19], s[18:19], s[20:21]
	s_xor_b64 s[20:21], s[18:19], -1
                                        ; implicit-def: $vgpr72
	s_and_saveexec_b64 s[22:23], s[20:21]
	s_xor_b64 s[20:21], exec, s[22:23]
	s_cbranch_execz .LBB67_80
; %bb.79:                               ;   in Loop: Header=BB67_2 Depth=1
	ds_read_u8 v72, v71 offset:1
.LBB67_80:                              ;   in Loop: Header=BB67_2 Depth=1
	s_or_saveexec_b64 s[20:21], s[20:21]
	v_mov_b32_e32 v73, v69
	s_xor_b64 exec, exec, s[20:21]
	s_cbranch_execz .LBB67_82
; %bb.81:                               ;   in Loop: Header=BB67_2 Depth=1
	ds_read_u8 v73, v70 offset:1
	s_waitcnt lgkmcnt(1)
	v_mov_b32_e32 v72, v68
.LBB67_82:                              ;   in Loop: Header=BB67_2 Depth=1
	s_or_b64 exec, exec, s[20:21]
	v_add_u32_e32 v74, 1, v71
	v_cndmask_b32_e64 v68, v68, v69, s[18:19]
	v_add_u32_e32 v69, 1, v70
	v_cndmask_b32_e64 v74, v74, v71, s[18:19]
	v_cndmask_b32_e64 v69, v70, v69, s[18:19]
	;; [unrolled: 1-line block ×5, first 2 shown]
	v_cmp_ge_i32_e64 s[16:17], v74, v23
	s_waitcnt lgkmcnt(0)
	v_cmp_lt_i16_sdwa s[18:19], sext(v73), sext(v72) src0_sel:BYTE_0 src1_sel:BYTE_0
	v_cndmask_b32_e64 v62, v62, v63, s[14:15]
	v_cndmask_b32_e64 v60, v60, v61, s[14:15]
	v_cmp_lt_i32_e64 s[14:15], v69, v24
	s_or_b64 s[16:17], s[16:17], s[18:19]
	s_and_b64 s[14:15], s[14:15], s[16:17]
	v_cndmask_b32_e64 v63, v74, v69, s[14:15]
	s_barrier
	ds_write_b8 v2, v57
	ds_write_b8 v2, v58 offset:1
	ds_write_b8 v2, v59 offset:2
	;; [unrolled: 1-line block ×3, first 2 shown]
	s_waitcnt lgkmcnt(0)
	s_barrier
	ds_read_u8 v56, v63
	ds_read_u8 v57, v60
	;; [unrolled: 1-line block ×4, first 2 shown]
	v_cndmask_b32_e64 v61, v72, v73, s[14:15]
	s_waitcnt lgkmcnt(0)
	s_barrier
	ds_write_b8 v2, v62
	ds_write_b8 v2, v64 offset:1
	ds_write_b8 v2, v68 offset:2
	;; [unrolled: 1-line block ×3, first 2 shown]
	v_mov_b32_e32 v61, v42
	s_waitcnt lgkmcnt(0)
	s_barrier
	s_and_saveexec_b64 s[16:17], s[8:9]
	s_cbranch_execz .LBB67_86
; %bb.83:                               ;   in Loop: Header=BB67_2 Depth=1
	s_mov_b64 s[18:19], 0
	v_mov_b32_e32 v61, v42
	v_mov_b32_e32 v60, v43
.LBB67_84:                              ;   Parent Loop BB67_2 Depth=1
                                        ; =>  This Inner Loop Header: Depth=2
	v_sub_u32_e32 v62, v60, v61
	v_lshrrev_b32_e32 v63, 31, v62
	v_add_u32_e32 v62, v62, v63
	v_ashrrev_i32_e32 v62, 1, v62
	v_add_u32_e32 v62, v62, v61
	v_not_b32_e32 v64, v62
	v_add_u32_e32 v63, v13, v62
	v_add3_u32 v64, v14, v64, v25
	ds_read_i8 v63, v63
	ds_read_i8 v64, v64
	v_add_u32_e32 v65, 1, v62
	s_waitcnt lgkmcnt(0)
	v_cmp_lt_i16_e64 s[14:15], v64, v63
	s_nop 1
	v_cndmask_b32_e64 v60, v60, v62, s[14:15]
	v_cndmask_b32_e64 v61, v65, v61, s[14:15]
	v_cmp_ge_i32_e64 s[14:15], v61, v60
	s_or_b64 s[18:19], s[14:15], s[18:19]
	s_andn2_b64 exec, exec, s[18:19]
	s_cbranch_execnz .LBB67_84
; %bb.85:                               ;   in Loop: Header=BB67_2 Depth=1
	s_or_b64 exec, exec, s[18:19]
.LBB67_86:                              ;   in Loop: Header=BB67_2 Depth=1
	s_or_b64 exec, exec, s[16:17]
	v_add_u32_e32 v60, v61, v13
	v_sub_u32_e32 v61, v44, v61
	ds_read_u8 v62, v60
	ds_read_u8 v63, v61
	v_cmp_le_i32_e64 s[16:17], v25, v60
	v_cmp_gt_i32_e64 s[14:15], v26, v61
                                        ; implicit-def: $vgpr64
	s_waitcnt lgkmcnt(1)
	v_bfe_i32 v62, v62, 0, 8
	s_waitcnt lgkmcnt(0)
	v_bfe_i32 v63, v63, 0, 8
	v_cmp_lt_i16_e64 s[18:19], v63, v62
	s_or_b64 s[16:17], s[16:17], s[18:19]
	s_and_b64 s[14:15], s[14:15], s[16:17]
	s_xor_b64 s[16:17], s[14:15], -1
	s_and_saveexec_b64 s[18:19], s[16:17]
	s_xor_b64 s[16:17], exec, s[18:19]
	s_cbranch_execz .LBB67_88
; %bb.87:                               ;   in Loop: Header=BB67_2 Depth=1
	ds_read_u8 v64, v60 offset:1
.LBB67_88:                              ;   in Loop: Header=BB67_2 Depth=1
	s_or_saveexec_b64 s[16:17], s[16:17]
	v_mov_b32_e32 v65, v63
	s_xor_b64 exec, exec, s[16:17]
	s_cbranch_execz .LBB67_90
; %bb.89:                               ;   in Loop: Header=BB67_2 Depth=1
	ds_read_u8 v65, v61 offset:1
	s_waitcnt lgkmcnt(1)
	v_mov_b32_e32 v64, v62
.LBB67_90:                              ;   in Loop: Header=BB67_2 Depth=1
	s_or_b64 exec, exec, s[16:17]
	v_add_u32_e32 v67, 1, v60
	v_add_u32_e32 v66, 1, v61
	v_cndmask_b32_e64 v67, v67, v60, s[14:15]
	v_cndmask_b32_e64 v66, v61, v66, s[14:15]
	v_cmp_ge_i32_e64 s[18:19], v67, v25
	s_waitcnt lgkmcnt(0)
	v_cmp_lt_i16_sdwa s[20:21], sext(v65), sext(v64) src0_sel:BYTE_0 src1_sel:BYTE_0
	v_cmp_lt_i32_e64 s[16:17], v66, v26
	s_or_b64 s[18:19], s[18:19], s[20:21]
	s_and_b64 s[16:17], s[16:17], s[18:19]
	s_xor_b64 s[18:19], s[16:17], -1
                                        ; implicit-def: $vgpr68
	s_and_saveexec_b64 s[20:21], s[18:19]
	s_xor_b64 s[18:19], exec, s[20:21]
	s_cbranch_execz .LBB67_92
; %bb.91:                               ;   in Loop: Header=BB67_2 Depth=1
	ds_read_u8 v68, v67 offset:1
.LBB67_92:                              ;   in Loop: Header=BB67_2 Depth=1
	s_or_saveexec_b64 s[18:19], s[18:19]
	v_mov_b32_e32 v69, v65
	s_xor_b64 exec, exec, s[18:19]
	s_cbranch_execz .LBB67_94
; %bb.93:                               ;   in Loop: Header=BB67_2 Depth=1
	ds_read_u8 v69, v66 offset:1
	s_waitcnt lgkmcnt(1)
	v_mov_b32_e32 v68, v64
.LBB67_94:                              ;   in Loop: Header=BB67_2 Depth=1
	s_or_b64 exec, exec, s[18:19]
	v_add_u32_e32 v71, 1, v67
	v_add_u32_e32 v70, 1, v66
	v_cndmask_b32_e64 v71, v71, v67, s[16:17]
	v_cndmask_b32_e64 v70, v66, v70, s[16:17]
	v_cmp_ge_i32_e64 s[20:21], v71, v25
	s_waitcnt lgkmcnt(0)
	v_cmp_lt_i16_sdwa s[22:23], sext(v69), sext(v68) src0_sel:BYTE_0 src1_sel:BYTE_0
	v_cmp_lt_i32_e64 s[18:19], v70, v26
	s_or_b64 s[20:21], s[20:21], s[22:23]
	s_and_b64 s[18:19], s[18:19], s[20:21]
	s_xor_b64 s[20:21], s[18:19], -1
                                        ; implicit-def: $vgpr72
	s_and_saveexec_b64 s[22:23], s[20:21]
	s_xor_b64 s[20:21], exec, s[22:23]
	s_cbranch_execz .LBB67_96
; %bb.95:                               ;   in Loop: Header=BB67_2 Depth=1
	ds_read_u8 v72, v71 offset:1
.LBB67_96:                              ;   in Loop: Header=BB67_2 Depth=1
	s_or_saveexec_b64 s[20:21], s[20:21]
	v_mov_b32_e32 v73, v69
	s_xor_b64 exec, exec, s[20:21]
	s_cbranch_execz .LBB67_98
; %bb.97:                               ;   in Loop: Header=BB67_2 Depth=1
	ds_read_u8 v73, v70 offset:1
	s_waitcnt lgkmcnt(1)
	v_mov_b32_e32 v72, v68
.LBB67_98:                              ;   in Loop: Header=BB67_2 Depth=1
	s_or_b64 exec, exec, s[20:21]
	v_add_u32_e32 v74, 1, v71
	v_cndmask_b32_e64 v68, v68, v69, s[18:19]
	v_add_u32_e32 v69, 1, v70
	v_cndmask_b32_e64 v74, v74, v71, s[18:19]
	v_cndmask_b32_e64 v69, v70, v69, s[18:19]
	;; [unrolled: 1-line block ×5, first 2 shown]
	v_cmp_ge_i32_e64 s[16:17], v74, v25
	s_waitcnt lgkmcnt(0)
	v_cmp_lt_i16_sdwa s[18:19], sext(v73), sext(v72) src0_sel:BYTE_0 src1_sel:BYTE_0
	v_cndmask_b32_e64 v62, v62, v63, s[14:15]
	v_cndmask_b32_e64 v60, v60, v61, s[14:15]
	v_cmp_lt_i32_e64 s[14:15], v69, v26
	s_or_b64 s[16:17], s[16:17], s[18:19]
	s_and_b64 s[14:15], s[14:15], s[16:17]
	v_cndmask_b32_e64 v63, v74, v69, s[14:15]
	s_barrier
	ds_write_b8 v2, v57
	ds_write_b8 v2, v58 offset:1
	ds_write_b8 v2, v59 offset:2
	;; [unrolled: 1-line block ×3, first 2 shown]
	s_waitcnt lgkmcnt(0)
	s_barrier
	ds_read_u8 v56, v63
	ds_read_u8 v57, v60
	;; [unrolled: 1-line block ×4, first 2 shown]
	v_cndmask_b32_e64 v61, v72, v73, s[14:15]
	s_waitcnt lgkmcnt(0)
	s_barrier
	ds_write_b8 v2, v62
	ds_write_b8 v2, v64 offset:1
	ds_write_b8 v2, v68 offset:2
	;; [unrolled: 1-line block ×3, first 2 shown]
	v_mov_b32_e32 v61, v50
	s_waitcnt lgkmcnt(0)
	s_barrier
	s_and_saveexec_b64 s[16:17], s[10:11]
	s_cbranch_execz .LBB67_102
; %bb.99:                               ;   in Loop: Header=BB67_2 Depth=1
	s_mov_b64 s[18:19], 0
	v_mov_b32_e32 v61, v50
	v_mov_b32_e32 v60, v51
.LBB67_100:                             ;   Parent Loop BB67_2 Depth=1
                                        ; =>  This Inner Loop Header: Depth=2
	v_sub_u32_e32 v62, v60, v61
	v_lshrrev_b32_e32 v63, 31, v62
	v_add_u32_e32 v62, v62, v63
	v_ashrrev_i32_e32 v62, 1, v62
	v_add_u32_e32 v62, v62, v61
	v_not_b32_e32 v64, v62
	v_add_u32_e32 v63, v46, v62
	v_add3_u32 v64, v47, v64, v48
	ds_read_i8 v63, v63
	ds_read_i8 v64, v64
	v_add_u32_e32 v65, 1, v62
	s_waitcnt lgkmcnt(0)
	v_cmp_lt_i16_e64 s[14:15], v64, v63
	s_nop 1
	v_cndmask_b32_e64 v60, v60, v62, s[14:15]
	v_cndmask_b32_e64 v61, v65, v61, s[14:15]
	v_cmp_ge_i32_e64 s[14:15], v61, v60
	s_or_b64 s[18:19], s[14:15], s[18:19]
	s_andn2_b64 exec, exec, s[18:19]
	s_cbranch_execnz .LBB67_100
; %bb.101:                              ;   in Loop: Header=BB67_2 Depth=1
	s_or_b64 exec, exec, s[18:19]
.LBB67_102:                             ;   in Loop: Header=BB67_2 Depth=1
	s_or_b64 exec, exec, s[16:17]
	v_add_u32_e32 v60, v61, v46
	v_sub_u32_e32 v61, v52, v61
	ds_read_u8 v62, v60
	ds_read_u8 v63, v61
	v_cmp_le_i32_e64 s[16:17], v48, v60
	v_cmp_gt_i32_e64 s[14:15], v49, v61
                                        ; implicit-def: $vgpr64
	s_waitcnt lgkmcnt(1)
	v_bfe_i32 v62, v62, 0, 8
	s_waitcnt lgkmcnt(0)
	v_bfe_i32 v63, v63, 0, 8
	v_cmp_lt_i16_e64 s[18:19], v63, v62
	s_or_b64 s[16:17], s[16:17], s[18:19]
	s_and_b64 s[14:15], s[14:15], s[16:17]
	s_xor_b64 s[16:17], s[14:15], -1
	s_and_saveexec_b64 s[18:19], s[16:17]
	s_xor_b64 s[16:17], exec, s[18:19]
	s_cbranch_execz .LBB67_104
; %bb.103:                              ;   in Loop: Header=BB67_2 Depth=1
	ds_read_u8 v64, v60 offset:1
.LBB67_104:                             ;   in Loop: Header=BB67_2 Depth=1
	s_or_saveexec_b64 s[16:17], s[16:17]
	v_mov_b32_e32 v65, v63
	s_xor_b64 exec, exec, s[16:17]
	s_cbranch_execz .LBB67_106
; %bb.105:                              ;   in Loop: Header=BB67_2 Depth=1
	ds_read_u8 v65, v61 offset:1
	s_waitcnt lgkmcnt(1)
	v_mov_b32_e32 v64, v62
.LBB67_106:                             ;   in Loop: Header=BB67_2 Depth=1
	s_or_b64 exec, exec, s[16:17]
	v_add_u32_e32 v67, 1, v60
	v_add_u32_e32 v66, 1, v61
	v_cndmask_b32_e64 v67, v67, v60, s[14:15]
	v_cndmask_b32_e64 v66, v61, v66, s[14:15]
	v_cmp_ge_i32_e64 s[18:19], v67, v48
	s_waitcnt lgkmcnt(0)
	v_cmp_lt_i16_sdwa s[20:21], sext(v65), sext(v64) src0_sel:BYTE_0 src1_sel:BYTE_0
	v_cmp_lt_i32_e64 s[16:17], v66, v49
	s_or_b64 s[18:19], s[18:19], s[20:21]
	s_and_b64 s[16:17], s[16:17], s[18:19]
	s_xor_b64 s[18:19], s[16:17], -1
                                        ; implicit-def: $vgpr68
	s_and_saveexec_b64 s[20:21], s[18:19]
	s_xor_b64 s[18:19], exec, s[20:21]
	s_cbranch_execz .LBB67_108
; %bb.107:                              ;   in Loop: Header=BB67_2 Depth=1
	ds_read_u8 v68, v67 offset:1
.LBB67_108:                             ;   in Loop: Header=BB67_2 Depth=1
	s_or_saveexec_b64 s[18:19], s[18:19]
	v_mov_b32_e32 v69, v65
	s_xor_b64 exec, exec, s[18:19]
	s_cbranch_execz .LBB67_110
; %bb.109:                              ;   in Loop: Header=BB67_2 Depth=1
	ds_read_u8 v69, v66 offset:1
	s_waitcnt lgkmcnt(1)
	v_mov_b32_e32 v68, v64
.LBB67_110:                             ;   in Loop: Header=BB67_2 Depth=1
	s_or_b64 exec, exec, s[18:19]
	v_add_u32_e32 v71, 1, v67
	v_add_u32_e32 v70, 1, v66
	v_cndmask_b32_e64 v71, v71, v67, s[16:17]
	v_cndmask_b32_e64 v70, v66, v70, s[16:17]
	v_cmp_ge_i32_e64 s[20:21], v71, v48
	s_waitcnt lgkmcnt(0)
	v_cmp_lt_i16_sdwa s[22:23], sext(v69), sext(v68) src0_sel:BYTE_0 src1_sel:BYTE_0
	v_cmp_lt_i32_e64 s[18:19], v70, v49
	s_or_b64 s[20:21], s[20:21], s[22:23]
	s_and_b64 s[18:19], s[18:19], s[20:21]
	s_xor_b64 s[20:21], s[18:19], -1
                                        ; implicit-def: $vgpr72
	s_and_saveexec_b64 s[22:23], s[20:21]
	s_xor_b64 s[20:21], exec, s[22:23]
	s_cbranch_execz .LBB67_112
; %bb.111:                              ;   in Loop: Header=BB67_2 Depth=1
	ds_read_u8 v72, v71 offset:1
.LBB67_112:                             ;   in Loop: Header=BB67_2 Depth=1
	s_or_saveexec_b64 s[20:21], s[20:21]
	v_mov_b32_e32 v73, v69
	s_xor_b64 exec, exec, s[20:21]
	s_cbranch_execz .LBB67_114
; %bb.113:                              ;   in Loop: Header=BB67_2 Depth=1
	ds_read_u8 v73, v70 offset:1
	s_waitcnt lgkmcnt(1)
	v_mov_b32_e32 v72, v68
.LBB67_114:                             ;   in Loop: Header=BB67_2 Depth=1
	s_or_b64 exec, exec, s[20:21]
	v_add_u32_e32 v74, 1, v71
	v_cndmask_b32_e64 v68, v68, v69, s[18:19]
	v_add_u32_e32 v69, 1, v70
	v_cndmask_b32_e64 v74, v74, v71, s[18:19]
	v_cndmask_b32_e64 v69, v70, v69, s[18:19]
	;; [unrolled: 1-line block ×5, first 2 shown]
	v_cmp_ge_i32_e64 s[16:17], v74, v48
	s_waitcnt lgkmcnt(0)
	v_cmp_lt_i16_sdwa s[18:19], sext(v73), sext(v72) src0_sel:BYTE_0 src1_sel:BYTE_0
	v_cndmask_b32_e64 v62, v62, v63, s[14:15]
	v_cndmask_b32_e64 v60, v60, v61, s[14:15]
	v_cmp_lt_i32_e64 s[14:15], v69, v49
	s_or_b64 s[16:17], s[16:17], s[18:19]
	s_and_b64 s[14:15], s[14:15], s[16:17]
	v_cndmask_b32_e64 v63, v74, v69, s[14:15]
	s_barrier
	ds_write_b8 v2, v57
	ds_write_b8 v2, v58 offset:1
	ds_write_b8 v2, v59 offset:2
	;; [unrolled: 1-line block ×3, first 2 shown]
	s_waitcnt lgkmcnt(0)
	s_barrier
	ds_read_u8 v56, v63
	ds_read_u8 v57, v60
	;; [unrolled: 1-line block ×4, first 2 shown]
	v_mov_b32_e32 v60, v53
	v_cndmask_b32_e64 v61, v72, v73, s[14:15]
	s_waitcnt lgkmcnt(0)
	s_barrier
	ds_write_b8 v2, v62
	ds_write_b8 v2, v64 offset:1
	ds_write_b8 v2, v68 offset:2
	;; [unrolled: 1-line block ×3, first 2 shown]
	s_waitcnt lgkmcnt(0)
	s_barrier
	s_and_saveexec_b64 s[16:17], s[12:13]
	s_cbranch_execz .LBB67_118
; %bb.115:                              ;   in Loop: Header=BB67_2 Depth=1
	s_mov_b64 s[18:19], 0
	v_mov_b32_e32 v60, v53
	v_mov_b32_e32 v61, v54
.LBB67_116:                             ;   Parent Loop BB67_2 Depth=1
                                        ; =>  This Inner Loop Header: Depth=2
	v_sub_u32_e32 v62, v61, v60
	v_lshrrev_b32_e32 v63, 31, v62
	v_add_u32_e32 v62, v62, v63
	v_ashrrev_i32_e32 v62, 1, v62
	v_add_u32_e32 v62, v62, v60
	v_not_b32_e32 v63, v62
	v_add3_u32 v63, v2, v63, v45
	ds_read_i8 v64, v62
	ds_read_i8 v63, v63
	v_add_u32_e32 v65, 1, v62
	s_waitcnt lgkmcnt(0)
	v_cmp_lt_i16_e64 s[14:15], v63, v64
	s_nop 1
	v_cndmask_b32_e64 v61, v61, v62, s[14:15]
	v_cndmask_b32_e64 v60, v65, v60, s[14:15]
	v_cmp_ge_i32_e64 s[14:15], v60, v61
	s_or_b64 s[18:19], s[14:15], s[18:19]
	s_andn2_b64 exec, exec, s[18:19]
	s_cbranch_execnz .LBB67_116
; %bb.117:                              ;   in Loop: Header=BB67_2 Depth=1
	s_or_b64 exec, exec, s[18:19]
.LBB67_118:                             ;   in Loop: Header=BB67_2 Depth=1
	s_or_b64 exec, exec, s[16:17]
	v_sub_u32_e32 v61, v55, v60
	ds_read_u8 v62, v60
	ds_read_u8 v63, v61
	v_cmp_le_i32_e64 s[16:17], v45, v60
	v_cmp_gt_i32_e64 s[14:15], s45, v61
                                        ; implicit-def: $vgpr64
	s_waitcnt lgkmcnt(1)
	v_bfe_i32 v62, v62, 0, 8
	s_waitcnt lgkmcnt(0)
	v_bfe_i32 v63, v63, 0, 8
	v_cmp_lt_i16_e64 s[18:19], v63, v62
	s_or_b64 s[16:17], s[16:17], s[18:19]
	s_and_b64 s[14:15], s[14:15], s[16:17]
	s_xor_b64 s[16:17], s[14:15], -1
	s_and_saveexec_b64 s[18:19], s[16:17]
	s_xor_b64 s[16:17], exec, s[18:19]
	s_cbranch_execz .LBB67_120
; %bb.119:                              ;   in Loop: Header=BB67_2 Depth=1
	ds_read_u8 v64, v60 offset:1
.LBB67_120:                             ;   in Loop: Header=BB67_2 Depth=1
	s_or_saveexec_b64 s[16:17], s[16:17]
	v_mov_b32_e32 v65, v63
	s_xor_b64 exec, exec, s[16:17]
	s_cbranch_execz .LBB67_122
; %bb.121:                              ;   in Loop: Header=BB67_2 Depth=1
	ds_read_u8 v65, v61 offset:1
	s_waitcnt lgkmcnt(1)
	v_mov_b32_e32 v64, v62
.LBB67_122:                             ;   in Loop: Header=BB67_2 Depth=1
	s_or_b64 exec, exec, s[16:17]
	v_add_u32_e32 v67, 1, v60
	v_add_u32_e32 v66, 1, v61
	v_cndmask_b32_e64 v67, v67, v60, s[14:15]
	v_cndmask_b32_e64 v66, v61, v66, s[14:15]
	v_cmp_ge_i32_e64 s[18:19], v67, v45
	s_waitcnt lgkmcnt(0)
	v_cmp_lt_i16_sdwa s[20:21], sext(v65), sext(v64) src0_sel:BYTE_0 src1_sel:BYTE_0
	v_cmp_gt_i32_e64 s[16:17], s45, v66
	s_or_b64 s[18:19], s[18:19], s[20:21]
	s_and_b64 s[16:17], s[16:17], s[18:19]
	s_xor_b64 s[18:19], s[16:17], -1
                                        ; implicit-def: $vgpr68
	s_and_saveexec_b64 s[20:21], s[18:19]
	s_xor_b64 s[18:19], exec, s[20:21]
	s_cbranch_execz .LBB67_124
; %bb.123:                              ;   in Loop: Header=BB67_2 Depth=1
	ds_read_u8 v68, v67 offset:1
.LBB67_124:                             ;   in Loop: Header=BB67_2 Depth=1
	s_or_saveexec_b64 s[18:19], s[18:19]
	v_mov_b32_e32 v69, v65
	s_xor_b64 exec, exec, s[18:19]
	s_cbranch_execz .LBB67_126
; %bb.125:                              ;   in Loop: Header=BB67_2 Depth=1
	ds_read_u8 v69, v66 offset:1
	s_waitcnt lgkmcnt(1)
	v_mov_b32_e32 v68, v64
.LBB67_126:                             ;   in Loop: Header=BB67_2 Depth=1
	s_or_b64 exec, exec, s[18:19]
	v_add_u32_e32 v71, 1, v67
	v_add_u32_e32 v70, 1, v66
	v_cndmask_b32_e64 v74, v71, v67, s[16:17]
	v_cndmask_b32_e64 v70, v66, v70, s[16:17]
	v_cmp_ge_i32_e64 s[20:21], v74, v45
	s_waitcnt lgkmcnt(0)
	v_cmp_lt_i16_sdwa s[22:23], sext(v69), sext(v68) src0_sel:BYTE_0 src1_sel:BYTE_0
	v_cmp_gt_i32_e64 s[18:19], s45, v70
	s_or_b64 s[20:21], s[20:21], s[22:23]
	s_and_b64 s[18:19], s[18:19], s[20:21]
	s_xor_b64 s[20:21], s[18:19], -1
                                        ; implicit-def: $vgpr72
                                        ; implicit-def: $vgpr71
	s_and_saveexec_b64 s[22:23], s[20:21]
	s_xor_b64 s[20:21], exec, s[22:23]
	s_cbranch_execz .LBB67_128
; %bb.127:                              ;   in Loop: Header=BB67_2 Depth=1
	ds_read_u8 v72, v74 offset:1
	v_add_u32_e32 v71, 1, v74
.LBB67_128:                             ;   in Loop: Header=BB67_2 Depth=1
	s_or_saveexec_b64 s[20:21], s[20:21]
	v_mov_b32_e32 v73, v74
	v_mov_b32_e32 v75, v69
	s_xor_b64 exec, exec, s[20:21]
	s_cbranch_execz .LBB67_1
; %bb.129:                              ;   in Loop: Header=BB67_2 Depth=1
	ds_read_u8 v75, v70 offset:1
	s_waitcnt lgkmcnt(1)
	v_add_u32_e32 v72, 1, v70
	v_mov_b32_e32 v73, v70
	v_mov_b32_e32 v71, v74
	;; [unrolled: 1-line block ×4, first 2 shown]
	s_branch .LBB67_1
.LBB67_130:
	s_add_u32 s0, s38, s33
	s_addc_u32 s1, s39, 0
	v_add_u16_e32 v2, v62, v61
	v_lshl_add_u64 v[0:1], s[0:1], 0, v[0:1]
	v_add_u16_e32 v3, v63, v65
	v_add_u16_e32 v4, v64, v58
	;; [unrolled: 1-line block ×3, first 2 shown]
	global_store_byte v[0:1], v2, off
	global_store_byte v[0:1], v3, off offset:256
	global_store_byte v[0:1], v4, off offset:512
	;; [unrolled: 1-line block ×3, first 2 shown]
	s_endpgm
	.section	.rodata,"a",@progbits
	.p2align	6, 0x0
	.amdhsa_kernel _Z17sort_pairs_kernelIaLj256ELj4EN10test_utils4lessELj10EEvPKT_PS2_T2_
		.amdhsa_group_segment_fixed_size 1025
		.amdhsa_private_segment_fixed_size 0
		.amdhsa_kernarg_size 20
		.amdhsa_user_sgpr_count 2
		.amdhsa_user_sgpr_dispatch_ptr 0
		.amdhsa_user_sgpr_queue_ptr 0
		.amdhsa_user_sgpr_kernarg_segment_ptr 1
		.amdhsa_user_sgpr_dispatch_id 0
		.amdhsa_user_sgpr_kernarg_preload_length 0
		.amdhsa_user_sgpr_kernarg_preload_offset 0
		.amdhsa_user_sgpr_private_segment_size 0
		.amdhsa_uses_dynamic_stack 0
		.amdhsa_enable_private_segment 0
		.amdhsa_system_sgpr_workgroup_id_x 1
		.amdhsa_system_sgpr_workgroup_id_y 0
		.amdhsa_system_sgpr_workgroup_id_z 0
		.amdhsa_system_sgpr_workgroup_info 0
		.amdhsa_system_vgpr_workitem_id 0
		.amdhsa_next_free_vgpr 76
		.amdhsa_next_free_sgpr 48
		.amdhsa_accum_offset 76
		.amdhsa_reserve_vcc 1
		.amdhsa_float_round_mode_32 0
		.amdhsa_float_round_mode_16_64 0
		.amdhsa_float_denorm_mode_32 3
		.amdhsa_float_denorm_mode_16_64 3
		.amdhsa_dx10_clamp 1
		.amdhsa_ieee_mode 1
		.amdhsa_fp16_overflow 0
		.amdhsa_tg_split 0
		.amdhsa_exception_fp_ieee_invalid_op 0
		.amdhsa_exception_fp_denorm_src 0
		.amdhsa_exception_fp_ieee_div_zero 0
		.amdhsa_exception_fp_ieee_overflow 0
		.amdhsa_exception_fp_ieee_underflow 0
		.amdhsa_exception_fp_ieee_inexact 0
		.amdhsa_exception_int_div_zero 0
	.end_amdhsa_kernel
	.section	.text._Z17sort_pairs_kernelIaLj256ELj4EN10test_utils4lessELj10EEvPKT_PS2_T2_,"axG",@progbits,_Z17sort_pairs_kernelIaLj256ELj4EN10test_utils4lessELj10EEvPKT_PS2_T2_,comdat
.Lfunc_end67:
	.size	_Z17sort_pairs_kernelIaLj256ELj4EN10test_utils4lessELj10EEvPKT_PS2_T2_, .Lfunc_end67-_Z17sort_pairs_kernelIaLj256ELj4EN10test_utils4lessELj10EEvPKT_PS2_T2_
                                        ; -- End function
	.section	.AMDGPU.csdata,"",@progbits
; Kernel info:
; codeLenInByte = 7364
; NumSgprs: 54
; NumVgprs: 76
; NumAgprs: 0
; TotalNumVgprs: 76
; ScratchSize: 0
; MemoryBound: 0
; FloatMode: 240
; IeeeMode: 1
; LDSByteSize: 1025 bytes/workgroup (compile time only)
; SGPRBlocks: 6
; VGPRBlocks: 9
; NumSGPRsForWavesPerEU: 54
; NumVGPRsForWavesPerEU: 76
; AccumOffset: 76
; Occupancy: 6
; WaveLimiterHint : 1
; COMPUTE_PGM_RSRC2:SCRATCH_EN: 0
; COMPUTE_PGM_RSRC2:USER_SGPR: 2
; COMPUTE_PGM_RSRC2:TRAP_HANDLER: 0
; COMPUTE_PGM_RSRC2:TGID_X_EN: 1
; COMPUTE_PGM_RSRC2:TGID_Y_EN: 0
; COMPUTE_PGM_RSRC2:TGID_Z_EN: 0
; COMPUTE_PGM_RSRC2:TIDIG_COMP_CNT: 0
; COMPUTE_PGM_RSRC3_GFX90A:ACCUM_OFFSET: 18
; COMPUTE_PGM_RSRC3_GFX90A:TG_SPLIT: 0
	.section	.text._Z16sort_keys_kernelIaLj256ELj8EN10test_utils4lessELj10EEvPKT_PS2_T2_,"axG",@progbits,_Z16sort_keys_kernelIaLj256ELj8EN10test_utils4lessELj10EEvPKT_PS2_T2_,comdat
	.protected	_Z16sort_keys_kernelIaLj256ELj8EN10test_utils4lessELj10EEvPKT_PS2_T2_ ; -- Begin function _Z16sort_keys_kernelIaLj256ELj8EN10test_utils4lessELj10EEvPKT_PS2_T2_
	.globl	_Z16sort_keys_kernelIaLj256ELj8EN10test_utils4lessELj10EEvPKT_PS2_T2_
	.p2align	8
	.type	_Z16sort_keys_kernelIaLj256ELj8EN10test_utils4lessELj10EEvPKT_PS2_T2_,@function
_Z16sort_keys_kernelIaLj256ELj8EN10test_utils4lessELj10EEvPKT_PS2_T2_: ; @_Z16sort_keys_kernelIaLj256ELj8EN10test_utils4lessELj10EEvPKT_PS2_T2_
; %bb.0:
	s_load_dwordx4 s[28:31], s[0:1], 0x0
	s_lshl_b32 s33, s2, 11
	v_lshlrev_b32_e32 v2, 3, v0
	v_and_b32_e32 v46, 0x400, v2
	v_or_b32_e32 v48, 0x200, v46
	s_waitcnt lgkmcnt(0)
	s_add_u32 s0, s28, s33
	s_addc_u32 s1, s29, 0
	global_load_ubyte v52, v0, s[0:1]
	global_load_ubyte v53, v0, s[0:1] offset:256
	global_load_ubyte v54, v0, s[0:1] offset:512
	;; [unrolled: 1-line block ×7, first 2 shown]
	v_add_u32_e32 v49, 0x400, v46
	v_and_b32_e32 v3, 0x7f0, v2
	v_and_b32_e32 v10, 0x7e0, v2
	;; [unrolled: 1-line block ×7, first 2 shown]
	v_sub_u32_e32 v50, v49, v48
	v_or_b32_e32 v5, 8, v3
	v_add_u32_e32 v6, 16, v3
	v_or_b32_e32 v12, 16, v10
	v_add_u32_e32 v13, 32, v10
	;; [unrolled: 2-line block ×6, first 2 shown]
	v_sub_u32_e32 v51, v47, v50
	v_sub_u32_e32 v56, v48, v46
	v_cmp_ge_i32_e64 s[10:11], v47, v50
	v_and_b32_e32 v4, 8, v2
	v_sub_u32_e32 v7, v6, v5
	v_and_b32_e32 v11, 24, v2
	v_sub_u32_e32 v14, v13, v12
	v_and_b32_e32 v18, 56, v2
	v_sub_u32_e32 v21, v20, v19
	v_and_b32_e32 v25, 0x78, v2
	v_sub_u32_e32 v28, v27, v26
	v_and_b32_e32 v32, 0xf8, v2
	v_sub_u32_e32 v35, v34, v33
	v_and_b32_e32 v39, 0x1f8, v2
	v_sub_u32_e32 v42, v41, v40
	v_cndmask_b32_e64 v50, 0, v51, s[10:11]
	v_min_i32_e32 v51, v47, v56
	v_sub_u32_e32 v8, v5, v3
	v_sub_u32_e32 v9, v4, v7
	v_cmp_ge_i32_e32 vcc, v4, v7
	v_sub_u32_e32 v15, v12, v10
	v_sub_u32_e32 v16, v11, v14
	v_cmp_ge_i32_e64 s[0:1], v11, v14
	v_sub_u32_e32 v22, v19, v17
	v_sub_u32_e32 v23, v18, v21
	v_cmp_ge_i32_e64 s[2:3], v18, v21
	;; [unrolled: 3-line block ×5, first 2 shown]
	v_mov_b32_e32 v45, 0x400
	v_cndmask_b32_e32 v7, 0, v9, vcc
	v_min_i32_e32 v8, v4, v8
	v_cndmask_b32_e64 v14, 0, v16, s[0:1]
	v_min_i32_e32 v15, v11, v15
	v_cndmask_b32_e64 v21, 0, v23, s[2:3]
	;; [unrolled: 2-line block ×5, first 2 shown]
	v_min_i32_e32 v43, v39, v43
	s_mov_b32 s34, 0
	v_mov_b32_e32 v1, 0
	v_cmp_lt_i32_e32 vcc, v7, v8
	v_add_u32_e32 v9, v5, v4
	s_waitcnt vmcnt(6)
	v_lshlrev_b16_e32 v53, 8, v53
	v_or_b32_e32 v56, v52, v53
	s_waitcnt vmcnt(4)
	v_lshlrev_b16_e32 v53, 8, v55
	v_or_b32_sdwa v54, v54, v53 dst_sel:WORD_1 dst_unused:UNUSED_PAD src0_sel:DWORD src1_sel:DWORD
	s_waitcnt vmcnt(2)
	v_lshlrev_b16_e32 v55, 8, v58
	v_sub_u32_e64 v53, v2, v45 clamp
	s_waitcnt vmcnt(0)
	v_lshlrev_b16_e32 v58, 8, v60
	v_or_b32_sdwa v56, v56, v54 dst_sel:DWORD dst_unused:UNUSED_PAD src0_sel:WORD_0 src1_sel:DWORD
	v_min_i32_e32 v54, 0x400, v2
	v_or_b32_e32 v57, v57, v55
	v_or_b32_sdwa v58, v59, v58 dst_sel:WORD_1 dst_unused:UNUSED_PAD src0_sel:DWORD src1_sel:DWORD
	v_cmp_lt_i32_e64 s[0:1], v14, v15
	v_add_u32_e32 v16, v12, v11
	v_cmp_lt_i32_e64 s[2:3], v21, v22
	v_add_u32_e32 v23, v19, v18
	v_cmp_lt_i32_e64 s[4:5], v28, v29
	v_add_u32_e32 v30, v26, v25
	v_cmp_lt_i32_e64 s[6:7], v35, v36
	v_add_u32_e32 v37, v33, v32
	v_cmp_lt_i32_e64 s[8:9], v42, v43
	v_add_u32_e32 v44, v40, v39
	v_cmp_lt_i32_e64 s[10:11], v50, v51
	v_add_u32_e32 v52, v48, v47
	v_cmp_lt_i32_e64 s[12:13], v53, v54
	v_add_u32_e32 v55, 0x400, v2
	s_mov_b32 s35, 0xffff
	v_or_b32_sdwa v57, v57, v58 dst_sel:DWORD dst_unused:UNUSED_PAD src0_sel:WORD_0 src1_sel:DWORD
	s_mov_b32 s36, 0x7060405
	s_mov_b32 s37, 0xc0c0001
	;; [unrolled: 1-line block ×3, first 2 shown]
	s_movk_i32 s39, 0xff00
	s_movk_i32 s40, 0xff
	s_mov_b32 s41, 0x3020104
	s_mov_b32 s42, 0xffff0000
	s_movk_i32 s43, 0x800
	s_branch .LBB68_2
.LBB68_1:                               ;   in Loop: Header=BB68_2 Depth=1
	s_or_b64 exec, exec, s[28:29]
	v_cndmask_b32_e64 v58, v58, v59, s[16:17]
	v_cndmask_b32_e64 v59, v60, v61, s[18:19]
	v_cmp_ge_i32_e64 s[16:17], v72, v45
	s_waitcnt lgkmcnt(0)
	v_cmp_lt_i16_sdwa s[18:19], sext(v74), sext(v71) src0_sel:BYTE_0 src1_sel:BYTE_0
	v_cndmask_b32_e64 v73, v56, v57, s[14:15]
	v_cndmask_b32_e64 v60, v62, v63, s[20:21]
	v_cmp_gt_i32_e64 s[14:15], s43, v70
	s_or_b64 s[16:17], s[16:17], s[18:19]
	s_and_b64 s[14:15], s[14:15], s[16:17]
	v_lshlrev_b16_e32 v56, 8, v58
	v_lshlrev_b16_e32 v57, 8, v60
	v_cndmask_b32_e64 v61, v64, v65, s[22:23]
	v_cndmask_b32_e64 v62, v66, v67, s[24:25]
	v_cndmask_b32_e64 v64, v71, v74, s[14:15]
	v_or_b32_sdwa v56, v73, v56 dst_sel:DWORD dst_unused:UNUSED_PAD src0_sel:BYTE_0 src1_sel:DWORD
	v_or_b32_sdwa v57, v59, v57 dst_sel:WORD_1 dst_unused:UNUSED_PAD src0_sel:BYTE_0 src1_sel:DWORD
	v_cndmask_b32_e64 v63, v68, v69, s[26:27]
	v_or_b32_sdwa v56, v56, v57 dst_sel:DWORD dst_unused:UNUSED_PAD src0_sel:WORD_0 src1_sel:DWORD
	v_lshlrev_b16_e32 v57, 8, v62
	v_lshlrev_b16_e32 v65, 8, v64
	s_add_i32 s34, s34, 1
	v_or_b32_sdwa v57, v61, v57 dst_sel:DWORD dst_unused:UNUSED_PAD src0_sel:BYTE_0 src1_sel:DWORD
	v_or_b32_sdwa v65, v63, v65 dst_sel:WORD_1 dst_unused:UNUSED_PAD src0_sel:BYTE_0 src1_sel:DWORD
	s_cmp_eq_u32 s34, 10
	v_or_b32_sdwa v57, v57, v65 dst_sel:DWORD dst_unused:UNUSED_PAD src0_sel:WORD_0 src1_sel:DWORD
	s_cbranch_scc1 .LBB68_258
.LBB68_2:                               ; =>This Loop Header: Depth=1
                                        ;     Child Loop BB68_4 Depth 2
                                        ;     Child Loop BB68_36 Depth 2
	;; [unrolled: 1-line block ×8, first 2 shown]
	v_lshrrev_b32_e32 v59, 8, v56
	v_perm_b32 v58, v56, v56, s36
	v_cmp_lt_i16_sdwa s[14:15], sext(v59), sext(v56) src0_sel:BYTE_0 src1_sel:BYTE_0
	v_min_i16_sdwa v62, sext(v59), sext(v56) dst_sel:DWORD dst_unused:UNUSED_PAD src0_sel:BYTE_0 src1_sel:BYTE_0
	s_nop 0
	v_cndmask_b32_e64 v58, v56, v58, s[14:15]
	v_lshrrev_b32_e32 v60, 16, v58
	v_perm_b32 v61, 0, v60, s37
	v_max_i16_sdwa v56, sext(v59), sext(v56) dst_sel:DWORD dst_unused:UNUSED_PAD src0_sel:BYTE_0 src1_sel:BYTE_0
	v_lshrrev_b32_e32 v59, 24, v58
	v_lshlrev_b32_e32 v61, 16, v61
	v_and_or_b32 v61, v58, s35, v61
	v_cmp_lt_i16_sdwa s[14:15], sext(v59), sext(v60) src0_sel:BYTE_0 src1_sel:BYTE_0
	v_max_i16_sdwa v63, sext(v59), sext(v60) dst_sel:DWORD dst_unused:UNUSED_PAD src0_sel:BYTE_0 src1_sel:BYTE_0
	v_min_i16_sdwa v59, sext(v59), sext(v60) dst_sel:DWORD dst_unused:UNUSED_PAD src0_sel:BYTE_0 src1_sel:BYTE_0
	v_lshrrev_b32_e32 v60, 8, v57
	v_cndmask_b32_e64 v58, v58, v61, s[14:15]
	v_perm_b32 v61, v57, v57, s36
	v_cmp_lt_i16_sdwa s[14:15], sext(v60), sext(v57) src0_sel:BYTE_0 src1_sel:BYTE_0
	v_max_i16_sdwa v64, sext(v60), sext(v57) dst_sel:DWORD dst_unused:UNUSED_PAD src0_sel:BYTE_0 src1_sel:BYTE_0
	v_and_b32_sdwa v67, v58, s39 dst_sel:DWORD dst_unused:UNUSED_PAD src0_sel:WORD_1 src1_sel:DWORD
	v_cndmask_b32_e64 v61, v57, v61, s[14:15]
	v_min_i16_sdwa v57, sext(v60), sext(v57) dst_sel:DWORD dst_unused:UNUSED_PAD src0_sel:BYTE_0 src1_sel:BYTE_0
	v_lshrrev_b32_e32 v60, 24, v61
	v_lshrrev_b32_e32 v65, 16, v61
	v_perm_b32 v66, v61, v61, s38
	v_cmp_lt_i16_sdwa s[14:15], sext(v60), sext(v65) src0_sel:BYTE_0 src1_sel:BYTE_0
	v_or_b32_sdwa v67, v56, v67 dst_sel:WORD_1 dst_unused:UNUSED_PAD src0_sel:BYTE_0 src1_sel:DWORD
	v_lshlrev_b16_e32 v69, 8, v57
	v_cndmask_b32_e64 v61, v61, v66, s[14:15]
	v_max_i16_sdwa v66, sext(v60), sext(v65) dst_sel:DWORD dst_unused:UNUSED_PAD src0_sel:BYTE_0 src1_sel:BYTE_0
	v_min_i16_sdwa v60, sext(v60), sext(v65) dst_sel:DWORD dst_unused:UNUSED_PAD src0_sel:BYTE_0 src1_sel:BYTE_0
	v_lshlrev_b16_e32 v65, 8, v59
	v_or_b32_sdwa v65, v58, v65 dst_sel:DWORD dst_unused:UNUSED_PAD src0_sel:BYTE_0 src1_sel:DWORD
	v_or_b32_sdwa v65, v65, v67 dst_sel:DWORD dst_unused:UNUSED_PAD src0_sel:WORD_0 src1_sel:DWORD
	v_cmp_lt_i16_e64 s[14:15], v59, v56
	v_perm_b32 v67, v63, v61, s41
	v_max_i16_e32 v68, v59, v56
	v_cndmask_b32_e64 v58, v58, v65, s[14:15]
	v_and_b32_sdwa v65, v58, s40 dst_sel:DWORD dst_unused:UNUSED_PAD src0_sel:WORD_1 src1_sel:DWORD
	v_or_b32_sdwa v65, v65, v69 dst_sel:WORD_1 dst_unused:UNUSED_PAD src0_sel:DWORD src1_sel:DWORD
	v_cmp_lt_i16_e64 s[14:15], v57, v63
	v_and_or_b32 v65, v58, s35, v65
	v_min_i16_e32 v56, v59, v56
	v_cndmask_b32_e64 v61, v61, v67, s[14:15]
	v_cndmask_b32_e64 v58, v58, v65, s[14:15]
	v_and_b32_sdwa v65, v61, s39 dst_sel:DWORD dst_unused:UNUSED_PAD src0_sel:WORD_1 src1_sel:DWORD
	v_max_i16_e32 v67, v57, v63
	v_min_i16_e32 v57, v57, v63
	v_lshlrev_b16_e32 v63, 8, v60
	v_or_b32_sdwa v65, v64, v65 dst_sel:WORD_1 dst_unused:UNUSED_PAD src0_sel:BYTE_0 src1_sel:DWORD
	v_or_b32_sdwa v63, v61, v63 dst_sel:DWORD dst_unused:UNUSED_PAD src0_sel:BYTE_0 src1_sel:DWORD
	v_or_b32_sdwa v63, v63, v65 dst_sel:DWORD dst_unused:UNUSED_PAD src0_sel:WORD_0 src1_sel:DWORD
	v_lshlrev_b16_e32 v65, 8, v62
	v_or_b32_sdwa v65, v56, v65 dst_sel:DWORD dst_unused:UNUSED_PAD src0_sel:BYTE_0 src1_sel:DWORD
	v_cmp_lt_i16_e64 s[14:15], v60, v64
	v_and_b32_e32 v65, 0xffff, v65
	v_and_or_b32 v65, v58, s42, v65
	v_cndmask_b32_e64 v61, v61, v63, s[14:15]
	v_cmp_lt_i16_e64 s[14:15], v59, v62
	v_max_i16_e32 v63, v60, v64
	v_min_i16_e32 v60, v60, v64
	v_cndmask_b32_e64 v59, v62, v56, s[14:15]
	v_cndmask_b32_e64 v56, v56, v62, s[14:15]
	v_lshlrev_b16_e32 v62, 8, v68
	v_cndmask_b32_e64 v58, v58, v65, s[14:15]
	v_or_b32_sdwa v62, v57, v62 dst_sel:WORD_1 dst_unused:UNUSED_PAD src0_sel:BYTE_0 src1_sel:DWORD
	v_cmp_lt_i16_e64 s[14:15], v57, v68
	v_and_or_b32 v62, v58, s35, v62
	v_max_i16_e32 v65, v57, v68
	v_cndmask_b32_e64 v58, v58, v62, s[14:15]
	v_lshlrev_b16_e32 v62, 8, v67
	v_or_b32_sdwa v62, v60, v62 dst_sel:DWORD dst_unused:UNUSED_PAD src0_sel:BYTE_0 src1_sel:DWORD
	v_and_b32_e32 v62, 0xffff, v62
	v_and_or_b32 v62, v61, s42, v62
	v_cmp_lt_i16_e64 s[14:15], v60, v67
	v_min_i16_e32 v57, v57, v68
	v_and_b32_sdwa v68, v58, s39 dst_sel:DWORD dst_unused:UNUSED_PAD src0_sel:WORD_1 src1_sel:DWORD
	v_cndmask_b32_e64 v61, v61, v62, s[14:15]
	v_max_i16_e32 v62, v60, v67
	v_min_i16_e32 v60, v60, v67
	v_lshlrev_b16_e32 v67, 8, v63
	v_cmp_gt_i16_e64 s[14:15], v64, v66
	v_or_b32_sdwa v67, v66, v67 dst_sel:WORD_1 dst_unused:UNUSED_PAD src0_sel:BYTE_0 src1_sel:DWORD
	v_or_b32_sdwa v68, v56, v68 dst_sel:WORD_1 dst_unused:UNUSED_PAD src0_sel:BYTE_0 src1_sel:DWORD
	v_cndmask_b32_e64 v64, v66, v63, s[14:15]
	v_cndmask_b32_e64 v63, v63, v66, s[14:15]
	v_lshlrev_b16_e32 v66, 8, v57
	v_and_or_b32 v67, v61, s35, v67
	v_or_b32_sdwa v66, v58, v66 dst_sel:DWORD dst_unused:UNUSED_PAD src0_sel:BYTE_0 src1_sel:DWORD
	v_cndmask_b32_e64 v61, v61, v67, s[14:15]
	v_or_b32_sdwa v66, v66, v68 dst_sel:DWORD dst_unused:UNUSED_PAD src0_sel:WORD_0 src1_sel:DWORD
	v_cmp_lt_i16_e64 s[14:15], v57, v56
	v_max_i16_e32 v68, v57, v56
	v_min_i16_e32 v56, v57, v56
	v_cndmask_b32_e64 v58, v58, v66, s[14:15]
	v_and_b32_sdwa v66, v58, s40 dst_sel:DWORD dst_unused:UNUSED_PAD src0_sel:WORD_1 src1_sel:DWORD
	v_lshlrev_b16_e32 v57, 8, v60
	v_or_b32_sdwa v57, v66, v57 dst_sel:WORD_1 dst_unused:UNUSED_PAD src0_sel:DWORD src1_sel:DWORD
	v_perm_b32 v67, v65, v61, s41
	v_and_or_b32 v57, v58, s35, v57
	v_cmp_lt_i16_e64 s[14:15], v60, v65
	v_max_i16_e32 v66, v60, v65
	v_min_i16_e32 v60, v60, v65
	v_cndmask_b32_e64 v57, v58, v57, s[14:15]
	v_cndmask_b32_e64 v58, v61, v67, s[14:15]
	v_and_b32_sdwa v61, v58, s39 dst_sel:DWORD dst_unused:UNUSED_PAD src0_sel:WORD_1 src1_sel:DWORD
	v_lshlrev_b16_e32 v65, 8, v63
	v_or_b32_sdwa v61, v62, v61 dst_sel:WORD_1 dst_unused:UNUSED_PAD src0_sel:BYTE_0 src1_sel:DWORD
	v_or_b32_sdwa v65, v58, v65 dst_sel:DWORD dst_unused:UNUSED_PAD src0_sel:BYTE_0 src1_sel:DWORD
	v_or_b32_sdwa v61, v65, v61 dst_sel:DWORD dst_unused:UNUSED_PAD src0_sel:WORD_0 src1_sel:DWORD
	v_lshlrev_b16_e32 v65, 8, v59
	v_or_b32_sdwa v65, v56, v65 dst_sel:DWORD dst_unused:UNUSED_PAD src0_sel:BYTE_0 src1_sel:DWORD
	v_and_b32_e32 v65, 0xffff, v65
	v_cmp_lt_i16_e64 s[14:15], v63, v62
	v_and_or_b32 v65, v57, s42, v65
	s_barrier
	v_cndmask_b32_e64 v58, v58, v61, s[14:15]
	v_max_i16_e32 v61, v63, v62
	v_min_i16_e32 v62, v63, v62
	v_cmp_lt_i16_e64 s[14:15], v56, v59
	v_min_i16_e32 v63, v56, v59
	v_max_i16_e32 v56, v56, v59
	v_lshlrev_b16_e32 v59, 8, v68
	v_cndmask_b32_e64 v57, v57, v65, s[14:15]
	v_or_b32_sdwa v59, v60, v59 dst_sel:WORD_1 dst_unused:UNUSED_PAD src0_sel:BYTE_0 src1_sel:DWORD
	v_cmp_lt_i16_e64 s[14:15], v60, v68
	v_and_or_b32 v59, v57, s35, v59
	v_max_i16_e32 v65, v60, v68
	v_cndmask_b32_e64 v57, v57, v59, s[14:15]
	v_lshlrev_b16_e32 v59, 8, v66
	v_or_b32_sdwa v59, v62, v59 dst_sel:DWORD dst_unused:UNUSED_PAD src0_sel:BYTE_0 src1_sel:DWORD
	v_and_b32_e32 v59, 0xffff, v59
	v_and_or_b32 v59, v58, s42, v59
	v_cmp_lt_i16_e64 s[14:15], v62, v66
	v_min_i16_e32 v60, v60, v68
	v_and_b32_sdwa v67, v57, s39 dst_sel:DWORD dst_unused:UNUSED_PAD src0_sel:WORD_1 src1_sel:DWORD
	v_cndmask_b32_e64 v58, v58, v59, s[14:15]
	v_max_i16_e32 v59, v62, v66
	v_min_i16_e32 v62, v62, v66
	v_lshlrev_b16_e32 v66, 8, v61
	v_or_b32_sdwa v66, v64, v66 dst_sel:WORD_1 dst_unused:UNUSED_PAD src0_sel:BYTE_0 src1_sel:DWORD
	v_cmp_lt_i16_e64 s[14:15], v64, v61
	v_and_or_b32 v66, v58, s35, v66
	v_or_b32_sdwa v67, v56, v67 dst_sel:WORD_1 dst_unused:UNUSED_PAD src0_sel:BYTE_0 src1_sel:DWORD
	v_cndmask_b32_e64 v58, v58, v66, s[14:15]
	v_max_i16_e32 v66, v64, v61
	v_min_i16_e32 v61, v64, v61
	v_lshlrev_b16_e32 v64, 8, v60
	v_or_b32_sdwa v64, v57, v64 dst_sel:DWORD dst_unused:UNUSED_PAD src0_sel:BYTE_0 src1_sel:DWORD
	v_or_b32_sdwa v64, v64, v67 dst_sel:DWORD dst_unused:UNUSED_PAD src0_sel:WORD_0 src1_sel:DWORD
	v_cmp_lt_i16_e64 s[14:15], v60, v56
	v_lshlrev_b16_e32 v69, 8, v62
	v_perm_b32 v67, v65, v58, s41
	v_cndmask_b32_e64 v57, v57, v64, s[14:15]
	v_and_b32_sdwa v64, v57, s40 dst_sel:DWORD dst_unused:UNUSED_PAD src0_sel:WORD_1 src1_sel:DWORD
	v_or_b32_sdwa v64, v64, v69 dst_sel:WORD_1 dst_unused:UNUSED_PAD src0_sel:DWORD src1_sel:DWORD
	v_cmp_lt_i16_e64 s[14:15], v62, v65
	v_and_or_b32 v64, v57, s35, v64
	v_max_i16_e32 v68, v60, v56
	v_cndmask_b32_e64 v58, v58, v67, s[14:15]
	v_cndmask_b32_e64 v57, v57, v64, s[14:15]
	v_and_b32_sdwa v64, v58, s39 dst_sel:DWORD dst_unused:UNUSED_PAD src0_sel:WORD_1 src1_sel:DWORD
	v_max_i16_e32 v67, v62, v65
	v_min_i16_e32 v62, v62, v65
	v_lshlrev_b16_e32 v65, 8, v61
	v_or_b32_sdwa v64, v59, v64 dst_sel:WORD_1 dst_unused:UNUSED_PAD src0_sel:BYTE_0 src1_sel:DWORD
	v_or_b32_sdwa v65, v58, v65 dst_sel:DWORD dst_unused:UNUSED_PAD src0_sel:BYTE_0 src1_sel:DWORD
	v_min_i16_e32 v56, v60, v56
	v_or_b32_sdwa v64, v65, v64 dst_sel:DWORD dst_unused:UNUSED_PAD src0_sel:WORD_0 src1_sel:DWORD
	v_lshlrev_b16_e32 v65, 8, v63
	v_or_b32_sdwa v65, v56, v65 dst_sel:DWORD dst_unused:UNUSED_PAD src0_sel:BYTE_0 src1_sel:DWORD
	v_and_b32_e32 v65, 0xffff, v65
	v_cmp_lt_i16_e64 s[14:15], v61, v59
	v_and_or_b32 v65, v57, s42, v65
	s_nop 0
	v_cndmask_b32_e64 v58, v58, v64, s[14:15]
	v_cmp_lt_i16_e64 s[14:15], v60, v63
	v_lshlrev_b16_e32 v60, 8, v68
	v_or_b32_sdwa v60, v62, v60 dst_sel:WORD_1 dst_unused:UNUSED_PAD src0_sel:BYTE_0 src1_sel:DWORD
	v_cndmask_b32_e64 v57, v57, v65, s[14:15]
	v_cndmask_b32_e64 v56, v56, v63, s[14:15]
	v_and_or_b32 v60, v57, s35, v60
	v_cmp_lt_i16_e64 s[14:15], v62, v68
	v_max_i16_e32 v64, v61, v59
	v_min_i16_e32 v61, v61, v59
	v_cndmask_b32_e64 v57, v57, v60, s[14:15]
	v_lshlrev_b16_e32 v60, 8, v67
	v_or_b32_sdwa v60, v61, v60 dst_sel:DWORD dst_unused:UNUSED_PAD src0_sel:BYTE_0 src1_sel:DWORD
	v_and_b32_e32 v60, 0xffff, v60
	v_and_or_b32 v60, v58, s42, v60
	v_cmp_lt_i16_e64 s[14:15], v61, v67
	v_max_i16_e32 v63, v62, v68
	v_min_i16_e32 v62, v62, v68
	v_cndmask_b32_e64 v58, v58, v60, s[14:15]
	v_lshlrev_b16_e32 v65, 8, v64
	v_cmp_gt_i16_e64 s[14:15], v59, v66
	v_max_i16_e32 v60, v61, v67
	v_min_i16_e32 v61, v61, v67
	v_or_b32_sdwa v65, v66, v65 dst_sel:WORD_1 dst_unused:UNUSED_PAD src0_sel:BYTE_0 src1_sel:DWORD
	v_and_b32_sdwa v67, v57, s39 dst_sel:DWORD dst_unused:UNUSED_PAD src0_sel:WORD_1 src1_sel:DWORD
	v_cndmask_b32_e64 v59, v64, v66, s[14:15]
	v_lshlrev_b16_e32 v64, 8, v62
	v_and_or_b32 v65, v58, s35, v65
	v_or_b32_sdwa v67, v56, v67 dst_sel:WORD_1 dst_unused:UNUSED_PAD src0_sel:BYTE_0 src1_sel:DWORD
	v_or_b32_sdwa v64, v57, v64 dst_sel:DWORD dst_unused:UNUSED_PAD src0_sel:BYTE_0 src1_sel:DWORD
	v_cndmask_b32_e64 v58, v58, v65, s[14:15]
	v_or_b32_sdwa v64, v64, v67 dst_sel:DWORD dst_unused:UNUSED_PAD src0_sel:WORD_0 src1_sel:DWORD
	v_cmp_lt_i16_e64 s[14:15], v62, v56
	v_perm_b32 v62, v63, v58, s41
	s_nop 0
	v_cndmask_b32_e64 v56, v57, v64, s[14:15]
	v_and_b32_sdwa v57, v56, s40 dst_sel:DWORD dst_unused:UNUSED_PAD src0_sel:WORD_1 src1_sel:DWORD
	v_lshlrev_b16_e32 v64, 8, v61
	v_or_b32_sdwa v57, v57, v64 dst_sel:WORD_1 dst_unused:UNUSED_PAD src0_sel:DWORD src1_sel:DWORD
	v_cmp_lt_i16_e64 s[14:15], v61, v63
	v_and_or_b32 v57, v56, s35, v57
	v_lshlrev_b16_e32 v61, 8, v59
	v_cndmask_b32_e64 v56, v56, v57, s[14:15]
	v_cndmask_b32_e64 v57, v58, v62, s[14:15]
	v_and_b32_sdwa v58, v57, s39 dst_sel:DWORD dst_unused:UNUSED_PAD src0_sel:WORD_1 src1_sel:DWORD
	v_or_b32_sdwa v58, v60, v58 dst_sel:WORD_1 dst_unused:UNUSED_PAD src0_sel:BYTE_0 src1_sel:DWORD
	v_or_b32_sdwa v61, v57, v61 dst_sel:DWORD dst_unused:UNUSED_PAD src0_sel:BYTE_0 src1_sel:DWORD
	v_or_b32_sdwa v58, v61, v58 dst_sel:DWORD dst_unused:UNUSED_PAD src0_sel:WORD_0 src1_sel:DWORD
	v_cmp_lt_i16_e64 s[14:15], v59, v60
	s_nop 1
	v_cndmask_b32_e64 v57, v57, v58, s[14:15]
	ds_write_b64 v2, v[56:57]
	v_mov_b32_e32 v56, v7
	s_waitcnt lgkmcnt(0)
	s_barrier
	s_and_saveexec_b64 s[16:17], vcc
	s_cbranch_execz .LBB68_6
; %bb.3:                                ;   in Loop: Header=BB68_2 Depth=1
	s_mov_b64 s[18:19], 0
	v_mov_b32_e32 v56, v7
	v_mov_b32_e32 v57, v8
.LBB68_4:                               ;   Parent Loop BB68_2 Depth=1
                                        ; =>  This Inner Loop Header: Depth=2
	v_sub_u32_e32 v58, v57, v56
	v_lshrrev_b32_e32 v59, 31, v58
	v_add_u32_e32 v58, v58, v59
	v_ashrrev_i32_e32 v58, 1, v58
	v_add_u32_e32 v58, v58, v56
	v_not_b32_e32 v60, v58
	v_add_u32_e32 v59, v3, v58
	v_add3_u32 v60, v4, v60, v5
	ds_read_i8 v59, v59
	ds_read_i8 v60, v60
	v_add_u32_e32 v61, 1, v58
	s_waitcnt lgkmcnt(0)
	v_cmp_lt_i16_e64 s[14:15], v60, v59
	s_nop 1
	v_cndmask_b32_e64 v57, v57, v58, s[14:15]
	v_cndmask_b32_e64 v56, v61, v56, s[14:15]
	v_cmp_ge_i32_e64 s[14:15], v56, v57
	s_or_b64 s[18:19], s[14:15], s[18:19]
	s_andn2_b64 exec, exec, s[18:19]
	s_cbranch_execnz .LBB68_4
; %bb.5:                                ;   in Loop: Header=BB68_2 Depth=1
	s_or_b64 exec, exec, s[18:19]
.LBB68_6:                               ;   in Loop: Header=BB68_2 Depth=1
	s_or_b64 exec, exec, s[16:17]
	v_add_u32_e32 v60, v56, v3
	v_sub_u32_e32 v61, v9, v56
	ds_read_u8 v56, v60
	ds_read_u8 v57, v61
	v_cmp_le_i32_e64 s[16:17], v5, v60
	v_cmp_gt_i32_e64 s[14:15], v6, v61
                                        ; implicit-def: $vgpr58
	s_waitcnt lgkmcnt(1)
	v_bfe_i32 v56, v56, 0, 8
	s_waitcnt lgkmcnt(0)
	v_bfe_i32 v57, v57, 0, 8
	v_cmp_lt_i16_e64 s[18:19], v57, v56
	s_or_b64 s[16:17], s[16:17], s[18:19]
	s_and_b64 s[14:15], s[14:15], s[16:17]
	s_xor_b64 s[16:17], s[14:15], -1
	s_and_saveexec_b64 s[18:19], s[16:17]
	s_xor_b64 s[16:17], exec, s[18:19]
	s_cbranch_execz .LBB68_8
; %bb.7:                                ;   in Loop: Header=BB68_2 Depth=1
	ds_read_u8 v58, v60 offset:1
.LBB68_8:                               ;   in Loop: Header=BB68_2 Depth=1
	s_or_saveexec_b64 s[16:17], s[16:17]
	v_mov_b32_e32 v59, v57
	s_xor_b64 exec, exec, s[16:17]
	s_cbranch_execz .LBB68_10
; %bb.9:                                ;   in Loop: Header=BB68_2 Depth=1
	ds_read_u8 v59, v61 offset:1
	s_waitcnt lgkmcnt(1)
	v_mov_b32_e32 v58, v56
.LBB68_10:                              ;   in Loop: Header=BB68_2 Depth=1
	s_or_b64 exec, exec, s[16:17]
	v_add_u32_e32 v63, 1, v60
	v_add_u32_e32 v62, 1, v61
	v_cndmask_b32_e64 v63, v63, v60, s[14:15]
	v_cndmask_b32_e64 v62, v61, v62, s[14:15]
	v_cmp_ge_i32_e64 s[18:19], v63, v5
	s_waitcnt lgkmcnt(0)
	v_cmp_lt_i16_sdwa s[20:21], sext(v59), sext(v58) src0_sel:BYTE_0 src1_sel:BYTE_0
	v_cmp_lt_i32_e64 s[16:17], v62, v6
	s_or_b64 s[18:19], s[18:19], s[20:21]
	s_and_b64 s[16:17], s[16:17], s[18:19]
	s_xor_b64 s[18:19], s[16:17], -1
                                        ; implicit-def: $vgpr60
	s_and_saveexec_b64 s[20:21], s[18:19]
	s_xor_b64 s[18:19], exec, s[20:21]
	s_cbranch_execz .LBB68_12
; %bb.11:                               ;   in Loop: Header=BB68_2 Depth=1
	ds_read_u8 v60, v63 offset:1
.LBB68_12:                              ;   in Loop: Header=BB68_2 Depth=1
	s_or_saveexec_b64 s[18:19], s[18:19]
	v_mov_b32_e32 v61, v59
	s_xor_b64 exec, exec, s[18:19]
	s_cbranch_execz .LBB68_14
; %bb.13:                               ;   in Loop: Header=BB68_2 Depth=1
	ds_read_u8 v61, v62 offset:1
	s_waitcnt lgkmcnt(1)
	v_mov_b32_e32 v60, v58
.LBB68_14:                              ;   in Loop: Header=BB68_2 Depth=1
	s_or_b64 exec, exec, s[18:19]
	v_add_u32_e32 v65, 1, v63
	v_add_u32_e32 v64, 1, v62
	v_cndmask_b32_e64 v65, v65, v63, s[16:17]
	v_cndmask_b32_e64 v64, v62, v64, s[16:17]
	v_cmp_ge_i32_e64 s[20:21], v65, v5
	s_waitcnt lgkmcnt(0)
	v_cmp_lt_i16_sdwa s[22:23], sext(v61), sext(v60) src0_sel:BYTE_0 src1_sel:BYTE_0
	v_cmp_lt_i32_e64 s[18:19], v64, v6
	s_or_b64 s[20:21], s[20:21], s[22:23]
	s_and_b64 s[18:19], s[18:19], s[20:21]
	s_xor_b64 s[20:21], s[18:19], -1
                                        ; implicit-def: $vgpr62
	s_and_saveexec_b64 s[22:23], s[20:21]
	s_xor_b64 s[20:21], exec, s[22:23]
	s_cbranch_execz .LBB68_16
; %bb.15:                               ;   in Loop: Header=BB68_2 Depth=1
	ds_read_u8 v62, v65 offset:1
.LBB68_16:                              ;   in Loop: Header=BB68_2 Depth=1
	s_or_saveexec_b64 s[20:21], s[20:21]
	v_mov_b32_e32 v63, v61
	s_xor_b64 exec, exec, s[20:21]
	s_cbranch_execz .LBB68_18
; %bb.17:                               ;   in Loop: Header=BB68_2 Depth=1
	ds_read_u8 v63, v64 offset:1
	s_waitcnt lgkmcnt(1)
	v_mov_b32_e32 v62, v60
.LBB68_18:                              ;   in Loop: Header=BB68_2 Depth=1
	s_or_b64 exec, exec, s[20:21]
	v_add_u32_e32 v67, 1, v65
	v_add_u32_e32 v66, 1, v64
	v_cndmask_b32_e64 v67, v67, v65, s[18:19]
	v_cndmask_b32_e64 v66, v64, v66, s[18:19]
	v_cmp_ge_i32_e64 s[22:23], v67, v5
	s_waitcnt lgkmcnt(0)
	v_cmp_lt_i16_sdwa s[24:25], sext(v63), sext(v62) src0_sel:BYTE_0 src1_sel:BYTE_0
	v_cmp_lt_i32_e64 s[20:21], v66, v6
	s_or_b64 s[22:23], s[22:23], s[24:25]
	s_and_b64 s[20:21], s[20:21], s[22:23]
	s_xor_b64 s[22:23], s[20:21], -1
                                        ; implicit-def: $vgpr64
	s_and_saveexec_b64 s[24:25], s[22:23]
	s_xor_b64 s[22:23], exec, s[24:25]
	s_cbranch_execz .LBB68_20
; %bb.19:                               ;   in Loop: Header=BB68_2 Depth=1
	ds_read_u8 v64, v67 offset:1
.LBB68_20:                              ;   in Loop: Header=BB68_2 Depth=1
	s_or_saveexec_b64 s[22:23], s[22:23]
	v_mov_b32_e32 v65, v63
	s_xor_b64 exec, exec, s[22:23]
	s_cbranch_execz .LBB68_22
; %bb.21:                               ;   in Loop: Header=BB68_2 Depth=1
	ds_read_u8 v65, v66 offset:1
	s_waitcnt lgkmcnt(1)
	v_mov_b32_e32 v64, v62
.LBB68_22:                              ;   in Loop: Header=BB68_2 Depth=1
	s_or_b64 exec, exec, s[22:23]
	v_add_u32_e32 v69, 1, v67
	v_add_u32_e32 v68, 1, v66
	v_cndmask_b32_e64 v69, v69, v67, s[20:21]
	v_cndmask_b32_e64 v68, v66, v68, s[20:21]
	v_cmp_ge_i32_e64 s[24:25], v69, v5
	s_waitcnt lgkmcnt(0)
	v_cmp_lt_i16_sdwa s[26:27], sext(v65), sext(v64) src0_sel:BYTE_0 src1_sel:BYTE_0
	v_cmp_lt_i32_e64 s[22:23], v68, v6
	s_or_b64 s[24:25], s[24:25], s[26:27]
	s_and_b64 s[22:23], s[22:23], s[24:25]
	s_xor_b64 s[24:25], s[22:23], -1
                                        ; implicit-def: $vgpr66
	s_and_saveexec_b64 s[26:27], s[24:25]
	s_xor_b64 s[24:25], exec, s[26:27]
	s_cbranch_execz .LBB68_24
; %bb.23:                               ;   in Loop: Header=BB68_2 Depth=1
	ds_read_u8 v66, v69 offset:1
.LBB68_24:                              ;   in Loop: Header=BB68_2 Depth=1
	s_or_saveexec_b64 s[24:25], s[24:25]
	v_mov_b32_e32 v67, v65
	s_xor_b64 exec, exec, s[24:25]
	s_cbranch_execz .LBB68_26
; %bb.25:                               ;   in Loop: Header=BB68_2 Depth=1
	ds_read_u8 v67, v68 offset:1
	s_waitcnt lgkmcnt(1)
	v_mov_b32_e32 v66, v64
.LBB68_26:                              ;   in Loop: Header=BB68_2 Depth=1
	s_or_b64 exec, exec, s[24:25]
	v_add_u32_e32 v71, 1, v69
	v_add_u32_e32 v70, 1, v68
	v_cndmask_b32_e64 v72, v71, v69, s[22:23]
	v_cndmask_b32_e64 v70, v68, v70, s[22:23]
	v_cmp_ge_i32_e64 s[26:27], v72, v5
	s_waitcnt lgkmcnt(0)
	v_cmp_lt_i16_sdwa s[28:29], sext(v67), sext(v66) src0_sel:BYTE_0 src1_sel:BYTE_0
	v_cmp_lt_i32_e64 s[24:25], v70, v6
	s_or_b64 s[26:27], s[26:27], s[28:29]
	s_and_b64 s[24:25], s[24:25], s[26:27]
	s_xor_b64 s[26:27], s[24:25], -1
                                        ; implicit-def: $vgpr68
	s_and_saveexec_b64 s[28:29], s[26:27]
	s_xor_b64 s[26:27], exec, s[28:29]
	s_cbranch_execz .LBB68_28
; %bb.27:                               ;   in Loop: Header=BB68_2 Depth=1
	ds_read_u8 v68, v72 offset:1
.LBB68_28:                              ;   in Loop: Header=BB68_2 Depth=1
	s_or_saveexec_b64 s[26:27], s[26:27]
	v_mov_b32_e32 v69, v67
	s_xor_b64 exec, exec, s[26:27]
	s_cbranch_execz .LBB68_30
; %bb.29:                               ;   in Loop: Header=BB68_2 Depth=1
	ds_read_u8 v69, v70 offset:1
	s_waitcnt lgkmcnt(1)
	v_mov_b32_e32 v68, v66
.LBB68_30:                              ;   in Loop: Header=BB68_2 Depth=1
	s_or_b64 exec, exec, s[26:27]
	v_add_u32_e32 v73, 1, v72
	v_add_u32_e32 v71, 1, v70
	v_cndmask_b32_e64 v72, v73, v72, s[24:25]
	v_cndmask_b32_e64 v71, v70, v71, s[24:25]
	v_cmp_ge_i32_e64 s[28:29], v72, v5
	s_waitcnt lgkmcnt(0)
	v_cmp_lt_i16_sdwa s[44:45], sext(v69), sext(v68) src0_sel:BYTE_0 src1_sel:BYTE_0
	v_cmp_lt_i32_e64 s[26:27], v71, v6
	s_or_b64 s[28:29], s[28:29], s[44:45]
	s_and_b64 s[26:27], s[26:27], s[28:29]
	s_xor_b64 s[28:29], s[26:27], -1
                                        ; implicit-def: $vgpr70
	s_and_saveexec_b64 s[44:45], s[28:29]
	s_xor_b64 s[28:29], exec, s[44:45]
	s_cbranch_execz .LBB68_32
; %bb.31:                               ;   in Loop: Header=BB68_2 Depth=1
	ds_read_u8 v70, v72 offset:1
.LBB68_32:                              ;   in Loop: Header=BB68_2 Depth=1
	s_or_saveexec_b64 s[28:29], s[28:29]
	v_mov_b32_e32 v73, v69
	s_xor_b64 exec, exec, s[28:29]
	s_cbranch_execz .LBB68_34
; %bb.33:                               ;   in Loop: Header=BB68_2 Depth=1
	ds_read_u8 v73, v71 offset:1
	s_waitcnt lgkmcnt(1)
	v_mov_b32_e32 v70, v68
.LBB68_34:                              ;   in Loop: Header=BB68_2 Depth=1
	s_or_b64 exec, exec, s[28:29]
	v_cndmask_b32_e64 v68, v68, v69, s[26:27]
	v_add_u32_e32 v69, 1, v71
	v_add_u32_e32 v74, 1, v72
	v_cndmask_b32_e64 v69, v71, v69, s[26:27]
	v_cndmask_b32_e64 v71, v74, v72, s[26:27]
	;; [unrolled: 1-line block ×4, first 2 shown]
	v_cmp_ge_i32_e64 s[16:17], v71, v5
	s_waitcnt lgkmcnt(0)
	v_cmp_lt_i16_sdwa s[18:19], sext(v73), sext(v70) src0_sel:BYTE_0 src1_sel:BYTE_0
	v_cndmask_b32_e64 v62, v62, v63, s[20:21]
	v_cndmask_b32_e64 v56, v56, v57, s[14:15]
	v_cmp_lt_i32_e64 s[14:15], v69, v6
	s_or_b64 s[16:17], s[16:17], s[18:19]
	v_lshlrev_b16_e32 v58, 8, v58
	s_and_b64 s[14:15], s[14:15], s[16:17]
	v_or_b32_sdwa v56, v56, v58 dst_sel:DWORD dst_unused:UNUSED_PAD src0_sel:BYTE_0 src1_sel:DWORD
	v_lshlrev_b16_e32 v58, 8, v62
	v_cndmask_b32_e64 v66, v66, v67, s[24:25]
	v_cndmask_b32_e64 v57, v70, v73, s[14:15]
	v_or_b32_sdwa v58, v60, v58 dst_sel:WORD_1 dst_unused:UNUSED_PAD src0_sel:BYTE_0 src1_sel:DWORD
	v_cndmask_b32_e64 v64, v64, v65, s[22:23]
	v_or_b32_sdwa v56, v56, v58 dst_sel:DWORD dst_unused:UNUSED_PAD src0_sel:WORD_0 src1_sel:DWORD
	v_lshlrev_b16_e32 v58, 8, v66
	v_lshlrev_b16_e32 v57, 8, v57
	v_or_b32_sdwa v58, v64, v58 dst_sel:DWORD dst_unused:UNUSED_PAD src0_sel:BYTE_0 src1_sel:DWORD
	v_or_b32_sdwa v57, v68, v57 dst_sel:WORD_1 dst_unused:UNUSED_PAD src0_sel:BYTE_0 src1_sel:DWORD
	s_nop 0
	v_or_b32_sdwa v57, v58, v57 dst_sel:DWORD dst_unused:UNUSED_PAD src0_sel:WORD_0 src1_sel:DWORD
	s_barrier
	ds_write_b64 v2, v[56:57]
	v_mov_b32_e32 v56, v14
	s_waitcnt lgkmcnt(0)
	s_barrier
	s_and_saveexec_b64 s[16:17], s[0:1]
	s_cbranch_execz .LBB68_38
; %bb.35:                               ;   in Loop: Header=BB68_2 Depth=1
	s_mov_b64 s[18:19], 0
	v_mov_b32_e32 v56, v14
	v_mov_b32_e32 v57, v15
.LBB68_36:                              ;   Parent Loop BB68_2 Depth=1
                                        ; =>  This Inner Loop Header: Depth=2
	v_sub_u32_e32 v58, v57, v56
	v_lshrrev_b32_e32 v59, 31, v58
	v_add_u32_e32 v58, v58, v59
	v_ashrrev_i32_e32 v58, 1, v58
	v_add_u32_e32 v58, v58, v56
	v_not_b32_e32 v60, v58
	v_add_u32_e32 v59, v10, v58
	v_add3_u32 v60, v11, v60, v12
	ds_read_i8 v59, v59
	ds_read_i8 v60, v60
	v_add_u32_e32 v61, 1, v58
	s_waitcnt lgkmcnt(0)
	v_cmp_lt_i16_e64 s[14:15], v60, v59
	s_nop 1
	v_cndmask_b32_e64 v57, v57, v58, s[14:15]
	v_cndmask_b32_e64 v56, v61, v56, s[14:15]
	v_cmp_ge_i32_e64 s[14:15], v56, v57
	s_or_b64 s[18:19], s[14:15], s[18:19]
	s_andn2_b64 exec, exec, s[18:19]
	s_cbranch_execnz .LBB68_36
; %bb.37:                               ;   in Loop: Header=BB68_2 Depth=1
	s_or_b64 exec, exec, s[18:19]
.LBB68_38:                              ;   in Loop: Header=BB68_2 Depth=1
	s_or_b64 exec, exec, s[16:17]
	v_add_u32_e32 v60, v56, v10
	v_sub_u32_e32 v61, v16, v56
	ds_read_u8 v56, v60
	ds_read_u8 v57, v61
	v_cmp_le_i32_e64 s[16:17], v12, v60
	v_cmp_gt_i32_e64 s[14:15], v13, v61
                                        ; implicit-def: $vgpr58
	s_waitcnt lgkmcnt(1)
	v_bfe_i32 v56, v56, 0, 8
	s_waitcnt lgkmcnt(0)
	v_bfe_i32 v57, v57, 0, 8
	v_cmp_lt_i16_e64 s[18:19], v57, v56
	s_or_b64 s[16:17], s[16:17], s[18:19]
	s_and_b64 s[14:15], s[14:15], s[16:17]
	s_xor_b64 s[16:17], s[14:15], -1
	s_and_saveexec_b64 s[18:19], s[16:17]
	s_xor_b64 s[16:17], exec, s[18:19]
	s_cbranch_execz .LBB68_40
; %bb.39:                               ;   in Loop: Header=BB68_2 Depth=1
	ds_read_u8 v58, v60 offset:1
.LBB68_40:                              ;   in Loop: Header=BB68_2 Depth=1
	s_or_saveexec_b64 s[16:17], s[16:17]
	v_mov_b32_e32 v59, v57
	s_xor_b64 exec, exec, s[16:17]
	s_cbranch_execz .LBB68_42
; %bb.41:                               ;   in Loop: Header=BB68_2 Depth=1
	ds_read_u8 v59, v61 offset:1
	s_waitcnt lgkmcnt(1)
	v_mov_b32_e32 v58, v56
.LBB68_42:                              ;   in Loop: Header=BB68_2 Depth=1
	s_or_b64 exec, exec, s[16:17]
	v_add_u32_e32 v63, 1, v60
	v_add_u32_e32 v62, 1, v61
	v_cndmask_b32_e64 v63, v63, v60, s[14:15]
	v_cndmask_b32_e64 v62, v61, v62, s[14:15]
	v_cmp_ge_i32_e64 s[18:19], v63, v12
	s_waitcnt lgkmcnt(0)
	v_cmp_lt_i16_sdwa s[20:21], sext(v59), sext(v58) src0_sel:BYTE_0 src1_sel:BYTE_0
	v_cmp_lt_i32_e64 s[16:17], v62, v13
	s_or_b64 s[18:19], s[18:19], s[20:21]
	s_and_b64 s[16:17], s[16:17], s[18:19]
	s_xor_b64 s[18:19], s[16:17], -1
                                        ; implicit-def: $vgpr60
	s_and_saveexec_b64 s[20:21], s[18:19]
	s_xor_b64 s[18:19], exec, s[20:21]
	s_cbranch_execz .LBB68_44
; %bb.43:                               ;   in Loop: Header=BB68_2 Depth=1
	ds_read_u8 v60, v63 offset:1
.LBB68_44:                              ;   in Loop: Header=BB68_2 Depth=1
	s_or_saveexec_b64 s[18:19], s[18:19]
	v_mov_b32_e32 v61, v59
	s_xor_b64 exec, exec, s[18:19]
	s_cbranch_execz .LBB68_46
; %bb.45:                               ;   in Loop: Header=BB68_2 Depth=1
	ds_read_u8 v61, v62 offset:1
	s_waitcnt lgkmcnt(1)
	v_mov_b32_e32 v60, v58
.LBB68_46:                              ;   in Loop: Header=BB68_2 Depth=1
	s_or_b64 exec, exec, s[18:19]
	v_add_u32_e32 v65, 1, v63
	v_add_u32_e32 v64, 1, v62
	v_cndmask_b32_e64 v65, v65, v63, s[16:17]
	v_cndmask_b32_e64 v64, v62, v64, s[16:17]
	v_cmp_ge_i32_e64 s[20:21], v65, v12
	s_waitcnt lgkmcnt(0)
	v_cmp_lt_i16_sdwa s[22:23], sext(v61), sext(v60) src0_sel:BYTE_0 src1_sel:BYTE_0
	v_cmp_lt_i32_e64 s[18:19], v64, v13
	s_or_b64 s[20:21], s[20:21], s[22:23]
	s_and_b64 s[18:19], s[18:19], s[20:21]
	s_xor_b64 s[20:21], s[18:19], -1
                                        ; implicit-def: $vgpr62
	s_and_saveexec_b64 s[22:23], s[20:21]
	s_xor_b64 s[20:21], exec, s[22:23]
	s_cbranch_execz .LBB68_48
; %bb.47:                               ;   in Loop: Header=BB68_2 Depth=1
	ds_read_u8 v62, v65 offset:1
.LBB68_48:                              ;   in Loop: Header=BB68_2 Depth=1
	s_or_saveexec_b64 s[20:21], s[20:21]
	v_mov_b32_e32 v63, v61
	s_xor_b64 exec, exec, s[20:21]
	s_cbranch_execz .LBB68_50
; %bb.49:                               ;   in Loop: Header=BB68_2 Depth=1
	ds_read_u8 v63, v64 offset:1
	s_waitcnt lgkmcnt(1)
	v_mov_b32_e32 v62, v60
.LBB68_50:                              ;   in Loop: Header=BB68_2 Depth=1
	s_or_b64 exec, exec, s[20:21]
	v_add_u32_e32 v67, 1, v65
	v_add_u32_e32 v66, 1, v64
	v_cndmask_b32_e64 v67, v67, v65, s[18:19]
	v_cndmask_b32_e64 v66, v64, v66, s[18:19]
	v_cmp_ge_i32_e64 s[22:23], v67, v12
	s_waitcnt lgkmcnt(0)
	v_cmp_lt_i16_sdwa s[24:25], sext(v63), sext(v62) src0_sel:BYTE_0 src1_sel:BYTE_0
	v_cmp_lt_i32_e64 s[20:21], v66, v13
	s_or_b64 s[22:23], s[22:23], s[24:25]
	s_and_b64 s[20:21], s[20:21], s[22:23]
	s_xor_b64 s[22:23], s[20:21], -1
                                        ; implicit-def: $vgpr64
	s_and_saveexec_b64 s[24:25], s[22:23]
	s_xor_b64 s[22:23], exec, s[24:25]
	s_cbranch_execz .LBB68_52
; %bb.51:                               ;   in Loop: Header=BB68_2 Depth=1
	ds_read_u8 v64, v67 offset:1
.LBB68_52:                              ;   in Loop: Header=BB68_2 Depth=1
	s_or_saveexec_b64 s[22:23], s[22:23]
	v_mov_b32_e32 v65, v63
	s_xor_b64 exec, exec, s[22:23]
	s_cbranch_execz .LBB68_54
; %bb.53:                               ;   in Loop: Header=BB68_2 Depth=1
	ds_read_u8 v65, v66 offset:1
	s_waitcnt lgkmcnt(1)
	v_mov_b32_e32 v64, v62
.LBB68_54:                              ;   in Loop: Header=BB68_2 Depth=1
	s_or_b64 exec, exec, s[22:23]
	v_add_u32_e32 v69, 1, v67
	v_add_u32_e32 v68, 1, v66
	v_cndmask_b32_e64 v69, v69, v67, s[20:21]
	v_cndmask_b32_e64 v68, v66, v68, s[20:21]
	v_cmp_ge_i32_e64 s[24:25], v69, v12
	s_waitcnt lgkmcnt(0)
	v_cmp_lt_i16_sdwa s[26:27], sext(v65), sext(v64) src0_sel:BYTE_0 src1_sel:BYTE_0
	v_cmp_lt_i32_e64 s[22:23], v68, v13
	s_or_b64 s[24:25], s[24:25], s[26:27]
	s_and_b64 s[22:23], s[22:23], s[24:25]
	s_xor_b64 s[24:25], s[22:23], -1
                                        ; implicit-def: $vgpr66
	s_and_saveexec_b64 s[26:27], s[24:25]
	s_xor_b64 s[24:25], exec, s[26:27]
	s_cbranch_execz .LBB68_56
; %bb.55:                               ;   in Loop: Header=BB68_2 Depth=1
	ds_read_u8 v66, v69 offset:1
.LBB68_56:                              ;   in Loop: Header=BB68_2 Depth=1
	s_or_saveexec_b64 s[24:25], s[24:25]
	v_mov_b32_e32 v67, v65
	s_xor_b64 exec, exec, s[24:25]
	s_cbranch_execz .LBB68_58
; %bb.57:                               ;   in Loop: Header=BB68_2 Depth=1
	ds_read_u8 v67, v68 offset:1
	s_waitcnt lgkmcnt(1)
	v_mov_b32_e32 v66, v64
.LBB68_58:                              ;   in Loop: Header=BB68_2 Depth=1
	s_or_b64 exec, exec, s[24:25]
	v_add_u32_e32 v71, 1, v69
	v_add_u32_e32 v70, 1, v68
	v_cndmask_b32_e64 v72, v71, v69, s[22:23]
	v_cndmask_b32_e64 v70, v68, v70, s[22:23]
	v_cmp_ge_i32_e64 s[26:27], v72, v12
	s_waitcnt lgkmcnt(0)
	v_cmp_lt_i16_sdwa s[28:29], sext(v67), sext(v66) src0_sel:BYTE_0 src1_sel:BYTE_0
	v_cmp_lt_i32_e64 s[24:25], v70, v13
	s_or_b64 s[26:27], s[26:27], s[28:29]
	s_and_b64 s[24:25], s[24:25], s[26:27]
	s_xor_b64 s[26:27], s[24:25], -1
                                        ; implicit-def: $vgpr68
	s_and_saveexec_b64 s[28:29], s[26:27]
	s_xor_b64 s[26:27], exec, s[28:29]
	s_cbranch_execz .LBB68_60
; %bb.59:                               ;   in Loop: Header=BB68_2 Depth=1
	ds_read_u8 v68, v72 offset:1
.LBB68_60:                              ;   in Loop: Header=BB68_2 Depth=1
	s_or_saveexec_b64 s[26:27], s[26:27]
	v_mov_b32_e32 v69, v67
	s_xor_b64 exec, exec, s[26:27]
	s_cbranch_execz .LBB68_62
; %bb.61:                               ;   in Loop: Header=BB68_2 Depth=1
	ds_read_u8 v69, v70 offset:1
	s_waitcnt lgkmcnt(1)
	v_mov_b32_e32 v68, v66
.LBB68_62:                              ;   in Loop: Header=BB68_2 Depth=1
	s_or_b64 exec, exec, s[26:27]
	v_add_u32_e32 v73, 1, v72
	v_add_u32_e32 v71, 1, v70
	v_cndmask_b32_e64 v72, v73, v72, s[24:25]
	v_cndmask_b32_e64 v71, v70, v71, s[24:25]
	v_cmp_ge_i32_e64 s[28:29], v72, v12
	s_waitcnt lgkmcnt(0)
	v_cmp_lt_i16_sdwa s[44:45], sext(v69), sext(v68) src0_sel:BYTE_0 src1_sel:BYTE_0
	v_cmp_lt_i32_e64 s[26:27], v71, v13
	s_or_b64 s[28:29], s[28:29], s[44:45]
	s_and_b64 s[26:27], s[26:27], s[28:29]
	s_xor_b64 s[28:29], s[26:27], -1
                                        ; implicit-def: $vgpr70
	s_and_saveexec_b64 s[44:45], s[28:29]
	s_xor_b64 s[28:29], exec, s[44:45]
	s_cbranch_execz .LBB68_64
; %bb.63:                               ;   in Loop: Header=BB68_2 Depth=1
	ds_read_u8 v70, v72 offset:1
.LBB68_64:                              ;   in Loop: Header=BB68_2 Depth=1
	s_or_saveexec_b64 s[28:29], s[28:29]
	v_mov_b32_e32 v73, v69
	s_xor_b64 exec, exec, s[28:29]
	s_cbranch_execz .LBB68_66
; %bb.65:                               ;   in Loop: Header=BB68_2 Depth=1
	ds_read_u8 v73, v71 offset:1
	s_waitcnt lgkmcnt(1)
	v_mov_b32_e32 v70, v68
.LBB68_66:                              ;   in Loop: Header=BB68_2 Depth=1
	s_or_b64 exec, exec, s[28:29]
	v_cndmask_b32_e64 v68, v68, v69, s[26:27]
	v_add_u32_e32 v69, 1, v71
	v_add_u32_e32 v74, 1, v72
	v_cndmask_b32_e64 v69, v71, v69, s[26:27]
	v_cndmask_b32_e64 v71, v74, v72, s[26:27]
	;; [unrolled: 1-line block ×4, first 2 shown]
	v_cmp_ge_i32_e64 s[16:17], v71, v12
	s_waitcnt lgkmcnt(0)
	v_cmp_lt_i16_sdwa s[18:19], sext(v73), sext(v70) src0_sel:BYTE_0 src1_sel:BYTE_0
	v_cndmask_b32_e64 v62, v62, v63, s[20:21]
	v_cndmask_b32_e64 v56, v56, v57, s[14:15]
	v_cmp_lt_i32_e64 s[14:15], v69, v13
	s_or_b64 s[16:17], s[16:17], s[18:19]
	v_lshlrev_b16_e32 v58, 8, v58
	s_and_b64 s[14:15], s[14:15], s[16:17]
	v_or_b32_sdwa v56, v56, v58 dst_sel:DWORD dst_unused:UNUSED_PAD src0_sel:BYTE_0 src1_sel:DWORD
	v_lshlrev_b16_e32 v58, 8, v62
	v_cndmask_b32_e64 v66, v66, v67, s[24:25]
	v_cndmask_b32_e64 v57, v70, v73, s[14:15]
	v_or_b32_sdwa v58, v60, v58 dst_sel:WORD_1 dst_unused:UNUSED_PAD src0_sel:BYTE_0 src1_sel:DWORD
	v_cndmask_b32_e64 v64, v64, v65, s[22:23]
	v_or_b32_sdwa v56, v56, v58 dst_sel:DWORD dst_unused:UNUSED_PAD src0_sel:WORD_0 src1_sel:DWORD
	v_lshlrev_b16_e32 v58, 8, v66
	v_lshlrev_b16_e32 v57, 8, v57
	v_or_b32_sdwa v58, v64, v58 dst_sel:DWORD dst_unused:UNUSED_PAD src0_sel:BYTE_0 src1_sel:DWORD
	v_or_b32_sdwa v57, v68, v57 dst_sel:WORD_1 dst_unused:UNUSED_PAD src0_sel:BYTE_0 src1_sel:DWORD
	s_nop 0
	v_or_b32_sdwa v57, v58, v57 dst_sel:DWORD dst_unused:UNUSED_PAD src0_sel:WORD_0 src1_sel:DWORD
	s_barrier
	ds_write_b64 v2, v[56:57]
	v_mov_b32_e32 v56, v21
	s_waitcnt lgkmcnt(0)
	s_barrier
	s_and_saveexec_b64 s[16:17], s[2:3]
	s_cbranch_execz .LBB68_70
; %bb.67:                               ;   in Loop: Header=BB68_2 Depth=1
	s_mov_b64 s[18:19], 0
	v_mov_b32_e32 v56, v21
	v_mov_b32_e32 v57, v22
.LBB68_68:                              ;   Parent Loop BB68_2 Depth=1
                                        ; =>  This Inner Loop Header: Depth=2
	v_sub_u32_e32 v58, v57, v56
	v_lshrrev_b32_e32 v59, 31, v58
	v_add_u32_e32 v58, v58, v59
	v_ashrrev_i32_e32 v58, 1, v58
	v_add_u32_e32 v58, v58, v56
	v_not_b32_e32 v60, v58
	v_add_u32_e32 v59, v17, v58
	v_add3_u32 v60, v18, v60, v19
	ds_read_i8 v59, v59
	ds_read_i8 v60, v60
	v_add_u32_e32 v61, 1, v58
	s_waitcnt lgkmcnt(0)
	v_cmp_lt_i16_e64 s[14:15], v60, v59
	s_nop 1
	v_cndmask_b32_e64 v57, v57, v58, s[14:15]
	v_cndmask_b32_e64 v56, v61, v56, s[14:15]
	v_cmp_ge_i32_e64 s[14:15], v56, v57
	s_or_b64 s[18:19], s[14:15], s[18:19]
	s_andn2_b64 exec, exec, s[18:19]
	s_cbranch_execnz .LBB68_68
; %bb.69:                               ;   in Loop: Header=BB68_2 Depth=1
	s_or_b64 exec, exec, s[18:19]
.LBB68_70:                              ;   in Loop: Header=BB68_2 Depth=1
	s_or_b64 exec, exec, s[16:17]
	v_add_u32_e32 v60, v56, v17
	v_sub_u32_e32 v61, v23, v56
	ds_read_u8 v56, v60
	ds_read_u8 v57, v61
	v_cmp_le_i32_e64 s[16:17], v19, v60
	v_cmp_gt_i32_e64 s[14:15], v20, v61
                                        ; implicit-def: $vgpr58
	s_waitcnt lgkmcnt(1)
	v_bfe_i32 v56, v56, 0, 8
	s_waitcnt lgkmcnt(0)
	v_bfe_i32 v57, v57, 0, 8
	v_cmp_lt_i16_e64 s[18:19], v57, v56
	s_or_b64 s[16:17], s[16:17], s[18:19]
	s_and_b64 s[14:15], s[14:15], s[16:17]
	s_xor_b64 s[16:17], s[14:15], -1
	s_and_saveexec_b64 s[18:19], s[16:17]
	s_xor_b64 s[16:17], exec, s[18:19]
	s_cbranch_execz .LBB68_72
; %bb.71:                               ;   in Loop: Header=BB68_2 Depth=1
	ds_read_u8 v58, v60 offset:1
.LBB68_72:                              ;   in Loop: Header=BB68_2 Depth=1
	s_or_saveexec_b64 s[16:17], s[16:17]
	v_mov_b32_e32 v59, v57
	s_xor_b64 exec, exec, s[16:17]
	s_cbranch_execz .LBB68_74
; %bb.73:                               ;   in Loop: Header=BB68_2 Depth=1
	ds_read_u8 v59, v61 offset:1
	s_waitcnt lgkmcnt(1)
	v_mov_b32_e32 v58, v56
.LBB68_74:                              ;   in Loop: Header=BB68_2 Depth=1
	s_or_b64 exec, exec, s[16:17]
	v_add_u32_e32 v63, 1, v60
	v_add_u32_e32 v62, 1, v61
	v_cndmask_b32_e64 v63, v63, v60, s[14:15]
	v_cndmask_b32_e64 v62, v61, v62, s[14:15]
	v_cmp_ge_i32_e64 s[18:19], v63, v19
	s_waitcnt lgkmcnt(0)
	v_cmp_lt_i16_sdwa s[20:21], sext(v59), sext(v58) src0_sel:BYTE_0 src1_sel:BYTE_0
	v_cmp_lt_i32_e64 s[16:17], v62, v20
	s_or_b64 s[18:19], s[18:19], s[20:21]
	s_and_b64 s[16:17], s[16:17], s[18:19]
	s_xor_b64 s[18:19], s[16:17], -1
                                        ; implicit-def: $vgpr60
	s_and_saveexec_b64 s[20:21], s[18:19]
	s_xor_b64 s[18:19], exec, s[20:21]
	s_cbranch_execz .LBB68_76
; %bb.75:                               ;   in Loop: Header=BB68_2 Depth=1
	ds_read_u8 v60, v63 offset:1
.LBB68_76:                              ;   in Loop: Header=BB68_2 Depth=1
	s_or_saveexec_b64 s[18:19], s[18:19]
	v_mov_b32_e32 v61, v59
	s_xor_b64 exec, exec, s[18:19]
	s_cbranch_execz .LBB68_78
; %bb.77:                               ;   in Loop: Header=BB68_2 Depth=1
	ds_read_u8 v61, v62 offset:1
	s_waitcnt lgkmcnt(1)
	v_mov_b32_e32 v60, v58
.LBB68_78:                              ;   in Loop: Header=BB68_2 Depth=1
	s_or_b64 exec, exec, s[18:19]
	v_add_u32_e32 v65, 1, v63
	v_add_u32_e32 v64, 1, v62
	v_cndmask_b32_e64 v65, v65, v63, s[16:17]
	v_cndmask_b32_e64 v64, v62, v64, s[16:17]
	v_cmp_ge_i32_e64 s[20:21], v65, v19
	s_waitcnt lgkmcnt(0)
	v_cmp_lt_i16_sdwa s[22:23], sext(v61), sext(v60) src0_sel:BYTE_0 src1_sel:BYTE_0
	v_cmp_lt_i32_e64 s[18:19], v64, v20
	s_or_b64 s[20:21], s[20:21], s[22:23]
	s_and_b64 s[18:19], s[18:19], s[20:21]
	s_xor_b64 s[20:21], s[18:19], -1
                                        ; implicit-def: $vgpr62
	s_and_saveexec_b64 s[22:23], s[20:21]
	s_xor_b64 s[20:21], exec, s[22:23]
	s_cbranch_execz .LBB68_80
; %bb.79:                               ;   in Loop: Header=BB68_2 Depth=1
	ds_read_u8 v62, v65 offset:1
.LBB68_80:                              ;   in Loop: Header=BB68_2 Depth=1
	s_or_saveexec_b64 s[20:21], s[20:21]
	v_mov_b32_e32 v63, v61
	s_xor_b64 exec, exec, s[20:21]
	s_cbranch_execz .LBB68_82
; %bb.81:                               ;   in Loop: Header=BB68_2 Depth=1
	ds_read_u8 v63, v64 offset:1
	s_waitcnt lgkmcnt(1)
	v_mov_b32_e32 v62, v60
.LBB68_82:                              ;   in Loop: Header=BB68_2 Depth=1
	s_or_b64 exec, exec, s[20:21]
	v_add_u32_e32 v67, 1, v65
	v_add_u32_e32 v66, 1, v64
	v_cndmask_b32_e64 v67, v67, v65, s[18:19]
	v_cndmask_b32_e64 v66, v64, v66, s[18:19]
	v_cmp_ge_i32_e64 s[22:23], v67, v19
	s_waitcnt lgkmcnt(0)
	v_cmp_lt_i16_sdwa s[24:25], sext(v63), sext(v62) src0_sel:BYTE_0 src1_sel:BYTE_0
	v_cmp_lt_i32_e64 s[20:21], v66, v20
	s_or_b64 s[22:23], s[22:23], s[24:25]
	s_and_b64 s[20:21], s[20:21], s[22:23]
	s_xor_b64 s[22:23], s[20:21], -1
                                        ; implicit-def: $vgpr64
	s_and_saveexec_b64 s[24:25], s[22:23]
	s_xor_b64 s[22:23], exec, s[24:25]
	s_cbranch_execz .LBB68_84
; %bb.83:                               ;   in Loop: Header=BB68_2 Depth=1
	ds_read_u8 v64, v67 offset:1
.LBB68_84:                              ;   in Loop: Header=BB68_2 Depth=1
	s_or_saveexec_b64 s[22:23], s[22:23]
	v_mov_b32_e32 v65, v63
	s_xor_b64 exec, exec, s[22:23]
	s_cbranch_execz .LBB68_86
; %bb.85:                               ;   in Loop: Header=BB68_2 Depth=1
	ds_read_u8 v65, v66 offset:1
	s_waitcnt lgkmcnt(1)
	v_mov_b32_e32 v64, v62
.LBB68_86:                              ;   in Loop: Header=BB68_2 Depth=1
	s_or_b64 exec, exec, s[22:23]
	v_add_u32_e32 v69, 1, v67
	v_add_u32_e32 v68, 1, v66
	v_cndmask_b32_e64 v69, v69, v67, s[20:21]
	v_cndmask_b32_e64 v68, v66, v68, s[20:21]
	v_cmp_ge_i32_e64 s[24:25], v69, v19
	s_waitcnt lgkmcnt(0)
	v_cmp_lt_i16_sdwa s[26:27], sext(v65), sext(v64) src0_sel:BYTE_0 src1_sel:BYTE_0
	v_cmp_lt_i32_e64 s[22:23], v68, v20
	s_or_b64 s[24:25], s[24:25], s[26:27]
	s_and_b64 s[22:23], s[22:23], s[24:25]
	s_xor_b64 s[24:25], s[22:23], -1
                                        ; implicit-def: $vgpr66
	s_and_saveexec_b64 s[26:27], s[24:25]
	s_xor_b64 s[24:25], exec, s[26:27]
	s_cbranch_execz .LBB68_88
; %bb.87:                               ;   in Loop: Header=BB68_2 Depth=1
	ds_read_u8 v66, v69 offset:1
.LBB68_88:                              ;   in Loop: Header=BB68_2 Depth=1
	s_or_saveexec_b64 s[24:25], s[24:25]
	v_mov_b32_e32 v67, v65
	s_xor_b64 exec, exec, s[24:25]
	s_cbranch_execz .LBB68_90
; %bb.89:                               ;   in Loop: Header=BB68_2 Depth=1
	ds_read_u8 v67, v68 offset:1
	s_waitcnt lgkmcnt(1)
	v_mov_b32_e32 v66, v64
.LBB68_90:                              ;   in Loop: Header=BB68_2 Depth=1
	s_or_b64 exec, exec, s[24:25]
	v_add_u32_e32 v71, 1, v69
	v_add_u32_e32 v70, 1, v68
	v_cndmask_b32_e64 v72, v71, v69, s[22:23]
	v_cndmask_b32_e64 v70, v68, v70, s[22:23]
	v_cmp_ge_i32_e64 s[26:27], v72, v19
	s_waitcnt lgkmcnt(0)
	v_cmp_lt_i16_sdwa s[28:29], sext(v67), sext(v66) src0_sel:BYTE_0 src1_sel:BYTE_0
	v_cmp_lt_i32_e64 s[24:25], v70, v20
	s_or_b64 s[26:27], s[26:27], s[28:29]
	s_and_b64 s[24:25], s[24:25], s[26:27]
	s_xor_b64 s[26:27], s[24:25], -1
                                        ; implicit-def: $vgpr68
	s_and_saveexec_b64 s[28:29], s[26:27]
	s_xor_b64 s[26:27], exec, s[28:29]
	s_cbranch_execz .LBB68_92
; %bb.91:                               ;   in Loop: Header=BB68_2 Depth=1
	ds_read_u8 v68, v72 offset:1
.LBB68_92:                              ;   in Loop: Header=BB68_2 Depth=1
	s_or_saveexec_b64 s[26:27], s[26:27]
	v_mov_b32_e32 v69, v67
	s_xor_b64 exec, exec, s[26:27]
	s_cbranch_execz .LBB68_94
; %bb.93:                               ;   in Loop: Header=BB68_2 Depth=1
	ds_read_u8 v69, v70 offset:1
	s_waitcnt lgkmcnt(1)
	v_mov_b32_e32 v68, v66
.LBB68_94:                              ;   in Loop: Header=BB68_2 Depth=1
	s_or_b64 exec, exec, s[26:27]
	v_add_u32_e32 v73, 1, v72
	v_add_u32_e32 v71, 1, v70
	v_cndmask_b32_e64 v72, v73, v72, s[24:25]
	v_cndmask_b32_e64 v71, v70, v71, s[24:25]
	v_cmp_ge_i32_e64 s[28:29], v72, v19
	s_waitcnt lgkmcnt(0)
	v_cmp_lt_i16_sdwa s[44:45], sext(v69), sext(v68) src0_sel:BYTE_0 src1_sel:BYTE_0
	v_cmp_lt_i32_e64 s[26:27], v71, v20
	s_or_b64 s[28:29], s[28:29], s[44:45]
	s_and_b64 s[26:27], s[26:27], s[28:29]
	s_xor_b64 s[28:29], s[26:27], -1
                                        ; implicit-def: $vgpr70
	s_and_saveexec_b64 s[44:45], s[28:29]
	s_xor_b64 s[28:29], exec, s[44:45]
	s_cbranch_execz .LBB68_96
; %bb.95:                               ;   in Loop: Header=BB68_2 Depth=1
	ds_read_u8 v70, v72 offset:1
.LBB68_96:                              ;   in Loop: Header=BB68_2 Depth=1
	s_or_saveexec_b64 s[28:29], s[28:29]
	v_mov_b32_e32 v73, v69
	s_xor_b64 exec, exec, s[28:29]
	s_cbranch_execz .LBB68_98
; %bb.97:                               ;   in Loop: Header=BB68_2 Depth=1
	ds_read_u8 v73, v71 offset:1
	s_waitcnt lgkmcnt(1)
	v_mov_b32_e32 v70, v68
.LBB68_98:                              ;   in Loop: Header=BB68_2 Depth=1
	s_or_b64 exec, exec, s[28:29]
	v_cndmask_b32_e64 v68, v68, v69, s[26:27]
	v_add_u32_e32 v69, 1, v71
	v_add_u32_e32 v74, 1, v72
	v_cndmask_b32_e64 v69, v71, v69, s[26:27]
	v_cndmask_b32_e64 v71, v74, v72, s[26:27]
	;; [unrolled: 1-line block ×4, first 2 shown]
	v_cmp_ge_i32_e64 s[16:17], v71, v19
	s_waitcnt lgkmcnt(0)
	v_cmp_lt_i16_sdwa s[18:19], sext(v73), sext(v70) src0_sel:BYTE_0 src1_sel:BYTE_0
	v_cndmask_b32_e64 v62, v62, v63, s[20:21]
	v_cndmask_b32_e64 v56, v56, v57, s[14:15]
	v_cmp_lt_i32_e64 s[14:15], v69, v20
	s_or_b64 s[16:17], s[16:17], s[18:19]
	v_lshlrev_b16_e32 v58, 8, v58
	s_and_b64 s[14:15], s[14:15], s[16:17]
	v_or_b32_sdwa v56, v56, v58 dst_sel:DWORD dst_unused:UNUSED_PAD src0_sel:BYTE_0 src1_sel:DWORD
	v_lshlrev_b16_e32 v58, 8, v62
	v_cndmask_b32_e64 v66, v66, v67, s[24:25]
	v_cndmask_b32_e64 v57, v70, v73, s[14:15]
	v_or_b32_sdwa v58, v60, v58 dst_sel:WORD_1 dst_unused:UNUSED_PAD src0_sel:BYTE_0 src1_sel:DWORD
	v_cndmask_b32_e64 v64, v64, v65, s[22:23]
	v_or_b32_sdwa v56, v56, v58 dst_sel:DWORD dst_unused:UNUSED_PAD src0_sel:WORD_0 src1_sel:DWORD
	v_lshlrev_b16_e32 v58, 8, v66
	v_lshlrev_b16_e32 v57, 8, v57
	v_or_b32_sdwa v58, v64, v58 dst_sel:DWORD dst_unused:UNUSED_PAD src0_sel:BYTE_0 src1_sel:DWORD
	v_or_b32_sdwa v57, v68, v57 dst_sel:WORD_1 dst_unused:UNUSED_PAD src0_sel:BYTE_0 src1_sel:DWORD
	s_nop 0
	v_or_b32_sdwa v57, v58, v57 dst_sel:DWORD dst_unused:UNUSED_PAD src0_sel:WORD_0 src1_sel:DWORD
	s_barrier
	ds_write_b64 v2, v[56:57]
	v_mov_b32_e32 v56, v28
	s_waitcnt lgkmcnt(0)
	s_barrier
	s_and_saveexec_b64 s[16:17], s[4:5]
	s_cbranch_execz .LBB68_102
; %bb.99:                               ;   in Loop: Header=BB68_2 Depth=1
	s_mov_b64 s[18:19], 0
	v_mov_b32_e32 v56, v28
	v_mov_b32_e32 v57, v29
.LBB68_100:                             ;   Parent Loop BB68_2 Depth=1
                                        ; =>  This Inner Loop Header: Depth=2
	v_sub_u32_e32 v58, v57, v56
	v_lshrrev_b32_e32 v59, 31, v58
	v_add_u32_e32 v58, v58, v59
	v_ashrrev_i32_e32 v58, 1, v58
	v_add_u32_e32 v58, v58, v56
	v_not_b32_e32 v60, v58
	v_add_u32_e32 v59, v24, v58
	v_add3_u32 v60, v25, v60, v26
	ds_read_i8 v59, v59
	ds_read_i8 v60, v60
	v_add_u32_e32 v61, 1, v58
	s_waitcnt lgkmcnt(0)
	v_cmp_lt_i16_e64 s[14:15], v60, v59
	s_nop 1
	v_cndmask_b32_e64 v57, v57, v58, s[14:15]
	v_cndmask_b32_e64 v56, v61, v56, s[14:15]
	v_cmp_ge_i32_e64 s[14:15], v56, v57
	s_or_b64 s[18:19], s[14:15], s[18:19]
	s_andn2_b64 exec, exec, s[18:19]
	s_cbranch_execnz .LBB68_100
; %bb.101:                              ;   in Loop: Header=BB68_2 Depth=1
	s_or_b64 exec, exec, s[18:19]
.LBB68_102:                             ;   in Loop: Header=BB68_2 Depth=1
	s_or_b64 exec, exec, s[16:17]
	v_add_u32_e32 v60, v56, v24
	v_sub_u32_e32 v61, v30, v56
	ds_read_u8 v56, v60
	ds_read_u8 v57, v61
	v_cmp_le_i32_e64 s[16:17], v26, v60
	v_cmp_gt_i32_e64 s[14:15], v27, v61
                                        ; implicit-def: $vgpr58
	s_waitcnt lgkmcnt(1)
	v_bfe_i32 v56, v56, 0, 8
	s_waitcnt lgkmcnt(0)
	v_bfe_i32 v57, v57, 0, 8
	v_cmp_lt_i16_e64 s[18:19], v57, v56
	s_or_b64 s[16:17], s[16:17], s[18:19]
	s_and_b64 s[14:15], s[14:15], s[16:17]
	s_xor_b64 s[16:17], s[14:15], -1
	s_and_saveexec_b64 s[18:19], s[16:17]
	s_xor_b64 s[16:17], exec, s[18:19]
	s_cbranch_execz .LBB68_104
; %bb.103:                              ;   in Loop: Header=BB68_2 Depth=1
	ds_read_u8 v58, v60 offset:1
.LBB68_104:                             ;   in Loop: Header=BB68_2 Depth=1
	s_or_saveexec_b64 s[16:17], s[16:17]
	v_mov_b32_e32 v59, v57
	s_xor_b64 exec, exec, s[16:17]
	s_cbranch_execz .LBB68_106
; %bb.105:                              ;   in Loop: Header=BB68_2 Depth=1
	ds_read_u8 v59, v61 offset:1
	s_waitcnt lgkmcnt(1)
	v_mov_b32_e32 v58, v56
.LBB68_106:                             ;   in Loop: Header=BB68_2 Depth=1
	s_or_b64 exec, exec, s[16:17]
	v_add_u32_e32 v63, 1, v60
	v_add_u32_e32 v62, 1, v61
	v_cndmask_b32_e64 v63, v63, v60, s[14:15]
	v_cndmask_b32_e64 v62, v61, v62, s[14:15]
	v_cmp_ge_i32_e64 s[18:19], v63, v26
	s_waitcnt lgkmcnt(0)
	v_cmp_lt_i16_sdwa s[20:21], sext(v59), sext(v58) src0_sel:BYTE_0 src1_sel:BYTE_0
	v_cmp_lt_i32_e64 s[16:17], v62, v27
	s_or_b64 s[18:19], s[18:19], s[20:21]
	s_and_b64 s[16:17], s[16:17], s[18:19]
	s_xor_b64 s[18:19], s[16:17], -1
                                        ; implicit-def: $vgpr60
	s_and_saveexec_b64 s[20:21], s[18:19]
	s_xor_b64 s[18:19], exec, s[20:21]
	s_cbranch_execz .LBB68_108
; %bb.107:                              ;   in Loop: Header=BB68_2 Depth=1
	ds_read_u8 v60, v63 offset:1
.LBB68_108:                             ;   in Loop: Header=BB68_2 Depth=1
	s_or_saveexec_b64 s[18:19], s[18:19]
	v_mov_b32_e32 v61, v59
	s_xor_b64 exec, exec, s[18:19]
	s_cbranch_execz .LBB68_110
; %bb.109:                              ;   in Loop: Header=BB68_2 Depth=1
	ds_read_u8 v61, v62 offset:1
	s_waitcnt lgkmcnt(1)
	v_mov_b32_e32 v60, v58
.LBB68_110:                             ;   in Loop: Header=BB68_2 Depth=1
	s_or_b64 exec, exec, s[18:19]
	v_add_u32_e32 v65, 1, v63
	v_add_u32_e32 v64, 1, v62
	v_cndmask_b32_e64 v65, v65, v63, s[16:17]
	v_cndmask_b32_e64 v64, v62, v64, s[16:17]
	v_cmp_ge_i32_e64 s[20:21], v65, v26
	s_waitcnt lgkmcnt(0)
	v_cmp_lt_i16_sdwa s[22:23], sext(v61), sext(v60) src0_sel:BYTE_0 src1_sel:BYTE_0
	v_cmp_lt_i32_e64 s[18:19], v64, v27
	s_or_b64 s[20:21], s[20:21], s[22:23]
	s_and_b64 s[18:19], s[18:19], s[20:21]
	s_xor_b64 s[20:21], s[18:19], -1
                                        ; implicit-def: $vgpr62
	s_and_saveexec_b64 s[22:23], s[20:21]
	s_xor_b64 s[20:21], exec, s[22:23]
	s_cbranch_execz .LBB68_112
; %bb.111:                              ;   in Loop: Header=BB68_2 Depth=1
	ds_read_u8 v62, v65 offset:1
.LBB68_112:                             ;   in Loop: Header=BB68_2 Depth=1
	s_or_saveexec_b64 s[20:21], s[20:21]
	v_mov_b32_e32 v63, v61
	s_xor_b64 exec, exec, s[20:21]
	s_cbranch_execz .LBB68_114
; %bb.113:                              ;   in Loop: Header=BB68_2 Depth=1
	ds_read_u8 v63, v64 offset:1
	s_waitcnt lgkmcnt(1)
	v_mov_b32_e32 v62, v60
.LBB68_114:                             ;   in Loop: Header=BB68_2 Depth=1
	s_or_b64 exec, exec, s[20:21]
	v_add_u32_e32 v67, 1, v65
	v_add_u32_e32 v66, 1, v64
	v_cndmask_b32_e64 v67, v67, v65, s[18:19]
	v_cndmask_b32_e64 v66, v64, v66, s[18:19]
	v_cmp_ge_i32_e64 s[22:23], v67, v26
	s_waitcnt lgkmcnt(0)
	v_cmp_lt_i16_sdwa s[24:25], sext(v63), sext(v62) src0_sel:BYTE_0 src1_sel:BYTE_0
	v_cmp_lt_i32_e64 s[20:21], v66, v27
	s_or_b64 s[22:23], s[22:23], s[24:25]
	s_and_b64 s[20:21], s[20:21], s[22:23]
	s_xor_b64 s[22:23], s[20:21], -1
                                        ; implicit-def: $vgpr64
	s_and_saveexec_b64 s[24:25], s[22:23]
	s_xor_b64 s[22:23], exec, s[24:25]
	s_cbranch_execz .LBB68_116
; %bb.115:                              ;   in Loop: Header=BB68_2 Depth=1
	ds_read_u8 v64, v67 offset:1
.LBB68_116:                             ;   in Loop: Header=BB68_2 Depth=1
	s_or_saveexec_b64 s[22:23], s[22:23]
	v_mov_b32_e32 v65, v63
	s_xor_b64 exec, exec, s[22:23]
	s_cbranch_execz .LBB68_118
; %bb.117:                              ;   in Loop: Header=BB68_2 Depth=1
	ds_read_u8 v65, v66 offset:1
	s_waitcnt lgkmcnt(1)
	v_mov_b32_e32 v64, v62
.LBB68_118:                             ;   in Loop: Header=BB68_2 Depth=1
	s_or_b64 exec, exec, s[22:23]
	v_add_u32_e32 v69, 1, v67
	v_add_u32_e32 v68, 1, v66
	v_cndmask_b32_e64 v69, v69, v67, s[20:21]
	v_cndmask_b32_e64 v68, v66, v68, s[20:21]
	v_cmp_ge_i32_e64 s[24:25], v69, v26
	s_waitcnt lgkmcnt(0)
	v_cmp_lt_i16_sdwa s[26:27], sext(v65), sext(v64) src0_sel:BYTE_0 src1_sel:BYTE_0
	v_cmp_lt_i32_e64 s[22:23], v68, v27
	s_or_b64 s[24:25], s[24:25], s[26:27]
	s_and_b64 s[22:23], s[22:23], s[24:25]
	s_xor_b64 s[24:25], s[22:23], -1
                                        ; implicit-def: $vgpr66
	s_and_saveexec_b64 s[26:27], s[24:25]
	s_xor_b64 s[24:25], exec, s[26:27]
	s_cbranch_execz .LBB68_120
; %bb.119:                              ;   in Loop: Header=BB68_2 Depth=1
	ds_read_u8 v66, v69 offset:1
.LBB68_120:                             ;   in Loop: Header=BB68_2 Depth=1
	s_or_saveexec_b64 s[24:25], s[24:25]
	v_mov_b32_e32 v67, v65
	s_xor_b64 exec, exec, s[24:25]
	s_cbranch_execz .LBB68_122
; %bb.121:                              ;   in Loop: Header=BB68_2 Depth=1
	ds_read_u8 v67, v68 offset:1
	s_waitcnt lgkmcnt(1)
	v_mov_b32_e32 v66, v64
.LBB68_122:                             ;   in Loop: Header=BB68_2 Depth=1
	s_or_b64 exec, exec, s[24:25]
	v_add_u32_e32 v71, 1, v69
	v_add_u32_e32 v70, 1, v68
	v_cndmask_b32_e64 v72, v71, v69, s[22:23]
	v_cndmask_b32_e64 v70, v68, v70, s[22:23]
	v_cmp_ge_i32_e64 s[26:27], v72, v26
	s_waitcnt lgkmcnt(0)
	v_cmp_lt_i16_sdwa s[28:29], sext(v67), sext(v66) src0_sel:BYTE_0 src1_sel:BYTE_0
	v_cmp_lt_i32_e64 s[24:25], v70, v27
	s_or_b64 s[26:27], s[26:27], s[28:29]
	s_and_b64 s[24:25], s[24:25], s[26:27]
	s_xor_b64 s[26:27], s[24:25], -1
                                        ; implicit-def: $vgpr68
	s_and_saveexec_b64 s[28:29], s[26:27]
	s_xor_b64 s[26:27], exec, s[28:29]
	s_cbranch_execz .LBB68_124
; %bb.123:                              ;   in Loop: Header=BB68_2 Depth=1
	ds_read_u8 v68, v72 offset:1
.LBB68_124:                             ;   in Loop: Header=BB68_2 Depth=1
	s_or_saveexec_b64 s[26:27], s[26:27]
	v_mov_b32_e32 v69, v67
	s_xor_b64 exec, exec, s[26:27]
	s_cbranch_execz .LBB68_126
; %bb.125:                              ;   in Loop: Header=BB68_2 Depth=1
	ds_read_u8 v69, v70 offset:1
	s_waitcnt lgkmcnt(1)
	v_mov_b32_e32 v68, v66
.LBB68_126:                             ;   in Loop: Header=BB68_2 Depth=1
	s_or_b64 exec, exec, s[26:27]
	v_add_u32_e32 v73, 1, v72
	v_add_u32_e32 v71, 1, v70
	v_cndmask_b32_e64 v72, v73, v72, s[24:25]
	v_cndmask_b32_e64 v71, v70, v71, s[24:25]
	v_cmp_ge_i32_e64 s[28:29], v72, v26
	s_waitcnt lgkmcnt(0)
	v_cmp_lt_i16_sdwa s[44:45], sext(v69), sext(v68) src0_sel:BYTE_0 src1_sel:BYTE_0
	v_cmp_lt_i32_e64 s[26:27], v71, v27
	s_or_b64 s[28:29], s[28:29], s[44:45]
	s_and_b64 s[26:27], s[26:27], s[28:29]
	s_xor_b64 s[28:29], s[26:27], -1
                                        ; implicit-def: $vgpr70
	s_and_saveexec_b64 s[44:45], s[28:29]
	s_xor_b64 s[28:29], exec, s[44:45]
	s_cbranch_execz .LBB68_128
; %bb.127:                              ;   in Loop: Header=BB68_2 Depth=1
	ds_read_u8 v70, v72 offset:1
.LBB68_128:                             ;   in Loop: Header=BB68_2 Depth=1
	s_or_saveexec_b64 s[28:29], s[28:29]
	v_mov_b32_e32 v73, v69
	s_xor_b64 exec, exec, s[28:29]
	s_cbranch_execz .LBB68_130
; %bb.129:                              ;   in Loop: Header=BB68_2 Depth=1
	ds_read_u8 v73, v71 offset:1
	s_waitcnt lgkmcnt(1)
	v_mov_b32_e32 v70, v68
.LBB68_130:                             ;   in Loop: Header=BB68_2 Depth=1
	s_or_b64 exec, exec, s[28:29]
	v_cndmask_b32_e64 v68, v68, v69, s[26:27]
	v_add_u32_e32 v69, 1, v71
	v_add_u32_e32 v74, 1, v72
	v_cndmask_b32_e64 v69, v71, v69, s[26:27]
	v_cndmask_b32_e64 v71, v74, v72, s[26:27]
	;; [unrolled: 1-line block ×4, first 2 shown]
	v_cmp_ge_i32_e64 s[16:17], v71, v26
	s_waitcnt lgkmcnt(0)
	v_cmp_lt_i16_sdwa s[18:19], sext(v73), sext(v70) src0_sel:BYTE_0 src1_sel:BYTE_0
	v_cndmask_b32_e64 v62, v62, v63, s[20:21]
	v_cndmask_b32_e64 v56, v56, v57, s[14:15]
	v_cmp_lt_i32_e64 s[14:15], v69, v27
	s_or_b64 s[16:17], s[16:17], s[18:19]
	v_lshlrev_b16_e32 v58, 8, v58
	s_and_b64 s[14:15], s[14:15], s[16:17]
	v_or_b32_sdwa v56, v56, v58 dst_sel:DWORD dst_unused:UNUSED_PAD src0_sel:BYTE_0 src1_sel:DWORD
	v_lshlrev_b16_e32 v58, 8, v62
	v_cndmask_b32_e64 v66, v66, v67, s[24:25]
	v_cndmask_b32_e64 v57, v70, v73, s[14:15]
	v_or_b32_sdwa v58, v60, v58 dst_sel:WORD_1 dst_unused:UNUSED_PAD src0_sel:BYTE_0 src1_sel:DWORD
	v_cndmask_b32_e64 v64, v64, v65, s[22:23]
	v_or_b32_sdwa v56, v56, v58 dst_sel:DWORD dst_unused:UNUSED_PAD src0_sel:WORD_0 src1_sel:DWORD
	v_lshlrev_b16_e32 v58, 8, v66
	v_lshlrev_b16_e32 v57, 8, v57
	v_or_b32_sdwa v58, v64, v58 dst_sel:DWORD dst_unused:UNUSED_PAD src0_sel:BYTE_0 src1_sel:DWORD
	v_or_b32_sdwa v57, v68, v57 dst_sel:WORD_1 dst_unused:UNUSED_PAD src0_sel:BYTE_0 src1_sel:DWORD
	s_nop 0
	v_or_b32_sdwa v57, v58, v57 dst_sel:DWORD dst_unused:UNUSED_PAD src0_sel:WORD_0 src1_sel:DWORD
	s_barrier
	ds_write_b64 v2, v[56:57]
	v_mov_b32_e32 v56, v35
	s_waitcnt lgkmcnt(0)
	s_barrier
	s_and_saveexec_b64 s[16:17], s[6:7]
	s_cbranch_execz .LBB68_134
; %bb.131:                              ;   in Loop: Header=BB68_2 Depth=1
	s_mov_b64 s[18:19], 0
	v_mov_b32_e32 v56, v35
	v_mov_b32_e32 v57, v36
.LBB68_132:                             ;   Parent Loop BB68_2 Depth=1
                                        ; =>  This Inner Loop Header: Depth=2
	v_sub_u32_e32 v58, v57, v56
	v_lshrrev_b32_e32 v59, 31, v58
	v_add_u32_e32 v58, v58, v59
	v_ashrrev_i32_e32 v58, 1, v58
	v_add_u32_e32 v58, v58, v56
	v_not_b32_e32 v60, v58
	v_add_u32_e32 v59, v31, v58
	v_add3_u32 v60, v32, v60, v33
	ds_read_i8 v59, v59
	ds_read_i8 v60, v60
	v_add_u32_e32 v61, 1, v58
	s_waitcnt lgkmcnt(0)
	v_cmp_lt_i16_e64 s[14:15], v60, v59
	s_nop 1
	v_cndmask_b32_e64 v57, v57, v58, s[14:15]
	v_cndmask_b32_e64 v56, v61, v56, s[14:15]
	v_cmp_ge_i32_e64 s[14:15], v56, v57
	s_or_b64 s[18:19], s[14:15], s[18:19]
	s_andn2_b64 exec, exec, s[18:19]
	s_cbranch_execnz .LBB68_132
; %bb.133:                              ;   in Loop: Header=BB68_2 Depth=1
	s_or_b64 exec, exec, s[18:19]
.LBB68_134:                             ;   in Loop: Header=BB68_2 Depth=1
	s_or_b64 exec, exec, s[16:17]
	v_add_u32_e32 v60, v56, v31
	v_sub_u32_e32 v61, v37, v56
	ds_read_u8 v56, v60
	ds_read_u8 v57, v61
	v_cmp_le_i32_e64 s[16:17], v33, v60
	v_cmp_gt_i32_e64 s[14:15], v34, v61
                                        ; implicit-def: $vgpr58
	s_waitcnt lgkmcnt(1)
	v_bfe_i32 v56, v56, 0, 8
	s_waitcnt lgkmcnt(0)
	v_bfe_i32 v57, v57, 0, 8
	v_cmp_lt_i16_e64 s[18:19], v57, v56
	s_or_b64 s[16:17], s[16:17], s[18:19]
	s_and_b64 s[14:15], s[14:15], s[16:17]
	s_xor_b64 s[16:17], s[14:15], -1
	s_and_saveexec_b64 s[18:19], s[16:17]
	s_xor_b64 s[16:17], exec, s[18:19]
	s_cbranch_execz .LBB68_136
; %bb.135:                              ;   in Loop: Header=BB68_2 Depth=1
	ds_read_u8 v58, v60 offset:1
.LBB68_136:                             ;   in Loop: Header=BB68_2 Depth=1
	s_or_saveexec_b64 s[16:17], s[16:17]
	v_mov_b32_e32 v59, v57
	s_xor_b64 exec, exec, s[16:17]
	s_cbranch_execz .LBB68_138
; %bb.137:                              ;   in Loop: Header=BB68_2 Depth=1
	ds_read_u8 v59, v61 offset:1
	s_waitcnt lgkmcnt(1)
	v_mov_b32_e32 v58, v56
.LBB68_138:                             ;   in Loop: Header=BB68_2 Depth=1
	s_or_b64 exec, exec, s[16:17]
	v_add_u32_e32 v63, 1, v60
	v_add_u32_e32 v62, 1, v61
	v_cndmask_b32_e64 v63, v63, v60, s[14:15]
	v_cndmask_b32_e64 v62, v61, v62, s[14:15]
	v_cmp_ge_i32_e64 s[18:19], v63, v33
	s_waitcnt lgkmcnt(0)
	v_cmp_lt_i16_sdwa s[20:21], sext(v59), sext(v58) src0_sel:BYTE_0 src1_sel:BYTE_0
	v_cmp_lt_i32_e64 s[16:17], v62, v34
	s_or_b64 s[18:19], s[18:19], s[20:21]
	s_and_b64 s[16:17], s[16:17], s[18:19]
	s_xor_b64 s[18:19], s[16:17], -1
                                        ; implicit-def: $vgpr60
	s_and_saveexec_b64 s[20:21], s[18:19]
	s_xor_b64 s[18:19], exec, s[20:21]
	s_cbranch_execz .LBB68_140
; %bb.139:                              ;   in Loop: Header=BB68_2 Depth=1
	ds_read_u8 v60, v63 offset:1
.LBB68_140:                             ;   in Loop: Header=BB68_2 Depth=1
	s_or_saveexec_b64 s[18:19], s[18:19]
	v_mov_b32_e32 v61, v59
	s_xor_b64 exec, exec, s[18:19]
	s_cbranch_execz .LBB68_142
; %bb.141:                              ;   in Loop: Header=BB68_2 Depth=1
	ds_read_u8 v61, v62 offset:1
	s_waitcnt lgkmcnt(1)
	v_mov_b32_e32 v60, v58
.LBB68_142:                             ;   in Loop: Header=BB68_2 Depth=1
	s_or_b64 exec, exec, s[18:19]
	v_add_u32_e32 v65, 1, v63
	v_add_u32_e32 v64, 1, v62
	v_cndmask_b32_e64 v65, v65, v63, s[16:17]
	v_cndmask_b32_e64 v64, v62, v64, s[16:17]
	v_cmp_ge_i32_e64 s[20:21], v65, v33
	s_waitcnt lgkmcnt(0)
	v_cmp_lt_i16_sdwa s[22:23], sext(v61), sext(v60) src0_sel:BYTE_0 src1_sel:BYTE_0
	v_cmp_lt_i32_e64 s[18:19], v64, v34
	s_or_b64 s[20:21], s[20:21], s[22:23]
	s_and_b64 s[18:19], s[18:19], s[20:21]
	s_xor_b64 s[20:21], s[18:19], -1
                                        ; implicit-def: $vgpr62
	s_and_saveexec_b64 s[22:23], s[20:21]
	s_xor_b64 s[20:21], exec, s[22:23]
	s_cbranch_execz .LBB68_144
; %bb.143:                              ;   in Loop: Header=BB68_2 Depth=1
	ds_read_u8 v62, v65 offset:1
.LBB68_144:                             ;   in Loop: Header=BB68_2 Depth=1
	s_or_saveexec_b64 s[20:21], s[20:21]
	v_mov_b32_e32 v63, v61
	s_xor_b64 exec, exec, s[20:21]
	s_cbranch_execz .LBB68_146
; %bb.145:                              ;   in Loop: Header=BB68_2 Depth=1
	ds_read_u8 v63, v64 offset:1
	s_waitcnt lgkmcnt(1)
	v_mov_b32_e32 v62, v60
.LBB68_146:                             ;   in Loop: Header=BB68_2 Depth=1
	s_or_b64 exec, exec, s[20:21]
	v_add_u32_e32 v67, 1, v65
	v_add_u32_e32 v66, 1, v64
	v_cndmask_b32_e64 v67, v67, v65, s[18:19]
	v_cndmask_b32_e64 v66, v64, v66, s[18:19]
	v_cmp_ge_i32_e64 s[22:23], v67, v33
	s_waitcnt lgkmcnt(0)
	v_cmp_lt_i16_sdwa s[24:25], sext(v63), sext(v62) src0_sel:BYTE_0 src1_sel:BYTE_0
	v_cmp_lt_i32_e64 s[20:21], v66, v34
	s_or_b64 s[22:23], s[22:23], s[24:25]
	s_and_b64 s[20:21], s[20:21], s[22:23]
	s_xor_b64 s[22:23], s[20:21], -1
                                        ; implicit-def: $vgpr64
	s_and_saveexec_b64 s[24:25], s[22:23]
	s_xor_b64 s[22:23], exec, s[24:25]
	s_cbranch_execz .LBB68_148
; %bb.147:                              ;   in Loop: Header=BB68_2 Depth=1
	ds_read_u8 v64, v67 offset:1
.LBB68_148:                             ;   in Loop: Header=BB68_2 Depth=1
	s_or_saveexec_b64 s[22:23], s[22:23]
	v_mov_b32_e32 v65, v63
	s_xor_b64 exec, exec, s[22:23]
	s_cbranch_execz .LBB68_150
; %bb.149:                              ;   in Loop: Header=BB68_2 Depth=1
	ds_read_u8 v65, v66 offset:1
	s_waitcnt lgkmcnt(1)
	v_mov_b32_e32 v64, v62
.LBB68_150:                             ;   in Loop: Header=BB68_2 Depth=1
	s_or_b64 exec, exec, s[22:23]
	v_add_u32_e32 v69, 1, v67
	v_add_u32_e32 v68, 1, v66
	v_cndmask_b32_e64 v69, v69, v67, s[20:21]
	v_cndmask_b32_e64 v68, v66, v68, s[20:21]
	v_cmp_ge_i32_e64 s[24:25], v69, v33
	s_waitcnt lgkmcnt(0)
	v_cmp_lt_i16_sdwa s[26:27], sext(v65), sext(v64) src0_sel:BYTE_0 src1_sel:BYTE_0
	v_cmp_lt_i32_e64 s[22:23], v68, v34
	s_or_b64 s[24:25], s[24:25], s[26:27]
	s_and_b64 s[22:23], s[22:23], s[24:25]
	s_xor_b64 s[24:25], s[22:23], -1
                                        ; implicit-def: $vgpr66
	s_and_saveexec_b64 s[26:27], s[24:25]
	s_xor_b64 s[24:25], exec, s[26:27]
	s_cbranch_execz .LBB68_152
; %bb.151:                              ;   in Loop: Header=BB68_2 Depth=1
	ds_read_u8 v66, v69 offset:1
.LBB68_152:                             ;   in Loop: Header=BB68_2 Depth=1
	s_or_saveexec_b64 s[24:25], s[24:25]
	v_mov_b32_e32 v67, v65
	s_xor_b64 exec, exec, s[24:25]
	s_cbranch_execz .LBB68_154
; %bb.153:                              ;   in Loop: Header=BB68_2 Depth=1
	ds_read_u8 v67, v68 offset:1
	s_waitcnt lgkmcnt(1)
	v_mov_b32_e32 v66, v64
.LBB68_154:                             ;   in Loop: Header=BB68_2 Depth=1
	s_or_b64 exec, exec, s[24:25]
	v_add_u32_e32 v71, 1, v69
	v_add_u32_e32 v70, 1, v68
	v_cndmask_b32_e64 v72, v71, v69, s[22:23]
	v_cndmask_b32_e64 v70, v68, v70, s[22:23]
	v_cmp_ge_i32_e64 s[26:27], v72, v33
	s_waitcnt lgkmcnt(0)
	v_cmp_lt_i16_sdwa s[28:29], sext(v67), sext(v66) src0_sel:BYTE_0 src1_sel:BYTE_0
	v_cmp_lt_i32_e64 s[24:25], v70, v34
	s_or_b64 s[26:27], s[26:27], s[28:29]
	s_and_b64 s[24:25], s[24:25], s[26:27]
	s_xor_b64 s[26:27], s[24:25], -1
                                        ; implicit-def: $vgpr68
	s_and_saveexec_b64 s[28:29], s[26:27]
	s_xor_b64 s[26:27], exec, s[28:29]
	s_cbranch_execz .LBB68_156
; %bb.155:                              ;   in Loop: Header=BB68_2 Depth=1
	ds_read_u8 v68, v72 offset:1
.LBB68_156:                             ;   in Loop: Header=BB68_2 Depth=1
	s_or_saveexec_b64 s[26:27], s[26:27]
	v_mov_b32_e32 v69, v67
	s_xor_b64 exec, exec, s[26:27]
	s_cbranch_execz .LBB68_158
; %bb.157:                              ;   in Loop: Header=BB68_2 Depth=1
	ds_read_u8 v69, v70 offset:1
	s_waitcnt lgkmcnt(1)
	v_mov_b32_e32 v68, v66
.LBB68_158:                             ;   in Loop: Header=BB68_2 Depth=1
	s_or_b64 exec, exec, s[26:27]
	v_add_u32_e32 v73, 1, v72
	v_add_u32_e32 v71, 1, v70
	v_cndmask_b32_e64 v72, v73, v72, s[24:25]
	v_cndmask_b32_e64 v71, v70, v71, s[24:25]
	v_cmp_ge_i32_e64 s[28:29], v72, v33
	s_waitcnt lgkmcnt(0)
	v_cmp_lt_i16_sdwa s[44:45], sext(v69), sext(v68) src0_sel:BYTE_0 src1_sel:BYTE_0
	v_cmp_lt_i32_e64 s[26:27], v71, v34
	s_or_b64 s[28:29], s[28:29], s[44:45]
	s_and_b64 s[26:27], s[26:27], s[28:29]
	s_xor_b64 s[28:29], s[26:27], -1
                                        ; implicit-def: $vgpr70
	s_and_saveexec_b64 s[44:45], s[28:29]
	s_xor_b64 s[28:29], exec, s[44:45]
	s_cbranch_execz .LBB68_160
; %bb.159:                              ;   in Loop: Header=BB68_2 Depth=1
	ds_read_u8 v70, v72 offset:1
.LBB68_160:                             ;   in Loop: Header=BB68_2 Depth=1
	s_or_saveexec_b64 s[28:29], s[28:29]
	v_mov_b32_e32 v73, v69
	s_xor_b64 exec, exec, s[28:29]
	s_cbranch_execz .LBB68_162
; %bb.161:                              ;   in Loop: Header=BB68_2 Depth=1
	ds_read_u8 v73, v71 offset:1
	s_waitcnt lgkmcnt(1)
	v_mov_b32_e32 v70, v68
.LBB68_162:                             ;   in Loop: Header=BB68_2 Depth=1
	s_or_b64 exec, exec, s[28:29]
	v_cndmask_b32_e64 v68, v68, v69, s[26:27]
	v_add_u32_e32 v69, 1, v71
	v_add_u32_e32 v74, 1, v72
	v_cndmask_b32_e64 v69, v71, v69, s[26:27]
	v_cndmask_b32_e64 v71, v74, v72, s[26:27]
	;; [unrolled: 1-line block ×4, first 2 shown]
	v_cmp_ge_i32_e64 s[16:17], v71, v33
	s_waitcnt lgkmcnt(0)
	v_cmp_lt_i16_sdwa s[18:19], sext(v73), sext(v70) src0_sel:BYTE_0 src1_sel:BYTE_0
	v_cndmask_b32_e64 v62, v62, v63, s[20:21]
	v_cndmask_b32_e64 v56, v56, v57, s[14:15]
	v_cmp_lt_i32_e64 s[14:15], v69, v34
	s_or_b64 s[16:17], s[16:17], s[18:19]
	v_lshlrev_b16_e32 v58, 8, v58
	s_and_b64 s[14:15], s[14:15], s[16:17]
	v_or_b32_sdwa v56, v56, v58 dst_sel:DWORD dst_unused:UNUSED_PAD src0_sel:BYTE_0 src1_sel:DWORD
	v_lshlrev_b16_e32 v58, 8, v62
	v_cndmask_b32_e64 v66, v66, v67, s[24:25]
	v_cndmask_b32_e64 v57, v70, v73, s[14:15]
	v_or_b32_sdwa v58, v60, v58 dst_sel:WORD_1 dst_unused:UNUSED_PAD src0_sel:BYTE_0 src1_sel:DWORD
	v_cndmask_b32_e64 v64, v64, v65, s[22:23]
	v_or_b32_sdwa v56, v56, v58 dst_sel:DWORD dst_unused:UNUSED_PAD src0_sel:WORD_0 src1_sel:DWORD
	v_lshlrev_b16_e32 v58, 8, v66
	v_lshlrev_b16_e32 v57, 8, v57
	v_or_b32_sdwa v58, v64, v58 dst_sel:DWORD dst_unused:UNUSED_PAD src0_sel:BYTE_0 src1_sel:DWORD
	v_or_b32_sdwa v57, v68, v57 dst_sel:WORD_1 dst_unused:UNUSED_PAD src0_sel:BYTE_0 src1_sel:DWORD
	s_nop 0
	v_or_b32_sdwa v57, v58, v57 dst_sel:DWORD dst_unused:UNUSED_PAD src0_sel:WORD_0 src1_sel:DWORD
	s_barrier
	ds_write_b64 v2, v[56:57]
	v_mov_b32_e32 v56, v42
	s_waitcnt lgkmcnt(0)
	s_barrier
	s_and_saveexec_b64 s[16:17], s[8:9]
	s_cbranch_execz .LBB68_166
; %bb.163:                              ;   in Loop: Header=BB68_2 Depth=1
	s_mov_b64 s[18:19], 0
	v_mov_b32_e32 v56, v42
	v_mov_b32_e32 v57, v43
.LBB68_164:                             ;   Parent Loop BB68_2 Depth=1
                                        ; =>  This Inner Loop Header: Depth=2
	v_sub_u32_e32 v58, v57, v56
	v_lshrrev_b32_e32 v59, 31, v58
	v_add_u32_e32 v58, v58, v59
	v_ashrrev_i32_e32 v58, 1, v58
	v_add_u32_e32 v58, v58, v56
	v_not_b32_e32 v60, v58
	v_add_u32_e32 v59, v38, v58
	v_add3_u32 v60, v39, v60, v40
	ds_read_i8 v59, v59
	ds_read_i8 v60, v60
	v_add_u32_e32 v61, 1, v58
	s_waitcnt lgkmcnt(0)
	v_cmp_lt_i16_e64 s[14:15], v60, v59
	s_nop 1
	v_cndmask_b32_e64 v57, v57, v58, s[14:15]
	v_cndmask_b32_e64 v56, v61, v56, s[14:15]
	v_cmp_ge_i32_e64 s[14:15], v56, v57
	s_or_b64 s[18:19], s[14:15], s[18:19]
	s_andn2_b64 exec, exec, s[18:19]
	s_cbranch_execnz .LBB68_164
; %bb.165:                              ;   in Loop: Header=BB68_2 Depth=1
	s_or_b64 exec, exec, s[18:19]
.LBB68_166:                             ;   in Loop: Header=BB68_2 Depth=1
	s_or_b64 exec, exec, s[16:17]
	v_add_u32_e32 v60, v56, v38
	v_sub_u32_e32 v61, v44, v56
	ds_read_u8 v56, v60
	ds_read_u8 v57, v61
	v_cmp_le_i32_e64 s[16:17], v40, v60
	v_cmp_gt_i32_e64 s[14:15], v41, v61
                                        ; implicit-def: $vgpr58
	s_waitcnt lgkmcnt(1)
	v_bfe_i32 v56, v56, 0, 8
	s_waitcnt lgkmcnt(0)
	v_bfe_i32 v57, v57, 0, 8
	v_cmp_lt_i16_e64 s[18:19], v57, v56
	s_or_b64 s[16:17], s[16:17], s[18:19]
	s_and_b64 s[14:15], s[14:15], s[16:17]
	s_xor_b64 s[16:17], s[14:15], -1
	s_and_saveexec_b64 s[18:19], s[16:17]
	s_xor_b64 s[16:17], exec, s[18:19]
	s_cbranch_execz .LBB68_168
; %bb.167:                              ;   in Loop: Header=BB68_2 Depth=1
	ds_read_u8 v58, v60 offset:1
.LBB68_168:                             ;   in Loop: Header=BB68_2 Depth=1
	s_or_saveexec_b64 s[16:17], s[16:17]
	v_mov_b32_e32 v59, v57
	s_xor_b64 exec, exec, s[16:17]
	s_cbranch_execz .LBB68_170
; %bb.169:                              ;   in Loop: Header=BB68_2 Depth=1
	ds_read_u8 v59, v61 offset:1
	s_waitcnt lgkmcnt(1)
	v_mov_b32_e32 v58, v56
.LBB68_170:                             ;   in Loop: Header=BB68_2 Depth=1
	s_or_b64 exec, exec, s[16:17]
	v_add_u32_e32 v63, 1, v60
	v_add_u32_e32 v62, 1, v61
	v_cndmask_b32_e64 v63, v63, v60, s[14:15]
	v_cndmask_b32_e64 v62, v61, v62, s[14:15]
	v_cmp_ge_i32_e64 s[18:19], v63, v40
	s_waitcnt lgkmcnt(0)
	v_cmp_lt_i16_sdwa s[20:21], sext(v59), sext(v58) src0_sel:BYTE_0 src1_sel:BYTE_0
	v_cmp_lt_i32_e64 s[16:17], v62, v41
	s_or_b64 s[18:19], s[18:19], s[20:21]
	s_and_b64 s[16:17], s[16:17], s[18:19]
	s_xor_b64 s[18:19], s[16:17], -1
                                        ; implicit-def: $vgpr60
	s_and_saveexec_b64 s[20:21], s[18:19]
	s_xor_b64 s[18:19], exec, s[20:21]
	s_cbranch_execz .LBB68_172
; %bb.171:                              ;   in Loop: Header=BB68_2 Depth=1
	ds_read_u8 v60, v63 offset:1
.LBB68_172:                             ;   in Loop: Header=BB68_2 Depth=1
	s_or_saveexec_b64 s[18:19], s[18:19]
	v_mov_b32_e32 v61, v59
	s_xor_b64 exec, exec, s[18:19]
	s_cbranch_execz .LBB68_174
; %bb.173:                              ;   in Loop: Header=BB68_2 Depth=1
	ds_read_u8 v61, v62 offset:1
	s_waitcnt lgkmcnt(1)
	v_mov_b32_e32 v60, v58
.LBB68_174:                             ;   in Loop: Header=BB68_2 Depth=1
	s_or_b64 exec, exec, s[18:19]
	v_add_u32_e32 v65, 1, v63
	v_add_u32_e32 v64, 1, v62
	v_cndmask_b32_e64 v65, v65, v63, s[16:17]
	v_cndmask_b32_e64 v64, v62, v64, s[16:17]
	v_cmp_ge_i32_e64 s[20:21], v65, v40
	s_waitcnt lgkmcnt(0)
	v_cmp_lt_i16_sdwa s[22:23], sext(v61), sext(v60) src0_sel:BYTE_0 src1_sel:BYTE_0
	v_cmp_lt_i32_e64 s[18:19], v64, v41
	s_or_b64 s[20:21], s[20:21], s[22:23]
	s_and_b64 s[18:19], s[18:19], s[20:21]
	s_xor_b64 s[20:21], s[18:19], -1
                                        ; implicit-def: $vgpr62
	s_and_saveexec_b64 s[22:23], s[20:21]
	s_xor_b64 s[20:21], exec, s[22:23]
	s_cbranch_execz .LBB68_176
; %bb.175:                              ;   in Loop: Header=BB68_2 Depth=1
	ds_read_u8 v62, v65 offset:1
.LBB68_176:                             ;   in Loop: Header=BB68_2 Depth=1
	s_or_saveexec_b64 s[20:21], s[20:21]
	v_mov_b32_e32 v63, v61
	s_xor_b64 exec, exec, s[20:21]
	s_cbranch_execz .LBB68_178
; %bb.177:                              ;   in Loop: Header=BB68_2 Depth=1
	ds_read_u8 v63, v64 offset:1
	s_waitcnt lgkmcnt(1)
	v_mov_b32_e32 v62, v60
.LBB68_178:                             ;   in Loop: Header=BB68_2 Depth=1
	s_or_b64 exec, exec, s[20:21]
	v_add_u32_e32 v67, 1, v65
	v_add_u32_e32 v66, 1, v64
	v_cndmask_b32_e64 v67, v67, v65, s[18:19]
	v_cndmask_b32_e64 v66, v64, v66, s[18:19]
	v_cmp_ge_i32_e64 s[22:23], v67, v40
	s_waitcnt lgkmcnt(0)
	v_cmp_lt_i16_sdwa s[24:25], sext(v63), sext(v62) src0_sel:BYTE_0 src1_sel:BYTE_0
	v_cmp_lt_i32_e64 s[20:21], v66, v41
	s_or_b64 s[22:23], s[22:23], s[24:25]
	s_and_b64 s[20:21], s[20:21], s[22:23]
	s_xor_b64 s[22:23], s[20:21], -1
                                        ; implicit-def: $vgpr64
	s_and_saveexec_b64 s[24:25], s[22:23]
	s_xor_b64 s[22:23], exec, s[24:25]
	s_cbranch_execz .LBB68_180
; %bb.179:                              ;   in Loop: Header=BB68_2 Depth=1
	ds_read_u8 v64, v67 offset:1
.LBB68_180:                             ;   in Loop: Header=BB68_2 Depth=1
	s_or_saveexec_b64 s[22:23], s[22:23]
	v_mov_b32_e32 v65, v63
	s_xor_b64 exec, exec, s[22:23]
	s_cbranch_execz .LBB68_182
; %bb.181:                              ;   in Loop: Header=BB68_2 Depth=1
	ds_read_u8 v65, v66 offset:1
	s_waitcnt lgkmcnt(1)
	v_mov_b32_e32 v64, v62
.LBB68_182:                             ;   in Loop: Header=BB68_2 Depth=1
	s_or_b64 exec, exec, s[22:23]
	v_add_u32_e32 v69, 1, v67
	v_add_u32_e32 v68, 1, v66
	v_cndmask_b32_e64 v69, v69, v67, s[20:21]
	v_cndmask_b32_e64 v68, v66, v68, s[20:21]
	v_cmp_ge_i32_e64 s[24:25], v69, v40
	s_waitcnt lgkmcnt(0)
	v_cmp_lt_i16_sdwa s[26:27], sext(v65), sext(v64) src0_sel:BYTE_0 src1_sel:BYTE_0
	v_cmp_lt_i32_e64 s[22:23], v68, v41
	s_or_b64 s[24:25], s[24:25], s[26:27]
	s_and_b64 s[22:23], s[22:23], s[24:25]
	s_xor_b64 s[24:25], s[22:23], -1
                                        ; implicit-def: $vgpr66
	s_and_saveexec_b64 s[26:27], s[24:25]
	s_xor_b64 s[24:25], exec, s[26:27]
	s_cbranch_execz .LBB68_184
; %bb.183:                              ;   in Loop: Header=BB68_2 Depth=1
	ds_read_u8 v66, v69 offset:1
.LBB68_184:                             ;   in Loop: Header=BB68_2 Depth=1
	s_or_saveexec_b64 s[24:25], s[24:25]
	v_mov_b32_e32 v67, v65
	s_xor_b64 exec, exec, s[24:25]
	s_cbranch_execz .LBB68_186
; %bb.185:                              ;   in Loop: Header=BB68_2 Depth=1
	ds_read_u8 v67, v68 offset:1
	s_waitcnt lgkmcnt(1)
	v_mov_b32_e32 v66, v64
.LBB68_186:                             ;   in Loop: Header=BB68_2 Depth=1
	s_or_b64 exec, exec, s[24:25]
	v_add_u32_e32 v71, 1, v69
	v_add_u32_e32 v70, 1, v68
	v_cndmask_b32_e64 v72, v71, v69, s[22:23]
	v_cndmask_b32_e64 v70, v68, v70, s[22:23]
	v_cmp_ge_i32_e64 s[26:27], v72, v40
	s_waitcnt lgkmcnt(0)
	v_cmp_lt_i16_sdwa s[28:29], sext(v67), sext(v66) src0_sel:BYTE_0 src1_sel:BYTE_0
	v_cmp_lt_i32_e64 s[24:25], v70, v41
	s_or_b64 s[26:27], s[26:27], s[28:29]
	s_and_b64 s[24:25], s[24:25], s[26:27]
	s_xor_b64 s[26:27], s[24:25], -1
                                        ; implicit-def: $vgpr68
	s_and_saveexec_b64 s[28:29], s[26:27]
	s_xor_b64 s[26:27], exec, s[28:29]
	s_cbranch_execz .LBB68_188
; %bb.187:                              ;   in Loop: Header=BB68_2 Depth=1
	ds_read_u8 v68, v72 offset:1
.LBB68_188:                             ;   in Loop: Header=BB68_2 Depth=1
	s_or_saveexec_b64 s[26:27], s[26:27]
	v_mov_b32_e32 v69, v67
	s_xor_b64 exec, exec, s[26:27]
	s_cbranch_execz .LBB68_190
; %bb.189:                              ;   in Loop: Header=BB68_2 Depth=1
	ds_read_u8 v69, v70 offset:1
	s_waitcnt lgkmcnt(1)
	v_mov_b32_e32 v68, v66
.LBB68_190:                             ;   in Loop: Header=BB68_2 Depth=1
	s_or_b64 exec, exec, s[26:27]
	v_add_u32_e32 v73, 1, v72
	v_add_u32_e32 v71, 1, v70
	v_cndmask_b32_e64 v72, v73, v72, s[24:25]
	v_cndmask_b32_e64 v71, v70, v71, s[24:25]
	v_cmp_ge_i32_e64 s[28:29], v72, v40
	s_waitcnt lgkmcnt(0)
	v_cmp_lt_i16_sdwa s[44:45], sext(v69), sext(v68) src0_sel:BYTE_0 src1_sel:BYTE_0
	v_cmp_lt_i32_e64 s[26:27], v71, v41
	s_or_b64 s[28:29], s[28:29], s[44:45]
	s_and_b64 s[26:27], s[26:27], s[28:29]
	s_xor_b64 s[28:29], s[26:27], -1
                                        ; implicit-def: $vgpr70
	s_and_saveexec_b64 s[44:45], s[28:29]
	s_xor_b64 s[28:29], exec, s[44:45]
	s_cbranch_execz .LBB68_192
; %bb.191:                              ;   in Loop: Header=BB68_2 Depth=1
	ds_read_u8 v70, v72 offset:1
.LBB68_192:                             ;   in Loop: Header=BB68_2 Depth=1
	s_or_saveexec_b64 s[28:29], s[28:29]
	v_mov_b32_e32 v73, v69
	s_xor_b64 exec, exec, s[28:29]
	s_cbranch_execz .LBB68_194
; %bb.193:                              ;   in Loop: Header=BB68_2 Depth=1
	ds_read_u8 v73, v71 offset:1
	s_waitcnt lgkmcnt(1)
	v_mov_b32_e32 v70, v68
.LBB68_194:                             ;   in Loop: Header=BB68_2 Depth=1
	s_or_b64 exec, exec, s[28:29]
	v_cndmask_b32_e64 v68, v68, v69, s[26:27]
	v_add_u32_e32 v69, 1, v71
	v_add_u32_e32 v74, 1, v72
	v_cndmask_b32_e64 v69, v71, v69, s[26:27]
	v_cndmask_b32_e64 v71, v74, v72, s[26:27]
	;; [unrolled: 1-line block ×4, first 2 shown]
	v_cmp_ge_i32_e64 s[16:17], v71, v40
	s_waitcnt lgkmcnt(0)
	v_cmp_lt_i16_sdwa s[18:19], sext(v73), sext(v70) src0_sel:BYTE_0 src1_sel:BYTE_0
	v_cndmask_b32_e64 v62, v62, v63, s[20:21]
	v_cndmask_b32_e64 v56, v56, v57, s[14:15]
	v_cmp_lt_i32_e64 s[14:15], v69, v41
	s_or_b64 s[16:17], s[16:17], s[18:19]
	v_lshlrev_b16_e32 v58, 8, v58
	s_and_b64 s[14:15], s[14:15], s[16:17]
	v_or_b32_sdwa v56, v56, v58 dst_sel:DWORD dst_unused:UNUSED_PAD src0_sel:BYTE_0 src1_sel:DWORD
	v_lshlrev_b16_e32 v58, 8, v62
	v_cndmask_b32_e64 v66, v66, v67, s[24:25]
	v_cndmask_b32_e64 v57, v70, v73, s[14:15]
	v_or_b32_sdwa v58, v60, v58 dst_sel:WORD_1 dst_unused:UNUSED_PAD src0_sel:BYTE_0 src1_sel:DWORD
	v_cndmask_b32_e64 v64, v64, v65, s[22:23]
	v_or_b32_sdwa v56, v56, v58 dst_sel:DWORD dst_unused:UNUSED_PAD src0_sel:WORD_0 src1_sel:DWORD
	v_lshlrev_b16_e32 v58, 8, v66
	v_lshlrev_b16_e32 v57, 8, v57
	v_or_b32_sdwa v58, v64, v58 dst_sel:DWORD dst_unused:UNUSED_PAD src0_sel:BYTE_0 src1_sel:DWORD
	v_or_b32_sdwa v57, v68, v57 dst_sel:WORD_1 dst_unused:UNUSED_PAD src0_sel:BYTE_0 src1_sel:DWORD
	s_nop 0
	v_or_b32_sdwa v57, v58, v57 dst_sel:DWORD dst_unused:UNUSED_PAD src0_sel:WORD_0 src1_sel:DWORD
	s_barrier
	ds_write_b64 v2, v[56:57]
	v_mov_b32_e32 v56, v50
	s_waitcnt lgkmcnt(0)
	s_barrier
	s_and_saveexec_b64 s[16:17], s[10:11]
	s_cbranch_execz .LBB68_198
; %bb.195:                              ;   in Loop: Header=BB68_2 Depth=1
	s_mov_b64 s[18:19], 0
	v_mov_b32_e32 v56, v50
	v_mov_b32_e32 v57, v51
.LBB68_196:                             ;   Parent Loop BB68_2 Depth=1
                                        ; =>  This Inner Loop Header: Depth=2
	v_sub_u32_e32 v58, v57, v56
	v_lshrrev_b32_e32 v59, 31, v58
	v_add_u32_e32 v58, v58, v59
	v_ashrrev_i32_e32 v58, 1, v58
	v_add_u32_e32 v58, v58, v56
	v_not_b32_e32 v60, v58
	v_add_u32_e32 v59, v46, v58
	v_add3_u32 v60, v47, v60, v48
	ds_read_i8 v59, v59
	ds_read_i8 v60, v60
	v_add_u32_e32 v61, 1, v58
	s_waitcnt lgkmcnt(0)
	v_cmp_lt_i16_e64 s[14:15], v60, v59
	s_nop 1
	v_cndmask_b32_e64 v57, v57, v58, s[14:15]
	v_cndmask_b32_e64 v56, v61, v56, s[14:15]
	v_cmp_ge_i32_e64 s[14:15], v56, v57
	s_or_b64 s[18:19], s[14:15], s[18:19]
	s_andn2_b64 exec, exec, s[18:19]
	s_cbranch_execnz .LBB68_196
; %bb.197:                              ;   in Loop: Header=BB68_2 Depth=1
	s_or_b64 exec, exec, s[18:19]
.LBB68_198:                             ;   in Loop: Header=BB68_2 Depth=1
	s_or_b64 exec, exec, s[16:17]
	v_add_u32_e32 v60, v56, v46
	v_sub_u32_e32 v61, v52, v56
	ds_read_u8 v56, v60
	ds_read_u8 v57, v61
	v_cmp_le_i32_e64 s[16:17], v48, v60
	v_cmp_gt_i32_e64 s[14:15], v49, v61
                                        ; implicit-def: $vgpr58
	s_waitcnt lgkmcnt(1)
	v_bfe_i32 v56, v56, 0, 8
	s_waitcnt lgkmcnt(0)
	v_bfe_i32 v57, v57, 0, 8
	v_cmp_lt_i16_e64 s[18:19], v57, v56
	s_or_b64 s[16:17], s[16:17], s[18:19]
	s_and_b64 s[14:15], s[14:15], s[16:17]
	s_xor_b64 s[16:17], s[14:15], -1
	s_and_saveexec_b64 s[18:19], s[16:17]
	s_xor_b64 s[16:17], exec, s[18:19]
	s_cbranch_execz .LBB68_200
; %bb.199:                              ;   in Loop: Header=BB68_2 Depth=1
	ds_read_u8 v58, v60 offset:1
.LBB68_200:                             ;   in Loop: Header=BB68_2 Depth=1
	s_or_saveexec_b64 s[16:17], s[16:17]
	v_mov_b32_e32 v59, v57
	s_xor_b64 exec, exec, s[16:17]
	s_cbranch_execz .LBB68_202
; %bb.201:                              ;   in Loop: Header=BB68_2 Depth=1
	ds_read_u8 v59, v61 offset:1
	s_waitcnt lgkmcnt(1)
	v_mov_b32_e32 v58, v56
.LBB68_202:                             ;   in Loop: Header=BB68_2 Depth=1
	s_or_b64 exec, exec, s[16:17]
	v_add_u32_e32 v63, 1, v60
	v_add_u32_e32 v62, 1, v61
	v_cndmask_b32_e64 v63, v63, v60, s[14:15]
	v_cndmask_b32_e64 v62, v61, v62, s[14:15]
	v_cmp_ge_i32_e64 s[18:19], v63, v48
	s_waitcnt lgkmcnt(0)
	v_cmp_lt_i16_sdwa s[20:21], sext(v59), sext(v58) src0_sel:BYTE_0 src1_sel:BYTE_0
	v_cmp_lt_i32_e64 s[16:17], v62, v49
	s_or_b64 s[18:19], s[18:19], s[20:21]
	s_and_b64 s[16:17], s[16:17], s[18:19]
	s_xor_b64 s[18:19], s[16:17], -1
                                        ; implicit-def: $vgpr60
	s_and_saveexec_b64 s[20:21], s[18:19]
	s_xor_b64 s[18:19], exec, s[20:21]
	s_cbranch_execz .LBB68_204
; %bb.203:                              ;   in Loop: Header=BB68_2 Depth=1
	ds_read_u8 v60, v63 offset:1
.LBB68_204:                             ;   in Loop: Header=BB68_2 Depth=1
	s_or_saveexec_b64 s[18:19], s[18:19]
	v_mov_b32_e32 v61, v59
	s_xor_b64 exec, exec, s[18:19]
	s_cbranch_execz .LBB68_206
; %bb.205:                              ;   in Loop: Header=BB68_2 Depth=1
	ds_read_u8 v61, v62 offset:1
	s_waitcnt lgkmcnt(1)
	v_mov_b32_e32 v60, v58
.LBB68_206:                             ;   in Loop: Header=BB68_2 Depth=1
	s_or_b64 exec, exec, s[18:19]
	v_add_u32_e32 v65, 1, v63
	v_add_u32_e32 v64, 1, v62
	v_cndmask_b32_e64 v65, v65, v63, s[16:17]
	v_cndmask_b32_e64 v64, v62, v64, s[16:17]
	v_cmp_ge_i32_e64 s[20:21], v65, v48
	s_waitcnt lgkmcnt(0)
	v_cmp_lt_i16_sdwa s[22:23], sext(v61), sext(v60) src0_sel:BYTE_0 src1_sel:BYTE_0
	v_cmp_lt_i32_e64 s[18:19], v64, v49
	s_or_b64 s[20:21], s[20:21], s[22:23]
	s_and_b64 s[18:19], s[18:19], s[20:21]
	s_xor_b64 s[20:21], s[18:19], -1
                                        ; implicit-def: $vgpr62
	s_and_saveexec_b64 s[22:23], s[20:21]
	s_xor_b64 s[20:21], exec, s[22:23]
	s_cbranch_execz .LBB68_208
; %bb.207:                              ;   in Loop: Header=BB68_2 Depth=1
	ds_read_u8 v62, v65 offset:1
.LBB68_208:                             ;   in Loop: Header=BB68_2 Depth=1
	s_or_saveexec_b64 s[20:21], s[20:21]
	v_mov_b32_e32 v63, v61
	s_xor_b64 exec, exec, s[20:21]
	s_cbranch_execz .LBB68_210
; %bb.209:                              ;   in Loop: Header=BB68_2 Depth=1
	ds_read_u8 v63, v64 offset:1
	s_waitcnt lgkmcnt(1)
	v_mov_b32_e32 v62, v60
.LBB68_210:                             ;   in Loop: Header=BB68_2 Depth=1
	s_or_b64 exec, exec, s[20:21]
	v_add_u32_e32 v67, 1, v65
	v_add_u32_e32 v66, 1, v64
	v_cndmask_b32_e64 v67, v67, v65, s[18:19]
	v_cndmask_b32_e64 v66, v64, v66, s[18:19]
	v_cmp_ge_i32_e64 s[22:23], v67, v48
	s_waitcnt lgkmcnt(0)
	v_cmp_lt_i16_sdwa s[24:25], sext(v63), sext(v62) src0_sel:BYTE_0 src1_sel:BYTE_0
	v_cmp_lt_i32_e64 s[20:21], v66, v49
	s_or_b64 s[22:23], s[22:23], s[24:25]
	s_and_b64 s[20:21], s[20:21], s[22:23]
	s_xor_b64 s[22:23], s[20:21], -1
                                        ; implicit-def: $vgpr64
	s_and_saveexec_b64 s[24:25], s[22:23]
	s_xor_b64 s[22:23], exec, s[24:25]
	s_cbranch_execz .LBB68_212
; %bb.211:                              ;   in Loop: Header=BB68_2 Depth=1
	ds_read_u8 v64, v67 offset:1
.LBB68_212:                             ;   in Loop: Header=BB68_2 Depth=1
	s_or_saveexec_b64 s[22:23], s[22:23]
	v_mov_b32_e32 v65, v63
	s_xor_b64 exec, exec, s[22:23]
	s_cbranch_execz .LBB68_214
; %bb.213:                              ;   in Loop: Header=BB68_2 Depth=1
	ds_read_u8 v65, v66 offset:1
	s_waitcnt lgkmcnt(1)
	v_mov_b32_e32 v64, v62
.LBB68_214:                             ;   in Loop: Header=BB68_2 Depth=1
	s_or_b64 exec, exec, s[22:23]
	v_add_u32_e32 v69, 1, v67
	v_add_u32_e32 v68, 1, v66
	v_cndmask_b32_e64 v69, v69, v67, s[20:21]
	v_cndmask_b32_e64 v68, v66, v68, s[20:21]
	v_cmp_ge_i32_e64 s[24:25], v69, v48
	s_waitcnt lgkmcnt(0)
	v_cmp_lt_i16_sdwa s[26:27], sext(v65), sext(v64) src0_sel:BYTE_0 src1_sel:BYTE_0
	v_cmp_lt_i32_e64 s[22:23], v68, v49
	s_or_b64 s[24:25], s[24:25], s[26:27]
	s_and_b64 s[22:23], s[22:23], s[24:25]
	s_xor_b64 s[24:25], s[22:23], -1
                                        ; implicit-def: $vgpr66
	s_and_saveexec_b64 s[26:27], s[24:25]
	s_xor_b64 s[24:25], exec, s[26:27]
	s_cbranch_execz .LBB68_216
; %bb.215:                              ;   in Loop: Header=BB68_2 Depth=1
	ds_read_u8 v66, v69 offset:1
.LBB68_216:                             ;   in Loop: Header=BB68_2 Depth=1
	s_or_saveexec_b64 s[24:25], s[24:25]
	v_mov_b32_e32 v67, v65
	s_xor_b64 exec, exec, s[24:25]
	s_cbranch_execz .LBB68_218
; %bb.217:                              ;   in Loop: Header=BB68_2 Depth=1
	ds_read_u8 v67, v68 offset:1
	s_waitcnt lgkmcnt(1)
	v_mov_b32_e32 v66, v64
.LBB68_218:                             ;   in Loop: Header=BB68_2 Depth=1
	s_or_b64 exec, exec, s[24:25]
	v_add_u32_e32 v71, 1, v69
	v_add_u32_e32 v70, 1, v68
	v_cndmask_b32_e64 v72, v71, v69, s[22:23]
	v_cndmask_b32_e64 v70, v68, v70, s[22:23]
	v_cmp_ge_i32_e64 s[26:27], v72, v48
	s_waitcnt lgkmcnt(0)
	v_cmp_lt_i16_sdwa s[28:29], sext(v67), sext(v66) src0_sel:BYTE_0 src1_sel:BYTE_0
	v_cmp_lt_i32_e64 s[24:25], v70, v49
	s_or_b64 s[26:27], s[26:27], s[28:29]
	s_and_b64 s[24:25], s[24:25], s[26:27]
	s_xor_b64 s[26:27], s[24:25], -1
                                        ; implicit-def: $vgpr68
	s_and_saveexec_b64 s[28:29], s[26:27]
	s_xor_b64 s[26:27], exec, s[28:29]
	s_cbranch_execz .LBB68_220
; %bb.219:                              ;   in Loop: Header=BB68_2 Depth=1
	ds_read_u8 v68, v72 offset:1
.LBB68_220:                             ;   in Loop: Header=BB68_2 Depth=1
	s_or_saveexec_b64 s[26:27], s[26:27]
	v_mov_b32_e32 v69, v67
	s_xor_b64 exec, exec, s[26:27]
	s_cbranch_execz .LBB68_222
; %bb.221:                              ;   in Loop: Header=BB68_2 Depth=1
	ds_read_u8 v69, v70 offset:1
	s_waitcnt lgkmcnt(1)
	v_mov_b32_e32 v68, v66
.LBB68_222:                             ;   in Loop: Header=BB68_2 Depth=1
	s_or_b64 exec, exec, s[26:27]
	v_add_u32_e32 v73, 1, v72
	v_add_u32_e32 v71, 1, v70
	v_cndmask_b32_e64 v72, v73, v72, s[24:25]
	v_cndmask_b32_e64 v71, v70, v71, s[24:25]
	v_cmp_ge_i32_e64 s[28:29], v72, v48
	s_waitcnt lgkmcnt(0)
	v_cmp_lt_i16_sdwa s[44:45], sext(v69), sext(v68) src0_sel:BYTE_0 src1_sel:BYTE_0
	v_cmp_lt_i32_e64 s[26:27], v71, v49
	s_or_b64 s[28:29], s[28:29], s[44:45]
	s_and_b64 s[26:27], s[26:27], s[28:29]
	s_xor_b64 s[28:29], s[26:27], -1
                                        ; implicit-def: $vgpr70
	s_and_saveexec_b64 s[44:45], s[28:29]
	s_xor_b64 s[28:29], exec, s[44:45]
	s_cbranch_execz .LBB68_224
; %bb.223:                              ;   in Loop: Header=BB68_2 Depth=1
	ds_read_u8 v70, v72 offset:1
.LBB68_224:                             ;   in Loop: Header=BB68_2 Depth=1
	s_or_saveexec_b64 s[28:29], s[28:29]
	v_mov_b32_e32 v73, v69
	s_xor_b64 exec, exec, s[28:29]
	s_cbranch_execz .LBB68_226
; %bb.225:                              ;   in Loop: Header=BB68_2 Depth=1
	ds_read_u8 v73, v71 offset:1
	s_waitcnt lgkmcnt(1)
	v_mov_b32_e32 v70, v68
.LBB68_226:                             ;   in Loop: Header=BB68_2 Depth=1
	s_or_b64 exec, exec, s[28:29]
	v_cndmask_b32_e64 v68, v68, v69, s[26:27]
	v_add_u32_e32 v69, 1, v71
	v_add_u32_e32 v74, 1, v72
	v_cndmask_b32_e64 v69, v71, v69, s[26:27]
	v_cndmask_b32_e64 v71, v74, v72, s[26:27]
	;; [unrolled: 1-line block ×4, first 2 shown]
	v_cmp_ge_i32_e64 s[16:17], v71, v48
	s_waitcnt lgkmcnt(0)
	v_cmp_lt_i16_sdwa s[18:19], sext(v73), sext(v70) src0_sel:BYTE_0 src1_sel:BYTE_0
	v_cndmask_b32_e64 v62, v62, v63, s[20:21]
	v_cndmask_b32_e64 v56, v56, v57, s[14:15]
	v_cmp_lt_i32_e64 s[14:15], v69, v49
	s_or_b64 s[16:17], s[16:17], s[18:19]
	v_lshlrev_b16_e32 v58, 8, v58
	s_and_b64 s[14:15], s[14:15], s[16:17]
	v_or_b32_sdwa v56, v56, v58 dst_sel:DWORD dst_unused:UNUSED_PAD src0_sel:BYTE_0 src1_sel:DWORD
	v_lshlrev_b16_e32 v58, 8, v62
	v_cndmask_b32_e64 v66, v66, v67, s[24:25]
	v_cndmask_b32_e64 v57, v70, v73, s[14:15]
	v_or_b32_sdwa v58, v60, v58 dst_sel:WORD_1 dst_unused:UNUSED_PAD src0_sel:BYTE_0 src1_sel:DWORD
	v_cndmask_b32_e64 v64, v64, v65, s[22:23]
	v_or_b32_sdwa v56, v56, v58 dst_sel:DWORD dst_unused:UNUSED_PAD src0_sel:WORD_0 src1_sel:DWORD
	v_lshlrev_b16_e32 v58, 8, v66
	v_lshlrev_b16_e32 v57, 8, v57
	v_or_b32_sdwa v58, v64, v58 dst_sel:DWORD dst_unused:UNUSED_PAD src0_sel:BYTE_0 src1_sel:DWORD
	v_or_b32_sdwa v57, v68, v57 dst_sel:WORD_1 dst_unused:UNUSED_PAD src0_sel:BYTE_0 src1_sel:DWORD
	v_mov_b32_e32 v60, v53
	v_or_b32_sdwa v57, v58, v57 dst_sel:DWORD dst_unused:UNUSED_PAD src0_sel:WORD_0 src1_sel:DWORD
	s_barrier
	ds_write_b64 v2, v[56:57]
	s_waitcnt lgkmcnt(0)
	s_barrier
	s_and_saveexec_b64 s[16:17], s[12:13]
	s_cbranch_execz .LBB68_230
; %bb.227:                              ;   in Loop: Header=BB68_2 Depth=1
	s_mov_b64 s[18:19], 0
	v_mov_b32_e32 v60, v53
	v_mov_b32_e32 v56, v54
.LBB68_228:                             ;   Parent Loop BB68_2 Depth=1
                                        ; =>  This Inner Loop Header: Depth=2
	v_sub_u32_e32 v57, v56, v60
	v_lshrrev_b32_e32 v58, 31, v57
	v_add_u32_e32 v57, v57, v58
	v_ashrrev_i32_e32 v57, 1, v57
	v_add_u32_e32 v57, v57, v60
	v_not_b32_e32 v58, v57
	v_add3_u32 v58, v2, v58, v45
	ds_read_i8 v59, v57
	ds_read_i8 v58, v58
	v_add_u32_e32 v61, 1, v57
	s_waitcnt lgkmcnt(0)
	v_cmp_lt_i16_e64 s[14:15], v58, v59
	s_nop 1
	v_cndmask_b32_e64 v56, v56, v57, s[14:15]
	v_cndmask_b32_e64 v60, v61, v60, s[14:15]
	v_cmp_ge_i32_e64 s[14:15], v60, v56
	s_or_b64 s[18:19], s[14:15], s[18:19]
	s_andn2_b64 exec, exec, s[18:19]
	s_cbranch_execnz .LBB68_228
; %bb.229:                              ;   in Loop: Header=BB68_2 Depth=1
	s_or_b64 exec, exec, s[18:19]
.LBB68_230:                             ;   in Loop: Header=BB68_2 Depth=1
	s_or_b64 exec, exec, s[16:17]
	v_sub_u32_e32 v61, v55, v60
	ds_read_u8 v56, v60
	ds_read_u8 v57, v61
	v_cmp_le_i32_e64 s[16:17], v45, v60
	v_cmp_gt_i32_e64 s[14:15], s43, v61
                                        ; implicit-def: $vgpr58
	s_waitcnt lgkmcnt(1)
	v_bfe_i32 v56, v56, 0, 8
	s_waitcnt lgkmcnt(0)
	v_bfe_i32 v57, v57, 0, 8
	v_cmp_lt_i16_e64 s[18:19], v57, v56
	s_or_b64 s[16:17], s[16:17], s[18:19]
	s_and_b64 s[14:15], s[14:15], s[16:17]
	s_xor_b64 s[16:17], s[14:15], -1
	s_and_saveexec_b64 s[18:19], s[16:17]
	s_xor_b64 s[16:17], exec, s[18:19]
	s_cbranch_execz .LBB68_232
; %bb.231:                              ;   in Loop: Header=BB68_2 Depth=1
	ds_read_u8 v58, v60 offset:1
.LBB68_232:                             ;   in Loop: Header=BB68_2 Depth=1
	s_or_saveexec_b64 s[16:17], s[16:17]
	v_mov_b32_e32 v59, v57
	s_xor_b64 exec, exec, s[16:17]
	s_cbranch_execz .LBB68_234
; %bb.233:                              ;   in Loop: Header=BB68_2 Depth=1
	ds_read_u8 v59, v61 offset:1
	s_waitcnt lgkmcnt(1)
	v_mov_b32_e32 v58, v56
.LBB68_234:                             ;   in Loop: Header=BB68_2 Depth=1
	s_or_b64 exec, exec, s[16:17]
	v_add_u32_e32 v63, 1, v60
	v_add_u32_e32 v62, 1, v61
	v_cndmask_b32_e64 v63, v63, v60, s[14:15]
	v_cndmask_b32_e64 v62, v61, v62, s[14:15]
	v_cmp_ge_i32_e64 s[18:19], v63, v45
	s_waitcnt lgkmcnt(0)
	v_cmp_lt_i16_sdwa s[20:21], sext(v59), sext(v58) src0_sel:BYTE_0 src1_sel:BYTE_0
	v_cmp_gt_i32_e64 s[16:17], s43, v62
	s_or_b64 s[18:19], s[18:19], s[20:21]
	s_and_b64 s[16:17], s[16:17], s[18:19]
	s_xor_b64 s[18:19], s[16:17], -1
                                        ; implicit-def: $vgpr60
	s_and_saveexec_b64 s[20:21], s[18:19]
	s_xor_b64 s[18:19], exec, s[20:21]
	s_cbranch_execz .LBB68_236
; %bb.235:                              ;   in Loop: Header=BB68_2 Depth=1
	ds_read_u8 v60, v63 offset:1
.LBB68_236:                             ;   in Loop: Header=BB68_2 Depth=1
	s_or_saveexec_b64 s[18:19], s[18:19]
	v_mov_b32_e32 v61, v59
	s_xor_b64 exec, exec, s[18:19]
	s_cbranch_execz .LBB68_238
; %bb.237:                              ;   in Loop: Header=BB68_2 Depth=1
	ds_read_u8 v61, v62 offset:1
	s_waitcnt lgkmcnt(1)
	v_mov_b32_e32 v60, v58
.LBB68_238:                             ;   in Loop: Header=BB68_2 Depth=1
	s_or_b64 exec, exec, s[18:19]
	v_add_u32_e32 v65, 1, v63
	v_add_u32_e32 v64, 1, v62
	v_cndmask_b32_e64 v65, v65, v63, s[16:17]
	v_cndmask_b32_e64 v64, v62, v64, s[16:17]
	v_cmp_ge_i32_e64 s[20:21], v65, v45
	s_waitcnt lgkmcnt(0)
	v_cmp_lt_i16_sdwa s[22:23], sext(v61), sext(v60) src0_sel:BYTE_0 src1_sel:BYTE_0
	v_cmp_gt_i32_e64 s[18:19], s43, v64
	s_or_b64 s[20:21], s[20:21], s[22:23]
	s_and_b64 s[18:19], s[18:19], s[20:21]
	s_xor_b64 s[20:21], s[18:19], -1
                                        ; implicit-def: $vgpr62
	s_and_saveexec_b64 s[22:23], s[20:21]
	s_xor_b64 s[20:21], exec, s[22:23]
	s_cbranch_execz .LBB68_240
; %bb.239:                              ;   in Loop: Header=BB68_2 Depth=1
	ds_read_u8 v62, v65 offset:1
.LBB68_240:                             ;   in Loop: Header=BB68_2 Depth=1
	s_or_saveexec_b64 s[20:21], s[20:21]
	v_mov_b32_e32 v63, v61
	s_xor_b64 exec, exec, s[20:21]
	s_cbranch_execz .LBB68_242
; %bb.241:                              ;   in Loop: Header=BB68_2 Depth=1
	ds_read_u8 v63, v64 offset:1
	s_waitcnt lgkmcnt(1)
	v_mov_b32_e32 v62, v60
.LBB68_242:                             ;   in Loop: Header=BB68_2 Depth=1
	s_or_b64 exec, exec, s[20:21]
	v_add_u32_e32 v67, 1, v65
	v_add_u32_e32 v66, 1, v64
	v_cndmask_b32_e64 v67, v67, v65, s[18:19]
	v_cndmask_b32_e64 v66, v64, v66, s[18:19]
	v_cmp_ge_i32_e64 s[22:23], v67, v45
	s_waitcnt lgkmcnt(0)
	v_cmp_lt_i16_sdwa s[24:25], sext(v63), sext(v62) src0_sel:BYTE_0 src1_sel:BYTE_0
	v_cmp_gt_i32_e64 s[20:21], s43, v66
	s_or_b64 s[22:23], s[22:23], s[24:25]
	s_and_b64 s[20:21], s[20:21], s[22:23]
	s_xor_b64 s[22:23], s[20:21], -1
                                        ; implicit-def: $vgpr64
	s_and_saveexec_b64 s[24:25], s[22:23]
	s_xor_b64 s[22:23], exec, s[24:25]
	s_cbranch_execz .LBB68_244
; %bb.243:                              ;   in Loop: Header=BB68_2 Depth=1
	ds_read_u8 v64, v67 offset:1
.LBB68_244:                             ;   in Loop: Header=BB68_2 Depth=1
	s_or_saveexec_b64 s[22:23], s[22:23]
	v_mov_b32_e32 v65, v63
	s_xor_b64 exec, exec, s[22:23]
	s_cbranch_execz .LBB68_246
; %bb.245:                              ;   in Loop: Header=BB68_2 Depth=1
	ds_read_u8 v65, v66 offset:1
	s_waitcnt lgkmcnt(1)
	v_mov_b32_e32 v64, v62
.LBB68_246:                             ;   in Loop: Header=BB68_2 Depth=1
	s_or_b64 exec, exec, s[22:23]
	v_add_u32_e32 v69, 1, v67
	v_add_u32_e32 v68, 1, v66
	v_cndmask_b32_e64 v69, v69, v67, s[20:21]
	v_cndmask_b32_e64 v68, v66, v68, s[20:21]
	v_cmp_ge_i32_e64 s[24:25], v69, v45
	s_waitcnt lgkmcnt(0)
	v_cmp_lt_i16_sdwa s[26:27], sext(v65), sext(v64) src0_sel:BYTE_0 src1_sel:BYTE_0
	v_cmp_gt_i32_e64 s[22:23], s43, v68
	s_or_b64 s[24:25], s[24:25], s[26:27]
	s_and_b64 s[22:23], s[22:23], s[24:25]
	s_xor_b64 s[24:25], s[22:23], -1
                                        ; implicit-def: $vgpr66
	s_and_saveexec_b64 s[26:27], s[24:25]
	s_xor_b64 s[24:25], exec, s[26:27]
	s_cbranch_execz .LBB68_248
; %bb.247:                              ;   in Loop: Header=BB68_2 Depth=1
	ds_read_u8 v66, v69 offset:1
.LBB68_248:                             ;   in Loop: Header=BB68_2 Depth=1
	s_or_saveexec_b64 s[24:25], s[24:25]
	v_mov_b32_e32 v67, v65
	s_xor_b64 exec, exec, s[24:25]
	s_cbranch_execz .LBB68_250
; %bb.249:                              ;   in Loop: Header=BB68_2 Depth=1
	ds_read_u8 v67, v68 offset:1
	s_waitcnt lgkmcnt(1)
	v_mov_b32_e32 v66, v64
.LBB68_250:                             ;   in Loop: Header=BB68_2 Depth=1
	s_or_b64 exec, exec, s[24:25]
	v_add_u32_e32 v71, 1, v69
	v_add_u32_e32 v70, 1, v68
	v_cndmask_b32_e64 v71, v71, v69, s[22:23]
	v_cndmask_b32_e64 v70, v68, v70, s[22:23]
	v_cmp_ge_i32_e64 s[26:27], v71, v45
	s_waitcnt lgkmcnt(0)
	v_cmp_lt_i16_sdwa s[28:29], sext(v67), sext(v66) src0_sel:BYTE_0 src1_sel:BYTE_0
	v_cmp_gt_i32_e64 s[24:25], s43, v70
	s_or_b64 s[26:27], s[26:27], s[28:29]
	s_and_b64 s[24:25], s[24:25], s[26:27]
	s_xor_b64 s[26:27], s[24:25], -1
                                        ; implicit-def: $vgpr68
	s_and_saveexec_b64 s[28:29], s[26:27]
	s_xor_b64 s[26:27], exec, s[28:29]
	s_cbranch_execz .LBB68_252
; %bb.251:                              ;   in Loop: Header=BB68_2 Depth=1
	ds_read_u8 v68, v71 offset:1
.LBB68_252:                             ;   in Loop: Header=BB68_2 Depth=1
	s_or_saveexec_b64 s[26:27], s[26:27]
	v_mov_b32_e32 v69, v67
	s_xor_b64 exec, exec, s[26:27]
	s_cbranch_execz .LBB68_254
; %bb.253:                              ;   in Loop: Header=BB68_2 Depth=1
	ds_read_u8 v69, v70 offset:1
	s_waitcnt lgkmcnt(1)
	v_mov_b32_e32 v68, v66
.LBB68_254:                             ;   in Loop: Header=BB68_2 Depth=1
	s_or_b64 exec, exec, s[26:27]
	v_add_u32_e32 v73, 1, v71
	v_add_u32_e32 v72, 1, v70
	v_cndmask_b32_e64 v73, v73, v71, s[24:25]
	v_cndmask_b32_e64 v70, v70, v72, s[24:25]
	v_cmp_ge_i32_e64 s[28:29], v73, v45
	s_waitcnt lgkmcnt(0)
	v_cmp_lt_i16_sdwa s[44:45], sext(v69), sext(v68) src0_sel:BYTE_0 src1_sel:BYTE_0
	v_cmp_gt_i32_e64 s[26:27], s43, v70
	s_or_b64 s[28:29], s[28:29], s[44:45]
	s_and_b64 s[26:27], s[26:27], s[28:29]
	s_xor_b64 s[28:29], s[26:27], -1
                                        ; implicit-def: $vgpr71
                                        ; implicit-def: $vgpr72
	s_and_saveexec_b64 s[44:45], s[28:29]
	s_xor_b64 s[28:29], exec, s[44:45]
	s_cbranch_execz .LBB68_256
; %bb.255:                              ;   in Loop: Header=BB68_2 Depth=1
	ds_read_u8 v71, v73 offset:1
	v_add_u32_e32 v72, 1, v73
                                        ; implicit-def: $vgpr73
.LBB68_256:                             ;   in Loop: Header=BB68_2 Depth=1
	s_or_saveexec_b64 s[28:29], s[28:29]
	v_mov_b32_e32 v74, v69
	s_xor_b64 exec, exec, s[28:29]
	s_cbranch_execz .LBB68_1
; %bb.257:                              ;   in Loop: Header=BB68_2 Depth=1
	ds_read_u8 v74, v70 offset:1
	v_add_u32_e32 v70, 1, v70
	v_mov_b32_e32 v72, v73
	s_waitcnt lgkmcnt(1)
	v_mov_b32_e32 v71, v68
	s_branch .LBB68_1
.LBB68_258:
	s_add_u32 s0, s30, s33
	s_addc_u32 s1, s31, 0
	v_lshl_add_u64 v[0:1], s[0:1], 0, v[0:1]
	global_store_byte v[0:1], v73, off
	global_store_byte v[0:1], v58, off offset:256
	global_store_byte v[0:1], v59, off offset:512
	;; [unrolled: 1-line block ×7, first 2 shown]
	s_endpgm
	.section	.rodata,"a",@progbits
	.p2align	6, 0x0
	.amdhsa_kernel _Z16sort_keys_kernelIaLj256ELj8EN10test_utils4lessELj10EEvPKT_PS2_T2_
		.amdhsa_group_segment_fixed_size 2049
		.amdhsa_private_segment_fixed_size 0
		.amdhsa_kernarg_size 20
		.amdhsa_user_sgpr_count 2
		.amdhsa_user_sgpr_dispatch_ptr 0
		.amdhsa_user_sgpr_queue_ptr 0
		.amdhsa_user_sgpr_kernarg_segment_ptr 1
		.amdhsa_user_sgpr_dispatch_id 0
		.amdhsa_user_sgpr_kernarg_preload_length 0
		.amdhsa_user_sgpr_kernarg_preload_offset 0
		.amdhsa_user_sgpr_private_segment_size 0
		.amdhsa_uses_dynamic_stack 0
		.amdhsa_enable_private_segment 0
		.amdhsa_system_sgpr_workgroup_id_x 1
		.amdhsa_system_sgpr_workgroup_id_y 0
		.amdhsa_system_sgpr_workgroup_id_z 0
		.amdhsa_system_sgpr_workgroup_info 0
		.amdhsa_system_vgpr_workitem_id 0
		.amdhsa_next_free_vgpr 75
		.amdhsa_next_free_sgpr 46
		.amdhsa_accum_offset 76
		.amdhsa_reserve_vcc 1
		.amdhsa_float_round_mode_32 0
		.amdhsa_float_round_mode_16_64 0
		.amdhsa_float_denorm_mode_32 3
		.amdhsa_float_denorm_mode_16_64 3
		.amdhsa_dx10_clamp 1
		.amdhsa_ieee_mode 1
		.amdhsa_fp16_overflow 0
		.amdhsa_tg_split 0
		.amdhsa_exception_fp_ieee_invalid_op 0
		.amdhsa_exception_fp_denorm_src 0
		.amdhsa_exception_fp_ieee_div_zero 0
		.amdhsa_exception_fp_ieee_overflow 0
		.amdhsa_exception_fp_ieee_underflow 0
		.amdhsa_exception_fp_ieee_inexact 0
		.amdhsa_exception_int_div_zero 0
	.end_amdhsa_kernel
	.section	.text._Z16sort_keys_kernelIaLj256ELj8EN10test_utils4lessELj10EEvPKT_PS2_T2_,"axG",@progbits,_Z16sort_keys_kernelIaLj256ELj8EN10test_utils4lessELj10EEvPKT_PS2_T2_,comdat
.Lfunc_end68:
	.size	_Z16sort_keys_kernelIaLj256ELj8EN10test_utils4lessELj10EEvPKT_PS2_T2_, .Lfunc_end68-_Z16sort_keys_kernelIaLj256ELj8EN10test_utils4lessELj10EEvPKT_PS2_T2_
                                        ; -- End function
	.section	.AMDGPU.csdata,"",@progbits
; Kernel info:
; codeLenInByte = 12056
; NumSgprs: 52
; NumVgprs: 75
; NumAgprs: 0
; TotalNumVgprs: 75
; ScratchSize: 0
; MemoryBound: 0
; FloatMode: 240
; IeeeMode: 1
; LDSByteSize: 2049 bytes/workgroup (compile time only)
; SGPRBlocks: 6
; VGPRBlocks: 9
; NumSGPRsForWavesPerEU: 52
; NumVGPRsForWavesPerEU: 75
; AccumOffset: 76
; Occupancy: 6
; WaveLimiterHint : 1
; COMPUTE_PGM_RSRC2:SCRATCH_EN: 0
; COMPUTE_PGM_RSRC2:USER_SGPR: 2
; COMPUTE_PGM_RSRC2:TRAP_HANDLER: 0
; COMPUTE_PGM_RSRC2:TGID_X_EN: 1
; COMPUTE_PGM_RSRC2:TGID_Y_EN: 0
; COMPUTE_PGM_RSRC2:TGID_Z_EN: 0
; COMPUTE_PGM_RSRC2:TIDIG_COMP_CNT: 0
; COMPUTE_PGM_RSRC3_GFX90A:ACCUM_OFFSET: 18
; COMPUTE_PGM_RSRC3_GFX90A:TG_SPLIT: 0
	.section	.text._Z17sort_pairs_kernelIaLj256ELj8EN10test_utils4lessELj10EEvPKT_PS2_T2_,"axG",@progbits,_Z17sort_pairs_kernelIaLj256ELj8EN10test_utils4lessELj10EEvPKT_PS2_T2_,comdat
	.protected	_Z17sort_pairs_kernelIaLj256ELj8EN10test_utils4lessELj10EEvPKT_PS2_T2_ ; -- Begin function _Z17sort_pairs_kernelIaLj256ELj8EN10test_utils4lessELj10EEvPKT_PS2_T2_
	.globl	_Z17sort_pairs_kernelIaLj256ELj8EN10test_utils4lessELj10EEvPKT_PS2_T2_
	.p2align	8
	.type	_Z17sort_pairs_kernelIaLj256ELj8EN10test_utils4lessELj10EEvPKT_PS2_T2_,@function
_Z17sort_pairs_kernelIaLj256ELj8EN10test_utils4lessELj10EEvPKT_PS2_T2_: ; @_Z17sort_pairs_kernelIaLj256ELj8EN10test_utils4lessELj10EEvPKT_PS2_T2_
; %bb.0:
	s_load_dwordx4 s[4:7], s[0:1], 0x0
	s_lshl_b32 s33, s2, 11
                                        ; implicit-def: $vgpr96 : SGPR spill to VGPR lane
	v_lshlrev_b32_e32 v2, 3, v0
	v_and_b32_e32 v3, 0x7f0, v2
	v_and_b32_e32 v5, 0x7e0, v2
	s_waitcnt lgkmcnt(0)
	s_add_u32 s0, s4, s33
	s_mov_b64 s[2:3], s[6:7]
	v_writelane_b32 v96, s0, 0
	v_or_b32_e32 v15, 8, v3
	v_add_u32_e32 v16, 16, v3
	v_writelane_b32 v96, s1, 1
	v_writelane_b32 v96, s2, 2
	;; [unrolled: 1-line block ×3, first 2 shown]
	s_addc_u32 s1, s5, 0
	global_load_ubyte v48, v0, s[0:1]
	global_load_ubyte v49, v0, s[0:1] offset:512
	global_load_ubyte v50, v0, s[0:1] offset:1024
	;; [unrolled: 1-line block ×7, first 2 shown]
	v_and_b32_e32 v4, 8, v2
	v_and_b32_e32 v7, 0x7c0, v2
	v_or_b32_e32 v17, 16, v5
	v_add_u32_e32 v18, 32, v5
	v_sub_u32_e32 v37, v16, v15
	v_and_b32_e32 v6, 24, v2
	v_and_b32_e32 v9, 0x780, v2
	v_or_b32_e32 v19, 32, v7
	v_add_u32_e32 v20, 64, v7
	v_sub_u32_e32 v38, v18, v17
	v_sub_u32_e32 v44, v4, v37
	v_cmp_ge_i32_e32 vcc, v4, v37
	v_and_b32_e32 v8, 56, v2
	v_and_b32_e32 v11, 0x700, v2
	v_or_b32_e32 v21, 64, v9
	v_add_u32_e32 v22, 0x80, v9
	v_sub_u32_e32 v39, v20, v19
	v_sub_u32_e32 v45, v6, v38
	v_cndmask_b32_e32 v37, 0, v44, vcc
	v_cmp_ge_i32_e32 vcc, v6, v38
	v_and_b32_e32 v10, 0x78, v2
	v_or_b32_e32 v23, 0x80, v11
	v_add_u32_e32 v24, 0x100, v11
	v_sub_u32_e32 v40, v22, v21
	v_sub_u32_e32 v46, v8, v39
	v_cndmask_b32_e32 v38, 0, v45, vcc
	v_cmp_ge_i32_e32 vcc, v8, v39
	v_and_b32_e32 v12, 0xf8, v2
	v_sub_u32_e32 v41, v24, v23
	v_sub_u32_e32 v47, v10, v40
	v_cndmask_b32_e32 v39, 0, v46, vcc
	v_cmp_ge_i32_e32 vcc, v10, v40
	v_sub_u32_e32 v56, v12, v41
	v_and_b32_e32 v46, 0x400, v2
	v_cndmask_b32_e32 v40, 0, v47, vcc
	v_cmp_ge_i32_e32 vcc, v12, v41
	v_and_b32_e32 v13, 0x600, v2
	v_or_b32_e32 v25, 0x100, v13
	v_cndmask_b32_e32 v41, 0, v56, vcc
	v_add_u32_e32 v26, 0x200, v13
	v_and_b32_e32 v47, 0x3f8, v2
	s_movk_i32 s14, 0x100
	v_and_b32_e32 v14, 0x1f8, v2
	v_sub_u32_e32 v32, v15, v3
	v_sub_u32_e32 v42, v26, v25
	;; [unrolled: 1-line block ×7, first 2 shown]
	v_min_i32_e32 v32, v4, v32
	v_sub_u32_e32 v44, v14, v42
	v_cmp_ge_i32_e64 s[8:9], v14, v42
	v_mov_b32_e32 v45, 0x400
	v_min_i32_e32 v33, v6, v33
	v_min_i32_e32 v34, v8, v34
	;; [unrolled: 1-line block ×4, first 2 shown]
	v_cmp_lt_i32_e64 s[0:1], v37, v32
	v_cndmask_b32_e64 v42, 0, v44, s[8:9]
	v_min_i32_e32 v43, v14, v43
	s_mov_b32 s88, 0
	v_mov_b32_e32 v1, 0
	v_add_u32_e32 v27, v15, v4
	v_add_u32_e32 v28, v17, v6
	v_add_u32_e32 v29, v19, v8
	v_add_u32_e32 v30, v21, v10
	v_add_u32_e32 v31, v23, v12
	v_writelane_b32 v96, s0, 4
	v_cmp_lt_i32_e32 vcc, v38, v33
	v_cmp_lt_i32_e64 s[2:3], v39, v34
	v_cmp_lt_i32_e64 s[4:5], v40, v35
	;; [unrolled: 1-line block ×4, first 2 shown]
	v_add_u32_e32 v44, v25, v14
	s_waitcnt vmcnt(7)
	v_add_u16_e32 v56, 1, v48
	s_waitcnt vmcnt(6)
	v_add_u16_e32 v57, 1, v49
	s_waitcnt vmcnt(2)
	v_lshlrev_b16_e32 v53, 8, v53
	s_waitcnt vmcnt(1)
	v_lshlrev_b16_e32 v54, 8, v54
	;; [unrolled: 2-line block ×3, first 2 shown]
	v_or_b32_e32 v48, v48, v55
	v_or_b32_sdwa v49, v49, v54 dst_sel:WORD_1 dst_unused:UNUSED_PAD src0_sel:DWORD src1_sel:DWORD
	v_lshlrev_b16_e32 v62, 8, v52
	v_add_u16_e32 v60, 1, v50
	v_or_b32_sdwa v59, v48, v49 dst_sel:DWORD dst_unused:UNUSED_PAD src0_sel:WORD_0 src1_sel:DWORD
	v_or_b32_e32 v49, v50, v53
	v_or_b32_sdwa v50, v51, v62 dst_sel:WORD_1 dst_unused:UNUSED_PAD src0_sel:DWORD src1_sel:DWORD
	v_or_b32_e32 v48, 0x200, v46
	v_or_b32_sdwa v58, v49, v50 dst_sel:DWORD dst_unused:UNUSED_PAD src0_sel:WORD_0 src1_sel:DWORD
	v_add_u32_e32 v49, 0x400, v46
	v_sub_u32_e32 v50, v49, v48
	v_add_u16_e32 v61, 1, v51
	v_or_b32_sdwa v52, v55, v56 dst_sel:DWORD dst_unused:UNUSED_PAD src0_sel:DWORD src1_sel:BYTE_0
	v_or_b32_sdwa v54, v54, v57 dst_sel:DWORD dst_unused:UNUSED_PAD src0_sel:DWORD src1_sel:BYTE_0
	v_sub_u32_e32 v51, v47, v50
	v_sub_u32_e32 v55, v48, v46
	v_cmp_ge_i32_e64 s[10:11], v47, v50
	v_add_u16_e32 v52, 0x100, v52
	v_add_u16_sdwa v54, v54, s14 dst_sel:WORD_1 dst_unused:UNUSED_PAD src0_sel:DWORD src1_sel:DWORD
	v_cndmask_b32_e64 v50, 0, v51, s[10:11]
	v_min_i32_e32 v51, v47, v55
	v_or_b32_sdwa v55, v53, v60 dst_sel:DWORD dst_unused:UNUSED_PAD src0_sel:DWORD src1_sel:BYTE_0
	v_or_b32_sdwa v57, v62, v61 dst_sel:DWORD dst_unused:UNUSED_PAD src0_sel:DWORD src1_sel:BYTE_0
	v_or_b32_e32 v56, v52, v54
	v_sub_u32_e64 v53, v2, v45 clamp
	v_min_i32_e32 v54, 0x400, v2
	v_add_u16_e32 v55, 0x100, v55
	v_add_u16_sdwa v57, v57, s14 dst_sel:WORD_1 dst_unused:UNUSED_PAD src0_sel:DWORD src1_sel:DWORD
	v_cmp_lt_i32_e64 s[10:11], v50, v51
	v_add_u32_e32 v52, v48, v47
	v_cmp_lt_i32_e64 s[12:13], v53, v54
	v_or_b32_e32 v57, v55, v57
	v_add_u32_e32 v55, 0x400, v2
	s_mov_b32 s89, 0xffff
	s_movk_i32 s92, 0xff
	s_mov_b32 s93, 0x7060405
	s_mov_b32 s94, 0xc0c0001
	;; [unrolled: 1-line block ×6, first 2 shown]
	s_movk_i32 s99, 0x800
	v_writelane_b32 v96, s1, 5
	s_branch .LBB69_2
.LBB69_1:                               ;   in Loop: Header=BB69_2 Depth=1
	s_or_b64 exec, exec, s[28:29]
	v_cndmask_b32_e64 v66, v66, v67, s[14:15]
	v_cndmask_b32_e64 v67, v68, v69, s[16:17]
	;; [unrolled: 1-line block ×3, first 2 shown]
	v_cmp_ge_i32_e64 s[16:17], v92, v45
	s_waitcnt lgkmcnt(0)
	v_cmp_lt_i16_sdwa s[0:1], sext(v95), sext(v93) src0_sel:BYTE_0 src1_sel:BYTE_0
	v_lshlrev_b16_e32 v58, 8, v58
	v_cndmask_b32_e64 v65, v64, v65, s[14:15]
	v_cmp_gt_i32_e64 s[14:15], s99, v90
	s_or_b64 s[0:1], s[16:17], s[0:1]
	v_lshlrev_b16_e32 v63, 8, v63
	v_lshlrev_b16_e32 v60, 8, v60
	v_or_b32_sdwa v56, v56, v58 dst_sel:DWORD dst_unused:UNUSED_PAD src0_sel:BYTE_0 src1_sel:DWORD
	v_lshlrev_b16_e32 v58, 8, v59
	v_cndmask_b32_e64 v69, v76, v77, s[20:21]
	s_and_b64 s[14:15], s[14:15], s[0:1]
	v_or_b32_sdwa v61, v61, v63 dst_sel:DWORD dst_unused:UNUSED_PAD src0_sel:BYTE_0 src1_sel:DWORD
	v_or_b32_sdwa v60, v62, v60 dst_sel:WORD_1 dst_unused:UNUSED_PAD src0_sel:BYTE_0 src1_sel:DWORD
	v_or_b32_sdwa v57, v57, v58 dst_sel:WORD_1 dst_unused:UNUSED_PAD src0_sel:BYTE_0 src1_sel:DWORD
	v_cndmask_b32_e64 v68, v72, v73, s[18:19]
	v_cndmask_b32_e64 v74, v75, v74, s[18:19]
	;; [unrolled: 1-line block ×3, first 2 shown]
	v_or_b32_sdwa v61, v61, v60 dst_sel:DWORD dst_unused:UNUSED_PAD src0_sel:WORD_0 src1_sel:DWORD
	v_or_b32_sdwa v60, v56, v57 dst_sel:DWORD dst_unused:UNUSED_PAD src0_sel:WORD_0 src1_sel:DWORD
	v_lshlrev_b16_e32 v56, 8, v67
	v_lshlrev_b16_e32 v57, 8, v69
	v_cndmask_b32_e64 v72, v80, v81, s[22:23]
	v_cndmask_b32_e64 v73, v84, v85, s[24:25]
	;; [unrolled: 1-line block ×6, first 2 shown]
	s_barrier
	ds_write_b64 v2, v[60:61]
	s_waitcnt lgkmcnt(0)
	s_barrier
	ds_read_u8 v60, v91
	ds_read_u8 v61, v71
	;; [unrolled: 1-line block ×8, first 2 shown]
	v_or_b32_sdwa v56, v66, v56 dst_sel:DWORD dst_unused:UNUSED_PAD src0_sel:BYTE_0 src1_sel:DWORD
	v_or_b32_sdwa v57, v68, v57 dst_sel:WORD_1 dst_unused:UNUSED_PAD src0_sel:BYTE_0 src1_sel:DWORD
	v_cndmask_b32_e64 v76, v88, v89, s[26:27]
	v_or_b32_sdwa v59, v56, v57 dst_sel:DWORD dst_unused:UNUSED_PAD src0_sel:WORD_0 src1_sel:DWORD
	v_lshlrev_b16_e32 v56, 8, v73
	v_lshlrev_b16_e32 v57, 8, v64
	v_or_b32_sdwa v56, v72, v56 dst_sel:DWORD dst_unused:UNUSED_PAD src0_sel:BYTE_0 src1_sel:DWORD
	v_or_b32_sdwa v57, v76, v57 dst_sel:WORD_1 dst_unused:UNUSED_PAD src0_sel:BYTE_0 src1_sel:DWORD
	s_waitcnt lgkmcnt(6)
	v_lshlrev_b16_e32 v75, 8, v61
	v_or_b32_sdwa v58, v56, v57 dst_sel:DWORD dst_unused:UNUSED_PAD src0_sel:WORD_0 src1_sel:DWORD
	s_waitcnt lgkmcnt(4)
	v_lshlrev_b16_e32 v56, 8, v63
	s_waitcnt lgkmcnt(2)
	v_lshlrev_b16_e32 v57, 8, v70
	v_or_b32_e32 v56, v62, v56
	v_or_b32_sdwa v57, v65, v57 dst_sel:WORD_1 dst_unused:UNUSED_PAD src0_sel:DWORD src1_sel:DWORD
	s_add_i32 s88, s88, 1
	v_or_b32_sdwa v56, v56, v57 dst_sel:DWORD dst_unused:UNUSED_PAD src0_sel:WORD_0 src1_sel:DWORD
	s_waitcnt lgkmcnt(0)
	v_lshlrev_b16_e32 v57, 8, v74
	v_or_b32_e32 v57, v71, v57
	v_or_b32_sdwa v75, v60, v75 dst_sel:WORD_1 dst_unused:UNUSED_PAD src0_sel:DWORD src1_sel:DWORD
	s_cmp_eq_u32 s88, 10
	v_or_b32_sdwa v57, v57, v75 dst_sel:DWORD dst_unused:UNUSED_PAD src0_sel:WORD_0 src1_sel:DWORD
	s_cbranch_scc1 .LBB69_258
.LBB69_2:                               ; =>This Loop Header: Depth=1
                                        ;     Child Loop BB69_4 Depth 2
                                        ;     Child Loop BB69_36 Depth 2
	;; [unrolled: 1-line block ×8, first 2 shown]
	v_lshrrev_b32_e32 v61, 8, v59
	v_perm_b32 v60, v59, v59, s93
	v_cmp_lt_i16_sdwa s[14:15], sext(v61), sext(v59) src0_sel:BYTE_0 src1_sel:BYTE_0
	v_readlane_b32 s0, v96, 4
	s_nop 0
	v_cndmask_b32_e64 v59, v59, v60, s[14:15]
	v_lshrrev_b32_e32 v60, 16, v59
	v_perm_b32 v61, 0, v60, s94
	v_lshrrev_b32_e32 v62, 24, v59
	v_lshlrev_b32_e32 v61, 16, v61
	v_and_or_b32 v61, v59, s89, v61
	v_cmp_lt_i16_sdwa s[16:17], sext(v62), sext(v60) src0_sel:BYTE_0 src1_sel:BYTE_0
	v_perm_b32 v60, v58, v58, s93
	s_barrier
	v_cndmask_b32_e64 v59, v59, v61, s[16:17]
	v_lshrrev_b32_e32 v61, 8, v58
	v_cmp_lt_i16_sdwa s[18:19], sext(v61), sext(v58) src0_sel:BYTE_0 src1_sel:BYTE_0
	v_readlane_b32 s1, v96, 5
	s_nop 0
	v_cndmask_b32_e64 v58, v58, v60, s[18:19]
	v_lshrrev_b32_e32 v60, 24, v58
	v_lshrrev_b32_e32 v61, 16, v58
	v_perm_b32 v62, v58, v58, s95
	v_cmp_lt_i16_sdwa s[20:21], sext(v60), sext(v61) src0_sel:BYTE_0 src1_sel:BYTE_0
	v_lshrrev_b32_e32 v60, 16, v59
	v_lshrrev_b32_e32 v61, 8, v59
	v_cndmask_b32_e64 v58, v58, v62, s[20:21]
	v_perm_b32 v62, v59, v59, s96
	v_cmp_lt_i16_sdwa s[22:23], sext(v60), sext(v61) src0_sel:BYTE_0 src1_sel:BYTE_0
	s_nop 1
	v_cndmask_b32_e64 v59, v59, v62, s[22:23]
	v_and_b32_sdwa v61, v59, s92 dst_sel:DWORD dst_unused:UNUSED_PAD src0_sel:WORD_1 src1_sel:DWORD
	v_lshlrev_b16_e32 v62, 8, v58
	v_or_b32_sdwa v61, v61, v62 dst_sel:WORD_1 dst_unused:UNUSED_PAD src0_sel:DWORD src1_sel:DWORD
	v_lshrrev_b32_e32 v62, 24, v59
	v_perm_b32 v60, v59, v58, s97
	v_cmp_lt_i16_sdwa s[24:25], sext(v58), sext(v62) src0_sel:BYTE_0 src1_sel:BYTE_0
	v_and_or_b32 v61, v59, s89, v61
	s_nop 0
	v_cndmask_b32_e64 v58, v58, v60, s[24:25]
	v_cndmask_b32_e64 v59, v59, v61, s[24:25]
	v_lshrrev_b32_e32 v60, 16, v58
	v_lshrrev_b32_e32 v61, 8, v58
	v_cmp_lt_i16_sdwa s[26:27], sext(v60), sext(v61) src0_sel:BYTE_0 src1_sel:BYTE_0
	v_perm_b32 v60, 0, v59, s94
	v_lshrrev_b32_e32 v61, 8, v59
	v_and_or_b32 v60, v59, s98, v60
	v_cmp_lt_i16_sdwa s[28:29], sext(v61), sext(v59) src0_sel:BYTE_0 src1_sel:BYTE_0
	v_perm_b32 v62, v58, v58, s96
	v_cndmask_b32_e64 v58, v58, v62, s[26:27]
	v_cndmask_b32_e64 v59, v59, v60, s[28:29]
	v_lshrrev_b32_e32 v60, 16, v59
	v_perm_b32 v61, 0, v60, s94
	v_lshrrev_b32_e32 v62, 24, v59
	v_lshlrev_b32_e32 v61, 16, v61
	v_and_or_b32 v61, v59, s89, v61
	v_cmp_lt_i16_sdwa s[30:31], sext(v62), sext(v60) src0_sel:BYTE_0 src1_sel:BYTE_0
	v_perm_b32 v60, v58, v58, s93
	s_nop 0
	v_cndmask_b32_e64 v59, v59, v61, s[30:31]
	v_lshrrev_b32_e32 v61, 8, v58
	v_cmp_lt_i16_sdwa s[34:35], sext(v61), sext(v58) src0_sel:BYTE_0 src1_sel:BYTE_0
	s_nop 1
	v_cndmask_b32_e64 v58, v58, v60, s[34:35]
	v_lshrrev_b32_e32 v60, 24, v58
	v_lshrrev_b32_e32 v61, 16, v58
	v_perm_b32 v62, v58, v58, s95
	v_cmp_lt_i16_sdwa s[36:37], sext(v60), sext(v61) src0_sel:BYTE_0 src1_sel:BYTE_0
	v_lshrrev_b32_e32 v60, 16, v59
	v_lshrrev_b32_e32 v61, 8, v59
	v_cndmask_b32_e64 v58, v58, v62, s[36:37]
	v_perm_b32 v62, v59, v59, s96
	v_cmp_lt_i16_sdwa s[38:39], sext(v60), sext(v61) src0_sel:BYTE_0 src1_sel:BYTE_0
	s_nop 1
	v_cndmask_b32_e64 v59, v59, v62, s[38:39]
	v_and_b32_sdwa v61, v59, s92 dst_sel:DWORD dst_unused:UNUSED_PAD src0_sel:WORD_1 src1_sel:DWORD
	v_lshlrev_b16_e32 v62, 8, v58
	v_or_b32_sdwa v61, v61, v62 dst_sel:WORD_1 dst_unused:UNUSED_PAD src0_sel:DWORD src1_sel:DWORD
	v_lshrrev_b32_e32 v62, 24, v59
	v_perm_b32 v60, v59, v58, s97
	v_cmp_lt_i16_sdwa s[40:41], sext(v58), sext(v62) src0_sel:BYTE_0 src1_sel:BYTE_0
	v_and_or_b32 v61, v59, s89, v61
	s_nop 0
	v_cndmask_b32_e64 v58, v58, v60, s[40:41]
	v_cndmask_b32_e64 v59, v59, v61, s[40:41]
	v_lshrrev_b32_e32 v60, 16, v58
	v_lshrrev_b32_e32 v61, 8, v58
	v_cmp_lt_i16_sdwa s[42:43], sext(v60), sext(v61) src0_sel:BYTE_0 src1_sel:BYTE_0
	v_perm_b32 v60, 0, v59, s94
	v_lshrrev_b32_e32 v61, 8, v59
	v_and_or_b32 v60, v59, s98, v60
	v_cmp_lt_i16_sdwa s[44:45], sext(v61), sext(v59) src0_sel:BYTE_0 src1_sel:BYTE_0
	v_perm_b32 v62, v58, v58, s96
	v_cndmask_b32_e64 v58, v58, v62, s[42:43]
	v_cndmask_b32_e64 v59, v59, v60, s[44:45]
	v_lshrrev_b32_e32 v60, 16, v59
	v_perm_b32 v61, 0, v60, s94
	v_lshrrev_b32_e32 v62, 24, v59
	v_lshlrev_b32_e32 v61, 16, v61
	v_and_or_b32 v61, v59, s89, v61
	v_cmp_lt_i16_sdwa s[46:47], sext(v62), sext(v60) src0_sel:BYTE_0 src1_sel:BYTE_0
	v_perm_b32 v60, v58, v58, s93
	s_nop 0
	v_cndmask_b32_e64 v59, v59, v61, s[46:47]
	v_lshrrev_b32_e32 v61, 8, v58
	v_cmp_lt_i16_sdwa s[48:49], sext(v61), sext(v58) src0_sel:BYTE_0 src1_sel:BYTE_0
	;; [unrolled: 44-line block ×3, first 2 shown]
	s_nop 1
	v_cndmask_b32_e64 v58, v58, v60, s[62:63]
	v_lshrrev_b32_e32 v60, 24, v58
	v_lshrrev_b32_e32 v61, 16, v58
	v_perm_b32 v62, v58, v58, s95
	v_cmp_lt_i16_sdwa s[64:65], sext(v60), sext(v61) src0_sel:BYTE_0 src1_sel:BYTE_0
	v_lshrrev_b32_e32 v61, 8, v59
	s_nop 0
	v_cndmask_b32_e64 v60, v58, v62, s[64:65]
	v_lshrrev_b32_e32 v58, 16, v59
	v_perm_b32 v62, v59, v59, s96
	v_cmp_lt_i16_sdwa s[66:67], sext(v58), sext(v61) src0_sel:BYTE_0 src1_sel:BYTE_0
	s_nop 1
	v_cndmask_b32_e64 v58, v59, v62, s[66:67]
	v_and_b32_sdwa v61, v58, s92 dst_sel:DWORD dst_unused:UNUSED_PAD src0_sel:WORD_1 src1_sel:DWORD
	v_lshlrev_b16_e32 v62, 8, v60
	v_or_b32_sdwa v61, v61, v62 dst_sel:WORD_1 dst_unused:UNUSED_PAD src0_sel:DWORD src1_sel:DWORD
	v_lshrrev_b32_e32 v62, 24, v58
	v_perm_b32 v59, v58, v60, s97
	v_cmp_lt_i16_sdwa s[68:69], sext(v60), sext(v62) src0_sel:BYTE_0 src1_sel:BYTE_0
	v_and_or_b32 v61, v58, s89, v61
	s_nop 0
	v_cndmask_b32_e64 v59, v60, v59, s[68:69]
	v_cndmask_b32_e64 v58, v58, v61, s[68:69]
	v_lshrrev_b32_e32 v60, 16, v59
	v_lshrrev_b32_e32 v61, 8, v59
	v_perm_b32 v62, v59, v59, s96
	v_cmp_lt_i16_sdwa s[70:71], sext(v60), sext(v61) src0_sel:BYTE_0 src1_sel:BYTE_0
	s_nop 1
	v_cndmask_b32_e64 v59, v59, v62, s[70:71]
	ds_write_b64 v2, v[58:59]
	v_mov_b32_e32 v59, v37
	s_waitcnt lgkmcnt(0)
	s_barrier
	s_and_saveexec_b64 s[74:75], s[0:1]
	s_cbranch_execz .LBB69_6
; %bb.3:                                ;   in Loop: Header=BB69_2 Depth=1
	s_mov_b64 s[76:77], 0
	v_mov_b32_e32 v59, v37
	v_mov_b32_e32 v58, v32
.LBB69_4:                               ;   Parent Loop BB69_2 Depth=1
                                        ; =>  This Inner Loop Header: Depth=2
	v_sub_u32_e32 v60, v58, v59
	v_lshrrev_b32_e32 v61, 31, v60
	v_add_u32_e32 v60, v60, v61
	v_ashrrev_i32_e32 v60, 1, v60
	v_add_u32_e32 v60, v60, v59
	v_not_b32_e32 v62, v60
	v_add_u32_e32 v61, v3, v60
	v_add3_u32 v62, v4, v62, v15
	ds_read_i8 v61, v61
	ds_read_i8 v62, v62
	v_add_u32_e32 v63, 1, v60
	s_waitcnt lgkmcnt(0)
	v_cmp_lt_i16_e64 s[72:73], v62, v61
	s_nop 1
	v_cndmask_b32_e64 v58, v58, v60, s[72:73]
	v_cndmask_b32_e64 v59, v63, v59, s[72:73]
	v_cmp_ge_i32_e64 s[72:73], v59, v58
	s_or_b64 s[76:77], s[72:73], s[76:77]
	s_andn2_b64 exec, exec, s[76:77]
	s_cbranch_execnz .LBB69_4
; %bb.5:                                ;   in Loop: Header=BB69_2 Depth=1
	s_or_b64 exec, exec, s[76:77]
.LBB69_6:                               ;   in Loop: Header=BB69_2 Depth=1
	s_or_b64 exec, exec, s[74:75]
	v_add_u32_e32 v58, v59, v3
	v_sub_u32_e32 v59, v27, v59
	ds_read_u8 v60, v58
	ds_read_u8 v61, v59
	v_cmp_le_i32_e64 s[74:75], v15, v58
	v_cmp_gt_i32_e64 s[72:73], v16, v59
                                        ; implicit-def: $vgpr62
	s_waitcnt lgkmcnt(1)
	v_bfe_i32 v60, v60, 0, 8
	s_waitcnt lgkmcnt(0)
	v_bfe_i32 v61, v61, 0, 8
	v_cmp_lt_i16_e64 s[76:77], v61, v60
	s_or_b64 s[74:75], s[74:75], s[76:77]
	s_and_b64 s[72:73], s[72:73], s[74:75]
	s_xor_b64 s[74:75], s[72:73], -1
	s_and_saveexec_b64 s[76:77], s[74:75]
	s_xor_b64 s[74:75], exec, s[76:77]
	s_cbranch_execz .LBB69_8
; %bb.7:                                ;   in Loop: Header=BB69_2 Depth=1
	ds_read_u8 v62, v58 offset:1
.LBB69_8:                               ;   in Loop: Header=BB69_2 Depth=1
	s_or_saveexec_b64 s[74:75], s[74:75]
	v_mov_b32_e32 v63, v61
	s_xor_b64 exec, exec, s[74:75]
	s_cbranch_execz .LBB69_10
; %bb.9:                                ;   in Loop: Header=BB69_2 Depth=1
	ds_read_u8 v63, v59 offset:1
	s_waitcnt lgkmcnt(1)
	v_mov_b32_e32 v62, v60
.LBB69_10:                              ;   in Loop: Header=BB69_2 Depth=1
	s_or_b64 exec, exec, s[74:75]
	v_add_u32_e32 v65, 1, v58
	v_add_u32_e32 v64, 1, v59
	v_cndmask_b32_e64 v65, v65, v58, s[72:73]
	v_cndmask_b32_e64 v64, v59, v64, s[72:73]
	v_cmp_ge_i32_e64 s[76:77], v65, v15
	s_waitcnt lgkmcnt(0)
	v_cmp_lt_i16_sdwa s[78:79], sext(v63), sext(v62) src0_sel:BYTE_0 src1_sel:BYTE_0
	v_cmp_lt_i32_e64 s[74:75], v64, v16
	s_or_b64 s[76:77], s[76:77], s[78:79]
	s_and_b64 s[74:75], s[74:75], s[76:77]
	s_xor_b64 s[76:77], s[74:75], -1
                                        ; implicit-def: $vgpr66
	s_and_saveexec_b64 s[78:79], s[76:77]
	s_xor_b64 s[76:77], exec, s[78:79]
	s_cbranch_execz .LBB69_12
; %bb.11:                               ;   in Loop: Header=BB69_2 Depth=1
	ds_read_u8 v66, v65 offset:1
.LBB69_12:                              ;   in Loop: Header=BB69_2 Depth=1
	s_or_saveexec_b64 s[76:77], s[76:77]
	v_mov_b32_e32 v67, v63
	s_xor_b64 exec, exec, s[76:77]
	s_cbranch_execz .LBB69_14
; %bb.13:                               ;   in Loop: Header=BB69_2 Depth=1
	ds_read_u8 v67, v64 offset:1
	s_waitcnt lgkmcnt(1)
	v_mov_b32_e32 v66, v62
.LBB69_14:                              ;   in Loop: Header=BB69_2 Depth=1
	s_or_b64 exec, exec, s[76:77]
	v_add_u32_e32 v69, 1, v65
	v_add_u32_e32 v68, 1, v64
	v_cndmask_b32_e64 v69, v69, v65, s[74:75]
	v_cndmask_b32_e64 v68, v64, v68, s[74:75]
	v_cmp_ge_i32_e64 s[78:79], v69, v15
	s_waitcnt lgkmcnt(0)
	v_cmp_lt_i16_sdwa s[80:81], sext(v67), sext(v66) src0_sel:BYTE_0 src1_sel:BYTE_0
	v_cmp_lt_i32_e64 s[76:77], v68, v16
	s_or_b64 s[78:79], s[78:79], s[80:81]
	s_and_b64 s[76:77], s[76:77], s[78:79]
	s_xor_b64 s[78:79], s[76:77], -1
                                        ; implicit-def: $vgpr70
	s_and_saveexec_b64 s[80:81], s[78:79]
	s_xor_b64 s[78:79], exec, s[80:81]
	s_cbranch_execz .LBB69_16
; %bb.15:                               ;   in Loop: Header=BB69_2 Depth=1
	ds_read_u8 v70, v69 offset:1
.LBB69_16:                              ;   in Loop: Header=BB69_2 Depth=1
	s_or_saveexec_b64 s[78:79], s[78:79]
	v_mov_b32_e32 v71, v67
	s_xor_b64 exec, exec, s[78:79]
	s_cbranch_execz .LBB69_18
; %bb.17:                               ;   in Loop: Header=BB69_2 Depth=1
	ds_read_u8 v71, v68 offset:1
	s_waitcnt lgkmcnt(1)
	v_mov_b32_e32 v70, v66
.LBB69_18:                              ;   in Loop: Header=BB69_2 Depth=1
	s_or_b64 exec, exec, s[78:79]
	v_add_u32_e32 v73, 1, v69
	v_add_u32_e32 v72, 1, v68
	v_cndmask_b32_e64 v73, v73, v69, s[76:77]
	v_cndmask_b32_e64 v72, v68, v72, s[76:77]
	v_cmp_ge_i32_e64 s[80:81], v73, v15
	s_waitcnt lgkmcnt(0)
	v_cmp_lt_i16_sdwa s[82:83], sext(v71), sext(v70) src0_sel:BYTE_0 src1_sel:BYTE_0
	v_cmp_lt_i32_e64 s[78:79], v72, v16
	s_or_b64 s[80:81], s[80:81], s[82:83]
	s_and_b64 s[78:79], s[78:79], s[80:81]
	s_xor_b64 s[80:81], s[78:79], -1
                                        ; implicit-def: $vgpr74
	s_and_saveexec_b64 s[82:83], s[80:81]
	s_xor_b64 s[80:81], exec, s[82:83]
	s_cbranch_execz .LBB69_20
; %bb.19:                               ;   in Loop: Header=BB69_2 Depth=1
	ds_read_u8 v74, v73 offset:1
.LBB69_20:                              ;   in Loop: Header=BB69_2 Depth=1
	s_or_saveexec_b64 s[80:81], s[80:81]
	v_mov_b32_e32 v75, v71
	s_xor_b64 exec, exec, s[80:81]
	s_cbranch_execz .LBB69_22
; %bb.21:                               ;   in Loop: Header=BB69_2 Depth=1
	ds_read_u8 v75, v72 offset:1
	s_waitcnt lgkmcnt(1)
	v_mov_b32_e32 v74, v70
.LBB69_22:                              ;   in Loop: Header=BB69_2 Depth=1
	s_or_b64 exec, exec, s[80:81]
	v_add_u32_e32 v78, 1, v73
	v_add_u32_e32 v76, 1, v72
	v_cndmask_b32_e64 v78, v78, v73, s[78:79]
	v_cndmask_b32_e64 v77, v72, v76, s[78:79]
	v_cmp_ge_i32_e64 s[82:83], v78, v15
	s_waitcnt lgkmcnt(0)
	v_cmp_lt_i16_sdwa s[84:85], sext(v75), sext(v74) src0_sel:BYTE_0 src1_sel:BYTE_0
	v_cmp_lt_i32_e64 s[80:81], v77, v16
	s_or_b64 s[82:83], s[82:83], s[84:85]
	s_and_b64 s[80:81], s[80:81], s[82:83]
	s_xor_b64 s[82:83], s[80:81], -1
                                        ; implicit-def: $vgpr80
	s_and_saveexec_b64 s[84:85], s[82:83]
	s_xor_b64 s[82:83], exec, s[84:85]
	s_cbranch_execz .LBB69_24
; %bb.23:                               ;   in Loop: Header=BB69_2 Depth=1
	ds_read_u8 v80, v78 offset:1
.LBB69_24:                              ;   in Loop: Header=BB69_2 Depth=1
	s_or_saveexec_b64 s[82:83], s[82:83]
	v_mov_b32_e32 v81, v75
	s_xor_b64 exec, exec, s[82:83]
	s_cbranch_execz .LBB69_26
; %bb.25:                               ;   in Loop: Header=BB69_2 Depth=1
	ds_read_u8 v81, v77 offset:1
	s_waitcnt lgkmcnt(1)
	v_mov_b32_e32 v80, v74
.LBB69_26:                              ;   in Loop: Header=BB69_2 Depth=1
	s_or_b64 exec, exec, s[82:83]
	v_add_u32_e32 v79, 1, v78
	v_add_u32_e32 v76, 1, v77
	v_cndmask_b32_e64 v83, v79, v78, s[80:81]
	v_cndmask_b32_e64 v82, v77, v76, s[80:81]
	v_cmp_ge_i32_e64 s[84:85], v83, v15
	s_waitcnt lgkmcnt(0)
	v_cmp_lt_i16_sdwa s[86:87], sext(v81), sext(v80) src0_sel:BYTE_0 src1_sel:BYTE_0
	v_cmp_lt_i32_e64 s[82:83], v82, v16
	s_or_b64 s[84:85], s[84:85], s[86:87]
	s_and_b64 s[82:83], s[82:83], s[84:85]
	s_xor_b64 s[84:85], s[82:83], -1
                                        ; implicit-def: $vgpr84
	s_and_saveexec_b64 s[86:87], s[84:85]
	s_xor_b64 s[84:85], exec, s[86:87]
	s_cbranch_execz .LBB69_28
; %bb.27:                               ;   in Loop: Header=BB69_2 Depth=1
	ds_read_u8 v84, v83 offset:1
.LBB69_28:                              ;   in Loop: Header=BB69_2 Depth=1
	s_or_saveexec_b64 s[84:85], s[84:85]
	v_mov_b32_e32 v85, v81
	s_xor_b64 exec, exec, s[84:85]
	s_cbranch_execz .LBB69_30
; %bb.29:                               ;   in Loop: Header=BB69_2 Depth=1
	ds_read_u8 v85, v82 offset:1
	s_waitcnt lgkmcnt(1)
	v_mov_b32_e32 v84, v80
.LBB69_30:                              ;   in Loop: Header=BB69_2 Depth=1
	s_or_b64 exec, exec, s[84:85]
	v_add_u32_e32 v79, 1, v83
	v_add_u32_e32 v76, 1, v82
	v_cndmask_b32_e64 v87, v79, v83, s[82:83]
	v_cndmask_b32_e64 v86, v82, v76, s[82:83]
	v_cmp_ge_i32_e64 s[86:87], v87, v15
	s_waitcnt lgkmcnt(0)
	v_cmp_lt_i16_sdwa s[90:91], sext(v85), sext(v84) src0_sel:BYTE_0 src1_sel:BYTE_0
	v_cmp_lt_i32_e64 s[84:85], v86, v16
	s_or_b64 s[86:87], s[86:87], s[90:91]
	s_and_b64 s[84:85], s[84:85], s[86:87]
	s_xor_b64 s[86:87], s[84:85], -1
                                        ; implicit-def: $vgpr76
	s_and_saveexec_b64 s[90:91], s[86:87]
	s_xor_b64 s[86:87], exec, s[90:91]
	s_cbranch_execz .LBB69_32
; %bb.31:                               ;   in Loop: Header=BB69_2 Depth=1
	ds_read_u8 v76, v87 offset:1
.LBB69_32:                              ;   in Loop: Header=BB69_2 Depth=1
	s_or_saveexec_b64 s[86:87], s[86:87]
	v_mov_b32_e32 v79, v85
	s_xor_b64 exec, exec, s[86:87]
	s_cbranch_execz .LBB69_34
; %bb.33:                               ;   in Loop: Header=BB69_2 Depth=1
	ds_read_u8 v79, v86 offset:1
	s_waitcnt lgkmcnt(1)
	v_mov_b32_e32 v76, v84
.LBB69_34:                              ;   in Loop: Header=BB69_2 Depth=1
	s_or_b64 exec, exec, s[86:87]
	v_perm_b32 v88, 0, v56, s94
	v_and_or_b32 v88, v56, s98, v88
	v_cndmask_b32_e64 v56, v56, v88, s[14:15]
	v_cndmask_b32_e64 v58, v58, v59, s[72:73]
	v_lshrrev_b32_e32 v59, 16, v56
	v_perm_b32 v59, 0, v59, s94
	v_lshlrev_b32_e32 v59, 16, v59
	v_and_or_b32 v59, v56, s89, v59
	v_cndmask_b32_e64 v56, v56, v59, s[16:17]
	v_perm_b32 v59, v57, v57, s93
	v_cndmask_b32_e64 v57, v57, v59, s[18:19]
	v_perm_b32 v59, v57, v57, s95
	;; [unrolled: 2-line block ×3, first 2 shown]
	v_cndmask_b32_e64 v56, v56, v59, s[22:23]
	v_cndmask_b32_e64 v66, v66, v67, s[76:77]
	;; [unrolled: 1-line block ×6, first 2 shown]
	v_and_b32_sdwa v60, v56, s92 dst_sel:DWORD dst_unused:UNUSED_PAD src0_sel:WORD_1 src1_sel:DWORD
	v_lshlrev_b16_e32 v61, 8, v57
	v_or_b32_sdwa v60, v60, v61 dst_sel:WORD_1 dst_unused:UNUSED_PAD src0_sel:DWORD src1_sel:DWORD
	v_perm_b32 v59, v56, v57, s97
	v_and_or_b32 v60, v56, s89, v60
	v_cndmask_b32_e64 v56, v56, v60, s[24:25]
	v_perm_b32 v60, 0, v56, s94
	v_cndmask_b32_e64 v57, v57, v59, s[24:25]
	v_and_or_b32 v60, v56, s98, v60
	v_perm_b32 v59, v57, v57, s96
	v_cndmask_b32_e64 v56, v56, v60, s[28:29]
	v_cndmask_b32_e64 v57, v57, v59, s[26:27]
	v_lshrrev_b32_e32 v59, 16, v56
	v_perm_b32 v59, 0, v59, s94
	v_lshlrev_b32_e32 v59, 16, v59
	v_and_or_b32 v59, v56, s89, v59
	v_cndmask_b32_e64 v56, v56, v59, s[30:31]
	v_perm_b32 v59, v57, v57, s93
	v_cndmask_b32_e64 v57, v57, v59, s[34:35]
	v_perm_b32 v59, v57, v57, s95
	;; [unrolled: 2-line block ×3, first 2 shown]
	v_cndmask_b32_e64 v56, v56, v59, s[38:39]
	v_and_b32_sdwa v60, v56, s92 dst_sel:DWORD dst_unused:UNUSED_PAD src0_sel:WORD_1 src1_sel:DWORD
	v_lshlrev_b16_e32 v61, 8, v57
	v_or_b32_sdwa v60, v60, v61 dst_sel:WORD_1 dst_unused:UNUSED_PAD src0_sel:DWORD src1_sel:DWORD
	v_perm_b32 v59, v56, v57, s97
	v_and_or_b32 v60, v56, s89, v60
	v_cndmask_b32_e64 v56, v56, v60, s[40:41]
	v_perm_b32 v60, 0, v56, s94
	v_cndmask_b32_e64 v57, v57, v59, s[40:41]
	v_and_or_b32 v60, v56, s98, v60
	v_perm_b32 v59, v57, v57, s96
	v_cndmask_b32_e64 v56, v56, v60, s[44:45]
	v_cndmask_b32_e64 v57, v57, v59, s[42:43]
	v_lshrrev_b32_e32 v59, 16, v56
	v_perm_b32 v59, 0, v59, s94
	v_lshlrev_b32_e32 v59, 16, v59
	v_and_or_b32 v59, v56, s89, v59
	v_cndmask_b32_e64 v56, v56, v59, s[46:47]
	v_perm_b32 v59, v57, v57, s93
	v_cndmask_b32_e64 v57, v57, v59, s[48:49]
	v_perm_b32 v59, v57, v57, s95
	v_cndmask_b32_e64 v57, v57, v59, s[50:51]
	v_perm_b32 v59, v56, v56, s96
	v_cndmask_b32_e64 v56, v56, v59, s[52:53]
	v_and_b32_sdwa v60, v56, s92 dst_sel:DWORD dst_unused:UNUSED_PAD src0_sel:WORD_1 src1_sel:DWORD
	v_lshlrev_b16_e32 v61, 8, v57
	v_or_b32_sdwa v60, v60, v61 dst_sel:WORD_1 dst_unused:UNUSED_PAD src0_sel:DWORD src1_sel:DWORD
	v_perm_b32 v59, v56, v57, s97
	v_and_or_b32 v60, v56, s89, v60
	v_cndmask_b32_e64 v56, v56, v60, s[54:55]
	v_perm_b32 v60, 0, v56, s94
	v_cndmask_b32_e64 v57, v57, v59, s[54:55]
	v_and_or_b32 v60, v56, s98, v60
	v_perm_b32 v59, v57, v57, s96
	v_cndmask_b32_e64 v56, v56, v60, s[58:59]
	v_cndmask_b32_e64 v57, v57, v59, s[56:57]
	v_lshrrev_b32_e32 v59, 16, v56
	v_perm_b32 v59, 0, v59, s94
	v_lshlrev_b32_e32 v59, 16, v59
	v_and_or_b32 v59, v56, s89, v59
	v_cndmask_b32_e64 v56, v56, v59, s[60:61]
	v_perm_b32 v59, v57, v57, s93
	v_cndmask_b32_e64 v57, v57, v59, s[62:63]
	v_perm_b32 v59, v57, v57, s95
	v_add_u32_e32 v89, 1, v87
	v_cndmask_b32_e64 v57, v57, v59, s[64:65]
	v_perm_b32 v59, v56, v56, s96
	v_cndmask_b32_e64 v84, v84, v85, s[84:85]
	v_add_u32_e32 v85, 1, v86
	v_cndmask_b32_e64 v89, v89, v87, s[84:85]
	v_cndmask_b32_e64 v56, v56, v59, s[66:67]
	;; [unrolled: 1-line block ×3, first 2 shown]
	v_perm_b32 v59, v56, v57, s97
	v_and_b32_sdwa v60, v56, s92 dst_sel:DWORD dst_unused:UNUSED_PAD src0_sel:WORD_1 src1_sel:DWORD
	v_lshlrev_b16_e32 v61, 8, v57
	v_cmp_ge_i32_e64 s[16:17], v89, v15
	s_waitcnt lgkmcnt(0)
	v_cmp_lt_i16_sdwa s[0:1], sext(v79), sext(v76) src0_sel:BYTE_0 src1_sel:BYTE_0
	v_or_b32_sdwa v60, v60, v61 dst_sel:WORD_1 dst_unused:UNUSED_PAD src0_sel:DWORD src1_sel:DWORD
	v_cndmask_b32_e64 v57, v57, v59, s[68:69]
	v_cmp_lt_i32_e64 s[14:15], v85, v16
	s_or_b64 s[0:1], s[16:17], s[0:1]
	v_and_or_b32 v60, v56, s89, v60
	v_perm_b32 v59, v57, v57, s96
	s_and_b64 s[14:15], s[14:15], s[0:1]
	v_cndmask_b32_e64 v56, v56, v60, s[68:69]
	v_cndmask_b32_e64 v57, v57, v59, s[70:71]
	;; [unrolled: 1-line block ×10, first 2 shown]
	s_barrier
	ds_write_b64 v2, v[56:57]
	s_waitcnt lgkmcnt(0)
	s_barrier
	ds_read_u8 v60, v59
	ds_read_u8 v56, v58
	;; [unrolled: 1-line block ×8, first 2 shown]
	v_lshlrev_b16_e32 v67, 8, v68
	v_or_b32_sdwa v64, v64, v67 dst_sel:DWORD dst_unused:UNUSED_PAD src0_sel:BYTE_0 src1_sel:DWORD
	v_lshlrev_b16_e32 v67, 8, v70
	v_cndmask_b32_e64 v65, v76, v79, s[14:15]
	v_or_b32_sdwa v66, v66, v67 dst_sel:WORD_1 dst_unused:UNUSED_PAD src0_sel:BYTE_0 src1_sel:DWORD
	v_lshlrev_b16_e32 v65, 8, v65
	v_or_b32_sdwa v64, v64, v66 dst_sel:DWORD dst_unused:UNUSED_PAD src0_sel:WORD_0 src1_sel:DWORD
	v_lshlrev_b16_e32 v66, 8, v80
	v_or_b32_sdwa v66, v74, v66 dst_sel:DWORD dst_unused:UNUSED_PAD src0_sel:BYTE_0 src1_sel:DWORD
	v_or_b32_sdwa v65, v84, v65 dst_sel:WORD_1 dst_unused:UNUSED_PAD src0_sel:BYTE_0 src1_sel:DWORD
	s_waitcnt lgkmcnt(0)
	v_or_b32_sdwa v65, v66, v65 dst_sel:DWORD dst_unused:UNUSED_PAD src0_sel:WORD_0 src1_sel:DWORD
	s_barrier
	ds_write_b64 v2, v[64:65]
	v_mov_b32_e32 v65, v38
	s_waitcnt lgkmcnt(0)
	s_barrier
	s_and_saveexec_b64 s[16:17], vcc
	s_cbranch_execz .LBB69_38
; %bb.35:                               ;   in Loop: Header=BB69_2 Depth=1
	s_mov_b64 s[18:19], 0
	v_mov_b32_e32 v65, v38
	v_mov_b32_e32 v64, v33
.LBB69_36:                              ;   Parent Loop BB69_2 Depth=1
                                        ; =>  This Inner Loop Header: Depth=2
	v_sub_u32_e32 v66, v64, v65
	v_lshrrev_b32_e32 v67, 31, v66
	v_add_u32_e32 v66, v66, v67
	v_ashrrev_i32_e32 v66, 1, v66
	v_add_u32_e32 v66, v66, v65
	v_not_b32_e32 v68, v66
	v_add_u32_e32 v67, v5, v66
	v_add3_u32 v68, v6, v68, v17
	ds_read_i8 v67, v67
	ds_read_i8 v68, v68
	v_add_u32_e32 v69, 1, v66
	s_waitcnt lgkmcnt(0)
	v_cmp_lt_i16_e64 s[14:15], v68, v67
	s_nop 1
	v_cndmask_b32_e64 v64, v64, v66, s[14:15]
	v_cndmask_b32_e64 v65, v69, v65, s[14:15]
	v_cmp_ge_i32_e64 s[14:15], v65, v64
	s_or_b64 s[18:19], s[14:15], s[18:19]
	s_andn2_b64 exec, exec, s[18:19]
	s_cbranch_execnz .LBB69_36
; %bb.37:                               ;   in Loop: Header=BB69_2 Depth=1
	s_or_b64 exec, exec, s[18:19]
.LBB69_38:                              ;   in Loop: Header=BB69_2 Depth=1
	s_or_b64 exec, exec, s[16:17]
	v_add_u32_e32 v64, v65, v5
	v_sub_u32_e32 v65, v28, v65
	ds_read_u8 v66, v64
	ds_read_u8 v67, v65
	v_cmp_le_i32_e64 s[16:17], v17, v64
	v_cmp_gt_i32_e64 s[14:15], v18, v65
                                        ; implicit-def: $vgpr68
	s_waitcnt lgkmcnt(1)
	v_bfe_i32 v66, v66, 0, 8
	s_waitcnt lgkmcnt(0)
	v_bfe_i32 v67, v67, 0, 8
	v_cmp_lt_i16_e64 s[18:19], v67, v66
	s_or_b64 s[0:1], s[16:17], s[18:19]
	s_and_b64 s[14:15], s[14:15], s[0:1]
	s_xor_b64 s[0:1], s[14:15], -1
	s_and_saveexec_b64 s[16:17], s[0:1]
	s_xor_b64 s[16:17], exec, s[16:17]
	s_cbranch_execz .LBB69_40
; %bb.39:                               ;   in Loop: Header=BB69_2 Depth=1
	ds_read_u8 v68, v64 offset:1
.LBB69_40:                              ;   in Loop: Header=BB69_2 Depth=1
	s_or_saveexec_b64 s[16:17], s[16:17]
	v_mov_b32_e32 v69, v67
	s_xor_b64 exec, exec, s[16:17]
	s_cbranch_execz .LBB69_42
; %bb.41:                               ;   in Loop: Header=BB69_2 Depth=1
	ds_read_u8 v69, v65 offset:1
	s_waitcnt lgkmcnt(1)
	v_mov_b32_e32 v68, v66
.LBB69_42:                              ;   in Loop: Header=BB69_2 Depth=1
	s_or_b64 exec, exec, s[16:17]
	v_add_u32_e32 v71, 1, v64
	v_add_u32_e32 v70, 1, v65
	v_cndmask_b32_e64 v71, v71, v64, s[14:15]
	v_cndmask_b32_e64 v70, v65, v70, s[14:15]
	v_cmp_ge_i32_e64 s[18:19], v71, v17
	s_waitcnt lgkmcnt(0)
	v_cmp_lt_i16_sdwa s[0:1], sext(v69), sext(v68) src0_sel:BYTE_0 src1_sel:BYTE_0
	v_cmp_lt_i32_e64 s[16:17], v70, v18
	s_or_b64 s[0:1], s[18:19], s[0:1]
	s_and_b64 s[16:17], s[16:17], s[0:1]
	s_xor_b64 s[0:1], s[16:17], -1
                                        ; implicit-def: $vgpr72
	s_and_saveexec_b64 s[18:19], s[0:1]
	s_xor_b64 s[18:19], exec, s[18:19]
	s_cbranch_execz .LBB69_44
; %bb.43:                               ;   in Loop: Header=BB69_2 Depth=1
	ds_read_u8 v72, v71 offset:1
.LBB69_44:                              ;   in Loop: Header=BB69_2 Depth=1
	s_or_saveexec_b64 s[18:19], s[18:19]
	v_mov_b32_e32 v73, v69
	s_xor_b64 exec, exec, s[18:19]
	s_cbranch_execz .LBB69_46
; %bb.45:                               ;   in Loop: Header=BB69_2 Depth=1
	ds_read_u8 v73, v70 offset:1
	s_waitcnt lgkmcnt(1)
	v_mov_b32_e32 v72, v68
.LBB69_46:                              ;   in Loop: Header=BB69_2 Depth=1
	s_or_b64 exec, exec, s[18:19]
	v_add_u32_e32 v75, 1, v71
	v_add_u32_e32 v74, 1, v70
	v_cndmask_b32_e64 v75, v75, v71, s[16:17]
	v_cndmask_b32_e64 v74, v70, v74, s[16:17]
	v_cmp_ge_i32_e64 s[20:21], v75, v17
	s_waitcnt lgkmcnt(0)
	v_cmp_lt_i16_sdwa s[0:1], sext(v73), sext(v72) src0_sel:BYTE_0 src1_sel:BYTE_0
	v_cmp_lt_i32_e64 s[18:19], v74, v18
	s_or_b64 s[0:1], s[20:21], s[0:1]
	s_and_b64 s[18:19], s[18:19], s[0:1]
	s_xor_b64 s[0:1], s[18:19], -1
                                        ; implicit-def: $vgpr76
	s_and_saveexec_b64 s[20:21], s[0:1]
	s_xor_b64 s[20:21], exec, s[20:21]
	s_cbranch_execz .LBB69_48
; %bb.47:                               ;   in Loop: Header=BB69_2 Depth=1
	ds_read_u8 v76, v75 offset:1
.LBB69_48:                              ;   in Loop: Header=BB69_2 Depth=1
	s_or_saveexec_b64 s[20:21], s[20:21]
	v_mov_b32_e32 v77, v73
	s_xor_b64 exec, exec, s[20:21]
	s_cbranch_execz .LBB69_50
; %bb.49:                               ;   in Loop: Header=BB69_2 Depth=1
	ds_read_u8 v77, v74 offset:1
	s_waitcnt lgkmcnt(1)
	v_mov_b32_e32 v76, v72
.LBB69_50:                              ;   in Loop: Header=BB69_2 Depth=1
	s_or_b64 exec, exec, s[20:21]
	v_add_u32_e32 v79, 1, v75
	v_add_u32_e32 v78, 1, v74
	v_cndmask_b32_e64 v79, v79, v75, s[18:19]
	v_cndmask_b32_e64 v78, v74, v78, s[18:19]
	v_cmp_ge_i32_e64 s[22:23], v79, v17
	s_waitcnt lgkmcnt(0)
	v_cmp_lt_i16_sdwa s[0:1], sext(v77), sext(v76) src0_sel:BYTE_0 src1_sel:BYTE_0
	v_cmp_lt_i32_e64 s[20:21], v78, v18
	s_or_b64 s[0:1], s[22:23], s[0:1]
	s_and_b64 s[20:21], s[20:21], s[0:1]
	s_xor_b64 s[0:1], s[20:21], -1
                                        ; implicit-def: $vgpr80
	s_and_saveexec_b64 s[22:23], s[0:1]
	s_xor_b64 s[22:23], exec, s[22:23]
	s_cbranch_execz .LBB69_52
; %bb.51:                               ;   in Loop: Header=BB69_2 Depth=1
	ds_read_u8 v80, v79 offset:1
.LBB69_52:                              ;   in Loop: Header=BB69_2 Depth=1
	s_or_saveexec_b64 s[22:23], s[22:23]
	v_mov_b32_e32 v81, v77
	s_xor_b64 exec, exec, s[22:23]
	s_cbranch_execz .LBB69_54
; %bb.53:                               ;   in Loop: Header=BB69_2 Depth=1
	ds_read_u8 v81, v78 offset:1
	s_waitcnt lgkmcnt(1)
	v_mov_b32_e32 v80, v76
.LBB69_54:                              ;   in Loop: Header=BB69_2 Depth=1
	s_or_b64 exec, exec, s[22:23]
	v_add_u32_e32 v83, 1, v79
	v_add_u32_e32 v82, 1, v78
	v_cndmask_b32_e64 v83, v83, v79, s[20:21]
	v_cndmask_b32_e64 v82, v78, v82, s[20:21]
	v_cmp_ge_i32_e64 s[24:25], v83, v17
	s_waitcnt lgkmcnt(0)
	v_cmp_lt_i16_sdwa s[0:1], sext(v81), sext(v80) src0_sel:BYTE_0 src1_sel:BYTE_0
	v_cmp_lt_i32_e64 s[22:23], v82, v18
	s_or_b64 s[0:1], s[24:25], s[0:1]
	s_and_b64 s[22:23], s[22:23], s[0:1]
	s_xor_b64 s[0:1], s[22:23], -1
                                        ; implicit-def: $vgpr84
	s_and_saveexec_b64 s[24:25], s[0:1]
	s_xor_b64 s[24:25], exec, s[24:25]
	s_cbranch_execz .LBB69_56
; %bb.55:                               ;   in Loop: Header=BB69_2 Depth=1
	ds_read_u8 v84, v83 offset:1
.LBB69_56:                              ;   in Loop: Header=BB69_2 Depth=1
	s_or_saveexec_b64 s[24:25], s[24:25]
	v_mov_b32_e32 v85, v81
	s_xor_b64 exec, exec, s[24:25]
	s_cbranch_execz .LBB69_58
; %bb.57:                               ;   in Loop: Header=BB69_2 Depth=1
	ds_read_u8 v85, v82 offset:1
	s_waitcnt lgkmcnt(1)
	v_mov_b32_e32 v84, v80
.LBB69_58:                              ;   in Loop: Header=BB69_2 Depth=1
	s_or_b64 exec, exec, s[24:25]
	v_add_u32_e32 v87, 1, v83
	v_add_u32_e32 v86, 1, v82
	v_cndmask_b32_e64 v87, v87, v83, s[22:23]
	v_cndmask_b32_e64 v86, v82, v86, s[22:23]
	v_cmp_ge_i32_e64 s[26:27], v87, v17
	s_waitcnt lgkmcnt(0)
	v_cmp_lt_i16_sdwa s[0:1], sext(v85), sext(v84) src0_sel:BYTE_0 src1_sel:BYTE_0
	v_cmp_lt_i32_e64 s[24:25], v86, v18
	s_or_b64 s[0:1], s[26:27], s[0:1]
	s_and_b64 s[24:25], s[24:25], s[0:1]
	s_xor_b64 s[0:1], s[24:25], -1
                                        ; implicit-def: $vgpr88
	s_and_saveexec_b64 s[26:27], s[0:1]
	s_xor_b64 s[26:27], exec, s[26:27]
	s_cbranch_execz .LBB69_60
; %bb.59:                               ;   in Loop: Header=BB69_2 Depth=1
	ds_read_u8 v88, v87 offset:1
.LBB69_60:                              ;   in Loop: Header=BB69_2 Depth=1
	s_or_saveexec_b64 s[26:27], s[26:27]
	v_mov_b32_e32 v89, v85
	s_xor_b64 exec, exec, s[26:27]
	s_cbranch_execz .LBB69_62
; %bb.61:                               ;   in Loop: Header=BB69_2 Depth=1
	ds_read_u8 v89, v86 offset:1
	s_waitcnt lgkmcnt(1)
	v_mov_b32_e32 v88, v84
.LBB69_62:                              ;   in Loop: Header=BB69_2 Depth=1
	s_or_b64 exec, exec, s[26:27]
	v_add_u32_e32 v92, 1, v87
	v_add_u32_e32 v90, 1, v86
	v_cndmask_b32_e64 v92, v92, v87, s[24:25]
	v_cndmask_b32_e64 v91, v86, v90, s[24:25]
	v_cmp_ge_i32_e64 s[28:29], v92, v17
	s_waitcnt lgkmcnt(0)
	v_cmp_lt_i16_sdwa s[0:1], sext(v89), sext(v88) src0_sel:BYTE_0 src1_sel:BYTE_0
	v_cmp_lt_i32_e64 s[26:27], v91, v18
	s_or_b64 s[0:1], s[28:29], s[0:1]
	s_and_b64 s[26:27], s[26:27], s[0:1]
	s_xor_b64 s[0:1], s[26:27], -1
                                        ; implicit-def: $vgpr90
	s_and_saveexec_b64 s[28:29], s[0:1]
	s_xor_b64 s[28:29], exec, s[28:29]
	s_cbranch_execz .LBB69_64
; %bb.63:                               ;   in Loop: Header=BB69_2 Depth=1
	ds_read_u8 v90, v92 offset:1
.LBB69_64:                              ;   in Loop: Header=BB69_2 Depth=1
	s_or_saveexec_b64 s[28:29], s[28:29]
	v_mov_b32_e32 v93, v89
	s_xor_b64 exec, exec, s[28:29]
	s_cbranch_execz .LBB69_66
; %bb.65:                               ;   in Loop: Header=BB69_2 Depth=1
	ds_read_u8 v93, v91 offset:1
	s_waitcnt lgkmcnt(1)
	v_mov_b32_e32 v90, v88
.LBB69_66:                              ;   in Loop: Header=BB69_2 Depth=1
	s_or_b64 exec, exec, s[28:29]
	v_add_u32_e32 v94, 1, v92
	v_cndmask_b32_e64 v88, v88, v89, s[26:27]
	v_add_u32_e32 v89, 1, v91
	v_cndmask_b32_e64 v94, v94, v92, s[26:27]
	v_cndmask_b32_e64 v89, v91, v89, s[26:27]
	;; [unrolled: 1-line block ×4, first 2 shown]
	v_cmp_ge_i32_e64 s[16:17], v94, v17
	s_waitcnt lgkmcnt(0)
	v_cmp_lt_i16_sdwa s[0:1], sext(v93), sext(v90) src0_sel:BYTE_0 src1_sel:BYTE_0
	v_lshlrev_b16_e32 v58, 8, v58
	v_cndmask_b32_e64 v66, v66, v67, s[14:15]
	v_cndmask_b32_e64 v64, v64, v65, s[14:15]
	v_cmp_lt_i32_e64 s[14:15], v89, v18
	s_or_b64 s[0:1], s[16:17], s[0:1]
	v_lshlrev_b16_e32 v63, 8, v63
	v_lshlrev_b16_e32 v60, 8, v60
	v_or_b32_sdwa v56, v56, v58 dst_sel:DWORD dst_unused:UNUSED_PAD src0_sel:BYTE_0 src1_sel:DWORD
	v_lshlrev_b16_e32 v58, 8, v59
	s_and_b64 s[14:15], s[14:15], s[0:1]
	v_or_b32_sdwa v61, v61, v63 dst_sel:DWORD dst_unused:UNUSED_PAD src0_sel:BYTE_0 src1_sel:DWORD
	v_or_b32_sdwa v60, v62, v60 dst_sel:WORD_1 dst_unused:UNUSED_PAD src0_sel:BYTE_0 src1_sel:DWORD
	v_or_b32_sdwa v57, v57, v58 dst_sel:WORD_1 dst_unused:UNUSED_PAD src0_sel:BYTE_0 src1_sel:DWORD
	v_cndmask_b32_e64 v67, v94, v89, s[14:15]
	v_or_b32_sdwa v61, v61, v60 dst_sel:DWORD dst_unused:UNUSED_PAD src0_sel:WORD_0 src1_sel:DWORD
	v_or_b32_sdwa v60, v56, v57 dst_sel:DWORD dst_unused:UNUSED_PAD src0_sel:WORD_0 src1_sel:DWORD
	v_cndmask_b32_e64 v91, v92, v91, s[26:27]
	v_cndmask_b32_e64 v84, v84, v85, s[24:25]
	;; [unrolled: 1-line block ×9, first 2 shown]
	s_barrier
	ds_write_b64 v2, v[60:61]
	s_waitcnt lgkmcnt(0)
	s_barrier
	ds_read_u8 v60, v67
	ds_read_u8 v56, v64
	;; [unrolled: 1-line block ×8, first 2 shown]
	v_lshlrev_b16_e32 v64, 8, v68
	v_or_b32_sdwa v64, v66, v64 dst_sel:DWORD dst_unused:UNUSED_PAD src0_sel:BYTE_0 src1_sel:DWORD
	v_lshlrev_b16_e32 v66, 8, v76
	v_cndmask_b32_e64 v65, v90, v93, s[14:15]
	v_or_b32_sdwa v66, v72, v66 dst_sel:WORD_1 dst_unused:UNUSED_PAD src0_sel:BYTE_0 src1_sel:DWORD
	v_lshlrev_b16_e32 v65, 8, v65
	v_or_b32_sdwa v64, v64, v66 dst_sel:DWORD dst_unused:UNUSED_PAD src0_sel:WORD_0 src1_sel:DWORD
	v_lshlrev_b16_e32 v66, 8, v84
	v_or_b32_sdwa v66, v80, v66 dst_sel:DWORD dst_unused:UNUSED_PAD src0_sel:BYTE_0 src1_sel:DWORD
	v_or_b32_sdwa v65, v88, v65 dst_sel:WORD_1 dst_unused:UNUSED_PAD src0_sel:BYTE_0 src1_sel:DWORD
	s_waitcnt lgkmcnt(0)
	v_or_b32_sdwa v65, v66, v65 dst_sel:DWORD dst_unused:UNUSED_PAD src0_sel:WORD_0 src1_sel:DWORD
	s_barrier
	ds_write_b64 v2, v[64:65]
	v_mov_b32_e32 v65, v39
	s_waitcnt lgkmcnt(0)
	s_barrier
	s_and_saveexec_b64 s[16:17], s[2:3]
	s_cbranch_execz .LBB69_70
; %bb.67:                               ;   in Loop: Header=BB69_2 Depth=1
	s_mov_b64 s[18:19], 0
	v_mov_b32_e32 v65, v39
	v_mov_b32_e32 v64, v34
.LBB69_68:                              ;   Parent Loop BB69_2 Depth=1
                                        ; =>  This Inner Loop Header: Depth=2
	v_sub_u32_e32 v66, v64, v65
	v_lshrrev_b32_e32 v67, 31, v66
	v_add_u32_e32 v66, v66, v67
	v_ashrrev_i32_e32 v66, 1, v66
	v_add_u32_e32 v66, v66, v65
	v_not_b32_e32 v68, v66
	v_add_u32_e32 v67, v7, v66
	v_add3_u32 v68, v8, v68, v19
	ds_read_i8 v67, v67
	ds_read_i8 v68, v68
	v_add_u32_e32 v69, 1, v66
	s_waitcnt lgkmcnt(0)
	v_cmp_lt_i16_e64 s[14:15], v68, v67
	s_nop 1
	v_cndmask_b32_e64 v64, v64, v66, s[14:15]
	v_cndmask_b32_e64 v65, v69, v65, s[14:15]
	v_cmp_ge_i32_e64 s[14:15], v65, v64
	s_or_b64 s[18:19], s[14:15], s[18:19]
	s_andn2_b64 exec, exec, s[18:19]
	s_cbranch_execnz .LBB69_68
; %bb.69:                               ;   in Loop: Header=BB69_2 Depth=1
	s_or_b64 exec, exec, s[18:19]
.LBB69_70:                              ;   in Loop: Header=BB69_2 Depth=1
	s_or_b64 exec, exec, s[16:17]
	v_add_u32_e32 v64, v65, v7
	v_sub_u32_e32 v65, v29, v65
	ds_read_u8 v66, v64
	ds_read_u8 v67, v65
	v_cmp_le_i32_e64 s[16:17], v19, v64
	v_cmp_gt_i32_e64 s[14:15], v20, v65
                                        ; implicit-def: $vgpr68
	s_waitcnt lgkmcnt(1)
	v_bfe_i32 v66, v66, 0, 8
	s_waitcnt lgkmcnt(0)
	v_bfe_i32 v67, v67, 0, 8
	v_cmp_lt_i16_e64 s[18:19], v67, v66
	s_or_b64 s[0:1], s[16:17], s[18:19]
	s_and_b64 s[14:15], s[14:15], s[0:1]
	s_xor_b64 s[0:1], s[14:15], -1
	s_and_saveexec_b64 s[16:17], s[0:1]
	s_xor_b64 s[16:17], exec, s[16:17]
	s_cbranch_execz .LBB69_72
; %bb.71:                               ;   in Loop: Header=BB69_2 Depth=1
	ds_read_u8 v68, v64 offset:1
.LBB69_72:                              ;   in Loop: Header=BB69_2 Depth=1
	s_or_saveexec_b64 s[16:17], s[16:17]
	v_mov_b32_e32 v69, v67
	s_xor_b64 exec, exec, s[16:17]
	s_cbranch_execz .LBB69_74
; %bb.73:                               ;   in Loop: Header=BB69_2 Depth=1
	ds_read_u8 v69, v65 offset:1
	s_waitcnt lgkmcnt(1)
	v_mov_b32_e32 v68, v66
.LBB69_74:                              ;   in Loop: Header=BB69_2 Depth=1
	s_or_b64 exec, exec, s[16:17]
	v_add_u32_e32 v71, 1, v64
	v_add_u32_e32 v70, 1, v65
	v_cndmask_b32_e64 v71, v71, v64, s[14:15]
	v_cndmask_b32_e64 v70, v65, v70, s[14:15]
	v_cmp_ge_i32_e64 s[18:19], v71, v19
	s_waitcnt lgkmcnt(0)
	v_cmp_lt_i16_sdwa s[0:1], sext(v69), sext(v68) src0_sel:BYTE_0 src1_sel:BYTE_0
	v_cmp_lt_i32_e64 s[16:17], v70, v20
	s_or_b64 s[0:1], s[18:19], s[0:1]
	s_and_b64 s[16:17], s[16:17], s[0:1]
	s_xor_b64 s[0:1], s[16:17], -1
                                        ; implicit-def: $vgpr72
	s_and_saveexec_b64 s[18:19], s[0:1]
	s_xor_b64 s[18:19], exec, s[18:19]
	s_cbranch_execz .LBB69_76
; %bb.75:                               ;   in Loop: Header=BB69_2 Depth=1
	ds_read_u8 v72, v71 offset:1
.LBB69_76:                              ;   in Loop: Header=BB69_2 Depth=1
	s_or_saveexec_b64 s[18:19], s[18:19]
	v_mov_b32_e32 v73, v69
	s_xor_b64 exec, exec, s[18:19]
	s_cbranch_execz .LBB69_78
; %bb.77:                               ;   in Loop: Header=BB69_2 Depth=1
	ds_read_u8 v73, v70 offset:1
	s_waitcnt lgkmcnt(1)
	v_mov_b32_e32 v72, v68
.LBB69_78:                              ;   in Loop: Header=BB69_2 Depth=1
	s_or_b64 exec, exec, s[18:19]
	v_add_u32_e32 v75, 1, v71
	v_add_u32_e32 v74, 1, v70
	v_cndmask_b32_e64 v75, v75, v71, s[16:17]
	v_cndmask_b32_e64 v74, v70, v74, s[16:17]
	v_cmp_ge_i32_e64 s[20:21], v75, v19
	s_waitcnt lgkmcnt(0)
	v_cmp_lt_i16_sdwa s[0:1], sext(v73), sext(v72) src0_sel:BYTE_0 src1_sel:BYTE_0
	v_cmp_lt_i32_e64 s[18:19], v74, v20
	s_or_b64 s[0:1], s[20:21], s[0:1]
	s_and_b64 s[18:19], s[18:19], s[0:1]
	s_xor_b64 s[0:1], s[18:19], -1
                                        ; implicit-def: $vgpr76
	s_and_saveexec_b64 s[20:21], s[0:1]
	s_xor_b64 s[20:21], exec, s[20:21]
	s_cbranch_execz .LBB69_80
; %bb.79:                               ;   in Loop: Header=BB69_2 Depth=1
	ds_read_u8 v76, v75 offset:1
.LBB69_80:                              ;   in Loop: Header=BB69_2 Depth=1
	s_or_saveexec_b64 s[20:21], s[20:21]
	v_mov_b32_e32 v77, v73
	s_xor_b64 exec, exec, s[20:21]
	s_cbranch_execz .LBB69_82
; %bb.81:                               ;   in Loop: Header=BB69_2 Depth=1
	ds_read_u8 v77, v74 offset:1
	s_waitcnt lgkmcnt(1)
	v_mov_b32_e32 v76, v72
.LBB69_82:                              ;   in Loop: Header=BB69_2 Depth=1
	s_or_b64 exec, exec, s[20:21]
	v_add_u32_e32 v79, 1, v75
	v_add_u32_e32 v78, 1, v74
	v_cndmask_b32_e64 v79, v79, v75, s[18:19]
	v_cndmask_b32_e64 v78, v74, v78, s[18:19]
	v_cmp_ge_i32_e64 s[22:23], v79, v19
	s_waitcnt lgkmcnt(0)
	v_cmp_lt_i16_sdwa s[0:1], sext(v77), sext(v76) src0_sel:BYTE_0 src1_sel:BYTE_0
	v_cmp_lt_i32_e64 s[20:21], v78, v20
	s_or_b64 s[0:1], s[22:23], s[0:1]
	s_and_b64 s[20:21], s[20:21], s[0:1]
	s_xor_b64 s[0:1], s[20:21], -1
                                        ; implicit-def: $vgpr80
	s_and_saveexec_b64 s[22:23], s[0:1]
	s_xor_b64 s[22:23], exec, s[22:23]
	s_cbranch_execz .LBB69_84
; %bb.83:                               ;   in Loop: Header=BB69_2 Depth=1
	ds_read_u8 v80, v79 offset:1
.LBB69_84:                              ;   in Loop: Header=BB69_2 Depth=1
	s_or_saveexec_b64 s[22:23], s[22:23]
	v_mov_b32_e32 v81, v77
	s_xor_b64 exec, exec, s[22:23]
	s_cbranch_execz .LBB69_86
; %bb.85:                               ;   in Loop: Header=BB69_2 Depth=1
	ds_read_u8 v81, v78 offset:1
	s_waitcnt lgkmcnt(1)
	v_mov_b32_e32 v80, v76
.LBB69_86:                              ;   in Loop: Header=BB69_2 Depth=1
	s_or_b64 exec, exec, s[22:23]
	v_add_u32_e32 v83, 1, v79
	v_add_u32_e32 v82, 1, v78
	v_cndmask_b32_e64 v83, v83, v79, s[20:21]
	v_cndmask_b32_e64 v82, v78, v82, s[20:21]
	v_cmp_ge_i32_e64 s[24:25], v83, v19
	s_waitcnt lgkmcnt(0)
	v_cmp_lt_i16_sdwa s[0:1], sext(v81), sext(v80) src0_sel:BYTE_0 src1_sel:BYTE_0
	v_cmp_lt_i32_e64 s[22:23], v82, v20
	s_or_b64 s[0:1], s[24:25], s[0:1]
	s_and_b64 s[22:23], s[22:23], s[0:1]
	s_xor_b64 s[0:1], s[22:23], -1
                                        ; implicit-def: $vgpr84
	s_and_saveexec_b64 s[24:25], s[0:1]
	s_xor_b64 s[24:25], exec, s[24:25]
	s_cbranch_execz .LBB69_88
; %bb.87:                               ;   in Loop: Header=BB69_2 Depth=1
	ds_read_u8 v84, v83 offset:1
.LBB69_88:                              ;   in Loop: Header=BB69_2 Depth=1
	s_or_saveexec_b64 s[24:25], s[24:25]
	v_mov_b32_e32 v85, v81
	s_xor_b64 exec, exec, s[24:25]
	s_cbranch_execz .LBB69_90
; %bb.89:                               ;   in Loop: Header=BB69_2 Depth=1
	ds_read_u8 v85, v82 offset:1
	s_waitcnt lgkmcnt(1)
	v_mov_b32_e32 v84, v80
.LBB69_90:                              ;   in Loop: Header=BB69_2 Depth=1
	s_or_b64 exec, exec, s[24:25]
	v_add_u32_e32 v87, 1, v83
	v_add_u32_e32 v86, 1, v82
	v_cndmask_b32_e64 v87, v87, v83, s[22:23]
	v_cndmask_b32_e64 v86, v82, v86, s[22:23]
	v_cmp_ge_i32_e64 s[26:27], v87, v19
	s_waitcnt lgkmcnt(0)
	v_cmp_lt_i16_sdwa s[0:1], sext(v85), sext(v84) src0_sel:BYTE_0 src1_sel:BYTE_0
	v_cmp_lt_i32_e64 s[24:25], v86, v20
	s_or_b64 s[0:1], s[26:27], s[0:1]
	s_and_b64 s[24:25], s[24:25], s[0:1]
	s_xor_b64 s[0:1], s[24:25], -1
                                        ; implicit-def: $vgpr88
	s_and_saveexec_b64 s[26:27], s[0:1]
	s_xor_b64 s[26:27], exec, s[26:27]
	s_cbranch_execz .LBB69_92
; %bb.91:                               ;   in Loop: Header=BB69_2 Depth=1
	ds_read_u8 v88, v87 offset:1
.LBB69_92:                              ;   in Loop: Header=BB69_2 Depth=1
	s_or_saveexec_b64 s[26:27], s[26:27]
	v_mov_b32_e32 v89, v85
	s_xor_b64 exec, exec, s[26:27]
	s_cbranch_execz .LBB69_94
; %bb.93:                               ;   in Loop: Header=BB69_2 Depth=1
	ds_read_u8 v89, v86 offset:1
	s_waitcnt lgkmcnt(1)
	v_mov_b32_e32 v88, v84
.LBB69_94:                              ;   in Loop: Header=BB69_2 Depth=1
	s_or_b64 exec, exec, s[26:27]
	v_add_u32_e32 v92, 1, v87
	v_add_u32_e32 v90, 1, v86
	v_cndmask_b32_e64 v92, v92, v87, s[24:25]
	v_cndmask_b32_e64 v91, v86, v90, s[24:25]
	v_cmp_ge_i32_e64 s[28:29], v92, v19
	s_waitcnt lgkmcnt(0)
	v_cmp_lt_i16_sdwa s[0:1], sext(v89), sext(v88) src0_sel:BYTE_0 src1_sel:BYTE_0
	v_cmp_lt_i32_e64 s[26:27], v91, v20
	s_or_b64 s[0:1], s[28:29], s[0:1]
	s_and_b64 s[26:27], s[26:27], s[0:1]
	s_xor_b64 s[0:1], s[26:27], -1
                                        ; implicit-def: $vgpr90
	s_and_saveexec_b64 s[28:29], s[0:1]
	s_xor_b64 s[28:29], exec, s[28:29]
	s_cbranch_execz .LBB69_96
; %bb.95:                               ;   in Loop: Header=BB69_2 Depth=1
	ds_read_u8 v90, v92 offset:1
.LBB69_96:                              ;   in Loop: Header=BB69_2 Depth=1
	s_or_saveexec_b64 s[28:29], s[28:29]
	v_mov_b32_e32 v93, v89
	s_xor_b64 exec, exec, s[28:29]
	s_cbranch_execz .LBB69_98
; %bb.97:                               ;   in Loop: Header=BB69_2 Depth=1
	ds_read_u8 v93, v91 offset:1
	s_waitcnt lgkmcnt(1)
	v_mov_b32_e32 v90, v88
.LBB69_98:                              ;   in Loop: Header=BB69_2 Depth=1
	s_or_b64 exec, exec, s[28:29]
	v_add_u32_e32 v94, 1, v92
	v_cndmask_b32_e64 v88, v88, v89, s[26:27]
	v_add_u32_e32 v89, 1, v91
	v_cndmask_b32_e64 v94, v94, v92, s[26:27]
	v_cndmask_b32_e64 v89, v91, v89, s[26:27]
	;; [unrolled: 1-line block ×4, first 2 shown]
	v_cmp_ge_i32_e64 s[16:17], v94, v19
	s_waitcnt lgkmcnt(0)
	v_cmp_lt_i16_sdwa s[0:1], sext(v93), sext(v90) src0_sel:BYTE_0 src1_sel:BYTE_0
	v_lshlrev_b16_e32 v58, 8, v58
	v_cndmask_b32_e64 v66, v66, v67, s[14:15]
	v_cndmask_b32_e64 v64, v64, v65, s[14:15]
	v_cmp_lt_i32_e64 s[14:15], v89, v20
	s_or_b64 s[0:1], s[16:17], s[0:1]
	v_lshlrev_b16_e32 v63, 8, v63
	v_lshlrev_b16_e32 v60, 8, v60
	v_or_b32_sdwa v56, v56, v58 dst_sel:DWORD dst_unused:UNUSED_PAD src0_sel:BYTE_0 src1_sel:DWORD
	v_lshlrev_b16_e32 v58, 8, v59
	s_and_b64 s[14:15], s[14:15], s[0:1]
	v_or_b32_sdwa v61, v61, v63 dst_sel:DWORD dst_unused:UNUSED_PAD src0_sel:BYTE_0 src1_sel:DWORD
	v_or_b32_sdwa v60, v62, v60 dst_sel:WORD_1 dst_unused:UNUSED_PAD src0_sel:BYTE_0 src1_sel:DWORD
	v_or_b32_sdwa v57, v57, v58 dst_sel:WORD_1 dst_unused:UNUSED_PAD src0_sel:BYTE_0 src1_sel:DWORD
	v_cndmask_b32_e64 v67, v94, v89, s[14:15]
	v_or_b32_sdwa v61, v61, v60 dst_sel:DWORD dst_unused:UNUSED_PAD src0_sel:WORD_0 src1_sel:DWORD
	v_or_b32_sdwa v60, v56, v57 dst_sel:DWORD dst_unused:UNUSED_PAD src0_sel:WORD_0 src1_sel:DWORD
	v_cndmask_b32_e64 v91, v92, v91, s[26:27]
	v_cndmask_b32_e64 v84, v84, v85, s[24:25]
	;; [unrolled: 1-line block ×9, first 2 shown]
	s_barrier
	ds_write_b64 v2, v[60:61]
	s_waitcnt lgkmcnt(0)
	s_barrier
	ds_read_u8 v60, v67
	ds_read_u8 v56, v64
	;; [unrolled: 1-line block ×8, first 2 shown]
	v_lshlrev_b16_e32 v64, 8, v68
	v_or_b32_sdwa v64, v66, v64 dst_sel:DWORD dst_unused:UNUSED_PAD src0_sel:BYTE_0 src1_sel:DWORD
	v_lshlrev_b16_e32 v66, 8, v76
	v_cndmask_b32_e64 v65, v90, v93, s[14:15]
	v_or_b32_sdwa v66, v72, v66 dst_sel:WORD_1 dst_unused:UNUSED_PAD src0_sel:BYTE_0 src1_sel:DWORD
	v_lshlrev_b16_e32 v65, 8, v65
	v_or_b32_sdwa v64, v64, v66 dst_sel:DWORD dst_unused:UNUSED_PAD src0_sel:WORD_0 src1_sel:DWORD
	v_lshlrev_b16_e32 v66, 8, v84
	v_or_b32_sdwa v66, v80, v66 dst_sel:DWORD dst_unused:UNUSED_PAD src0_sel:BYTE_0 src1_sel:DWORD
	v_or_b32_sdwa v65, v88, v65 dst_sel:WORD_1 dst_unused:UNUSED_PAD src0_sel:BYTE_0 src1_sel:DWORD
	s_waitcnt lgkmcnt(0)
	v_or_b32_sdwa v65, v66, v65 dst_sel:DWORD dst_unused:UNUSED_PAD src0_sel:WORD_0 src1_sel:DWORD
	s_barrier
	ds_write_b64 v2, v[64:65]
	v_mov_b32_e32 v65, v40
	s_waitcnt lgkmcnt(0)
	s_barrier
	s_and_saveexec_b64 s[16:17], s[4:5]
	s_cbranch_execz .LBB69_102
; %bb.99:                               ;   in Loop: Header=BB69_2 Depth=1
	s_mov_b64 s[18:19], 0
	v_mov_b32_e32 v65, v40
	v_mov_b32_e32 v64, v35
.LBB69_100:                             ;   Parent Loop BB69_2 Depth=1
                                        ; =>  This Inner Loop Header: Depth=2
	v_sub_u32_e32 v66, v64, v65
	v_lshrrev_b32_e32 v67, 31, v66
	v_add_u32_e32 v66, v66, v67
	v_ashrrev_i32_e32 v66, 1, v66
	v_add_u32_e32 v66, v66, v65
	v_not_b32_e32 v68, v66
	v_add_u32_e32 v67, v9, v66
	v_add3_u32 v68, v10, v68, v21
	ds_read_i8 v67, v67
	ds_read_i8 v68, v68
	v_add_u32_e32 v69, 1, v66
	s_waitcnt lgkmcnt(0)
	v_cmp_lt_i16_e64 s[14:15], v68, v67
	s_nop 1
	v_cndmask_b32_e64 v64, v64, v66, s[14:15]
	v_cndmask_b32_e64 v65, v69, v65, s[14:15]
	v_cmp_ge_i32_e64 s[14:15], v65, v64
	s_or_b64 s[18:19], s[14:15], s[18:19]
	s_andn2_b64 exec, exec, s[18:19]
	s_cbranch_execnz .LBB69_100
; %bb.101:                              ;   in Loop: Header=BB69_2 Depth=1
	s_or_b64 exec, exec, s[18:19]
.LBB69_102:                             ;   in Loop: Header=BB69_2 Depth=1
	s_or_b64 exec, exec, s[16:17]
	v_add_u32_e32 v64, v65, v9
	v_sub_u32_e32 v65, v30, v65
	ds_read_u8 v66, v64
	ds_read_u8 v67, v65
	v_cmp_le_i32_e64 s[16:17], v21, v64
	v_cmp_gt_i32_e64 s[14:15], v22, v65
                                        ; implicit-def: $vgpr68
	s_waitcnt lgkmcnt(1)
	v_bfe_i32 v66, v66, 0, 8
	s_waitcnt lgkmcnt(0)
	v_bfe_i32 v67, v67, 0, 8
	v_cmp_lt_i16_e64 s[18:19], v67, v66
	s_or_b64 s[0:1], s[16:17], s[18:19]
	s_and_b64 s[14:15], s[14:15], s[0:1]
	s_xor_b64 s[0:1], s[14:15], -1
	s_and_saveexec_b64 s[16:17], s[0:1]
	s_xor_b64 s[16:17], exec, s[16:17]
	s_cbranch_execz .LBB69_104
; %bb.103:                              ;   in Loop: Header=BB69_2 Depth=1
	ds_read_u8 v68, v64 offset:1
.LBB69_104:                             ;   in Loop: Header=BB69_2 Depth=1
	s_or_saveexec_b64 s[16:17], s[16:17]
	v_mov_b32_e32 v69, v67
	s_xor_b64 exec, exec, s[16:17]
	s_cbranch_execz .LBB69_106
; %bb.105:                              ;   in Loop: Header=BB69_2 Depth=1
	ds_read_u8 v69, v65 offset:1
	s_waitcnt lgkmcnt(1)
	v_mov_b32_e32 v68, v66
.LBB69_106:                             ;   in Loop: Header=BB69_2 Depth=1
	s_or_b64 exec, exec, s[16:17]
	v_add_u32_e32 v71, 1, v64
	v_add_u32_e32 v70, 1, v65
	v_cndmask_b32_e64 v71, v71, v64, s[14:15]
	v_cndmask_b32_e64 v70, v65, v70, s[14:15]
	v_cmp_ge_i32_e64 s[18:19], v71, v21
	s_waitcnt lgkmcnt(0)
	v_cmp_lt_i16_sdwa s[0:1], sext(v69), sext(v68) src0_sel:BYTE_0 src1_sel:BYTE_0
	v_cmp_lt_i32_e64 s[16:17], v70, v22
	s_or_b64 s[0:1], s[18:19], s[0:1]
	s_and_b64 s[16:17], s[16:17], s[0:1]
	s_xor_b64 s[0:1], s[16:17], -1
                                        ; implicit-def: $vgpr72
	s_and_saveexec_b64 s[18:19], s[0:1]
	s_xor_b64 s[18:19], exec, s[18:19]
	s_cbranch_execz .LBB69_108
; %bb.107:                              ;   in Loop: Header=BB69_2 Depth=1
	ds_read_u8 v72, v71 offset:1
.LBB69_108:                             ;   in Loop: Header=BB69_2 Depth=1
	s_or_saveexec_b64 s[18:19], s[18:19]
	v_mov_b32_e32 v73, v69
	s_xor_b64 exec, exec, s[18:19]
	s_cbranch_execz .LBB69_110
; %bb.109:                              ;   in Loop: Header=BB69_2 Depth=1
	ds_read_u8 v73, v70 offset:1
	s_waitcnt lgkmcnt(1)
	v_mov_b32_e32 v72, v68
.LBB69_110:                             ;   in Loop: Header=BB69_2 Depth=1
	s_or_b64 exec, exec, s[18:19]
	v_add_u32_e32 v75, 1, v71
	v_add_u32_e32 v74, 1, v70
	v_cndmask_b32_e64 v75, v75, v71, s[16:17]
	v_cndmask_b32_e64 v74, v70, v74, s[16:17]
	v_cmp_ge_i32_e64 s[20:21], v75, v21
	s_waitcnt lgkmcnt(0)
	v_cmp_lt_i16_sdwa s[0:1], sext(v73), sext(v72) src0_sel:BYTE_0 src1_sel:BYTE_0
	v_cmp_lt_i32_e64 s[18:19], v74, v22
	s_or_b64 s[0:1], s[20:21], s[0:1]
	s_and_b64 s[18:19], s[18:19], s[0:1]
	s_xor_b64 s[0:1], s[18:19], -1
                                        ; implicit-def: $vgpr76
	s_and_saveexec_b64 s[20:21], s[0:1]
	s_xor_b64 s[20:21], exec, s[20:21]
	s_cbranch_execz .LBB69_112
; %bb.111:                              ;   in Loop: Header=BB69_2 Depth=1
	ds_read_u8 v76, v75 offset:1
.LBB69_112:                             ;   in Loop: Header=BB69_2 Depth=1
	s_or_saveexec_b64 s[20:21], s[20:21]
	v_mov_b32_e32 v77, v73
	s_xor_b64 exec, exec, s[20:21]
	s_cbranch_execz .LBB69_114
; %bb.113:                              ;   in Loop: Header=BB69_2 Depth=1
	ds_read_u8 v77, v74 offset:1
	s_waitcnt lgkmcnt(1)
	v_mov_b32_e32 v76, v72
.LBB69_114:                             ;   in Loop: Header=BB69_2 Depth=1
	s_or_b64 exec, exec, s[20:21]
	v_add_u32_e32 v79, 1, v75
	v_add_u32_e32 v78, 1, v74
	v_cndmask_b32_e64 v79, v79, v75, s[18:19]
	v_cndmask_b32_e64 v78, v74, v78, s[18:19]
	v_cmp_ge_i32_e64 s[22:23], v79, v21
	s_waitcnt lgkmcnt(0)
	v_cmp_lt_i16_sdwa s[0:1], sext(v77), sext(v76) src0_sel:BYTE_0 src1_sel:BYTE_0
	v_cmp_lt_i32_e64 s[20:21], v78, v22
	s_or_b64 s[0:1], s[22:23], s[0:1]
	s_and_b64 s[20:21], s[20:21], s[0:1]
	s_xor_b64 s[0:1], s[20:21], -1
                                        ; implicit-def: $vgpr80
	s_and_saveexec_b64 s[22:23], s[0:1]
	s_xor_b64 s[22:23], exec, s[22:23]
	s_cbranch_execz .LBB69_116
; %bb.115:                              ;   in Loop: Header=BB69_2 Depth=1
	ds_read_u8 v80, v79 offset:1
.LBB69_116:                             ;   in Loop: Header=BB69_2 Depth=1
	s_or_saveexec_b64 s[22:23], s[22:23]
	v_mov_b32_e32 v81, v77
	s_xor_b64 exec, exec, s[22:23]
	s_cbranch_execz .LBB69_118
; %bb.117:                              ;   in Loop: Header=BB69_2 Depth=1
	ds_read_u8 v81, v78 offset:1
	s_waitcnt lgkmcnt(1)
	v_mov_b32_e32 v80, v76
.LBB69_118:                             ;   in Loop: Header=BB69_2 Depth=1
	s_or_b64 exec, exec, s[22:23]
	v_add_u32_e32 v83, 1, v79
	v_add_u32_e32 v82, 1, v78
	v_cndmask_b32_e64 v83, v83, v79, s[20:21]
	v_cndmask_b32_e64 v82, v78, v82, s[20:21]
	v_cmp_ge_i32_e64 s[24:25], v83, v21
	s_waitcnt lgkmcnt(0)
	v_cmp_lt_i16_sdwa s[0:1], sext(v81), sext(v80) src0_sel:BYTE_0 src1_sel:BYTE_0
	v_cmp_lt_i32_e64 s[22:23], v82, v22
	s_or_b64 s[0:1], s[24:25], s[0:1]
	s_and_b64 s[22:23], s[22:23], s[0:1]
	s_xor_b64 s[0:1], s[22:23], -1
                                        ; implicit-def: $vgpr84
	s_and_saveexec_b64 s[24:25], s[0:1]
	s_xor_b64 s[24:25], exec, s[24:25]
	s_cbranch_execz .LBB69_120
; %bb.119:                              ;   in Loop: Header=BB69_2 Depth=1
	ds_read_u8 v84, v83 offset:1
.LBB69_120:                             ;   in Loop: Header=BB69_2 Depth=1
	s_or_saveexec_b64 s[24:25], s[24:25]
	v_mov_b32_e32 v85, v81
	s_xor_b64 exec, exec, s[24:25]
	s_cbranch_execz .LBB69_122
; %bb.121:                              ;   in Loop: Header=BB69_2 Depth=1
	ds_read_u8 v85, v82 offset:1
	s_waitcnt lgkmcnt(1)
	v_mov_b32_e32 v84, v80
.LBB69_122:                             ;   in Loop: Header=BB69_2 Depth=1
	s_or_b64 exec, exec, s[24:25]
	v_add_u32_e32 v87, 1, v83
	v_add_u32_e32 v86, 1, v82
	v_cndmask_b32_e64 v87, v87, v83, s[22:23]
	v_cndmask_b32_e64 v86, v82, v86, s[22:23]
	v_cmp_ge_i32_e64 s[26:27], v87, v21
	s_waitcnt lgkmcnt(0)
	v_cmp_lt_i16_sdwa s[0:1], sext(v85), sext(v84) src0_sel:BYTE_0 src1_sel:BYTE_0
	v_cmp_lt_i32_e64 s[24:25], v86, v22
	s_or_b64 s[0:1], s[26:27], s[0:1]
	s_and_b64 s[24:25], s[24:25], s[0:1]
	s_xor_b64 s[0:1], s[24:25], -1
                                        ; implicit-def: $vgpr88
	s_and_saveexec_b64 s[26:27], s[0:1]
	s_xor_b64 s[26:27], exec, s[26:27]
	s_cbranch_execz .LBB69_124
; %bb.123:                              ;   in Loop: Header=BB69_2 Depth=1
	ds_read_u8 v88, v87 offset:1
.LBB69_124:                             ;   in Loop: Header=BB69_2 Depth=1
	s_or_saveexec_b64 s[26:27], s[26:27]
	v_mov_b32_e32 v89, v85
	s_xor_b64 exec, exec, s[26:27]
	s_cbranch_execz .LBB69_126
; %bb.125:                              ;   in Loop: Header=BB69_2 Depth=1
	ds_read_u8 v89, v86 offset:1
	s_waitcnt lgkmcnt(1)
	v_mov_b32_e32 v88, v84
.LBB69_126:                             ;   in Loop: Header=BB69_2 Depth=1
	s_or_b64 exec, exec, s[26:27]
	v_add_u32_e32 v92, 1, v87
	v_add_u32_e32 v90, 1, v86
	v_cndmask_b32_e64 v92, v92, v87, s[24:25]
	v_cndmask_b32_e64 v91, v86, v90, s[24:25]
	v_cmp_ge_i32_e64 s[28:29], v92, v21
	s_waitcnt lgkmcnt(0)
	v_cmp_lt_i16_sdwa s[0:1], sext(v89), sext(v88) src0_sel:BYTE_0 src1_sel:BYTE_0
	v_cmp_lt_i32_e64 s[26:27], v91, v22
	s_or_b64 s[0:1], s[28:29], s[0:1]
	s_and_b64 s[26:27], s[26:27], s[0:1]
	s_xor_b64 s[0:1], s[26:27], -1
                                        ; implicit-def: $vgpr90
	s_and_saveexec_b64 s[28:29], s[0:1]
	s_xor_b64 s[28:29], exec, s[28:29]
	s_cbranch_execz .LBB69_128
; %bb.127:                              ;   in Loop: Header=BB69_2 Depth=1
	ds_read_u8 v90, v92 offset:1
.LBB69_128:                             ;   in Loop: Header=BB69_2 Depth=1
	s_or_saveexec_b64 s[28:29], s[28:29]
	v_mov_b32_e32 v93, v89
	s_xor_b64 exec, exec, s[28:29]
	s_cbranch_execz .LBB69_130
; %bb.129:                              ;   in Loop: Header=BB69_2 Depth=1
	ds_read_u8 v93, v91 offset:1
	s_waitcnt lgkmcnt(1)
	v_mov_b32_e32 v90, v88
.LBB69_130:                             ;   in Loop: Header=BB69_2 Depth=1
	s_or_b64 exec, exec, s[28:29]
	v_add_u32_e32 v94, 1, v92
	v_cndmask_b32_e64 v88, v88, v89, s[26:27]
	v_add_u32_e32 v89, 1, v91
	v_cndmask_b32_e64 v94, v94, v92, s[26:27]
	v_cndmask_b32_e64 v89, v91, v89, s[26:27]
	;; [unrolled: 1-line block ×4, first 2 shown]
	v_cmp_ge_i32_e64 s[16:17], v94, v21
	s_waitcnt lgkmcnt(0)
	v_cmp_lt_i16_sdwa s[0:1], sext(v93), sext(v90) src0_sel:BYTE_0 src1_sel:BYTE_0
	v_lshlrev_b16_e32 v58, 8, v58
	v_cndmask_b32_e64 v66, v66, v67, s[14:15]
	v_cndmask_b32_e64 v64, v64, v65, s[14:15]
	v_cmp_lt_i32_e64 s[14:15], v89, v22
	s_or_b64 s[0:1], s[16:17], s[0:1]
	v_lshlrev_b16_e32 v63, 8, v63
	v_lshlrev_b16_e32 v60, 8, v60
	v_or_b32_sdwa v56, v56, v58 dst_sel:DWORD dst_unused:UNUSED_PAD src0_sel:BYTE_0 src1_sel:DWORD
	v_lshlrev_b16_e32 v58, 8, v59
	s_and_b64 s[14:15], s[14:15], s[0:1]
	v_or_b32_sdwa v61, v61, v63 dst_sel:DWORD dst_unused:UNUSED_PAD src0_sel:BYTE_0 src1_sel:DWORD
	v_or_b32_sdwa v60, v62, v60 dst_sel:WORD_1 dst_unused:UNUSED_PAD src0_sel:BYTE_0 src1_sel:DWORD
	v_or_b32_sdwa v57, v57, v58 dst_sel:WORD_1 dst_unused:UNUSED_PAD src0_sel:BYTE_0 src1_sel:DWORD
	v_cndmask_b32_e64 v67, v94, v89, s[14:15]
	v_or_b32_sdwa v61, v61, v60 dst_sel:DWORD dst_unused:UNUSED_PAD src0_sel:WORD_0 src1_sel:DWORD
	v_or_b32_sdwa v60, v56, v57 dst_sel:DWORD dst_unused:UNUSED_PAD src0_sel:WORD_0 src1_sel:DWORD
	v_cndmask_b32_e64 v91, v92, v91, s[26:27]
	v_cndmask_b32_e64 v84, v84, v85, s[24:25]
	;; [unrolled: 1-line block ×9, first 2 shown]
	s_barrier
	ds_write_b64 v2, v[60:61]
	s_waitcnt lgkmcnt(0)
	s_barrier
	ds_read_u8 v60, v67
	ds_read_u8 v56, v64
	;; [unrolled: 1-line block ×8, first 2 shown]
	v_lshlrev_b16_e32 v64, 8, v68
	v_or_b32_sdwa v64, v66, v64 dst_sel:DWORD dst_unused:UNUSED_PAD src0_sel:BYTE_0 src1_sel:DWORD
	v_lshlrev_b16_e32 v66, 8, v76
	v_cndmask_b32_e64 v65, v90, v93, s[14:15]
	v_or_b32_sdwa v66, v72, v66 dst_sel:WORD_1 dst_unused:UNUSED_PAD src0_sel:BYTE_0 src1_sel:DWORD
	v_lshlrev_b16_e32 v65, 8, v65
	v_or_b32_sdwa v64, v64, v66 dst_sel:DWORD dst_unused:UNUSED_PAD src0_sel:WORD_0 src1_sel:DWORD
	v_lshlrev_b16_e32 v66, 8, v84
	v_or_b32_sdwa v66, v80, v66 dst_sel:DWORD dst_unused:UNUSED_PAD src0_sel:BYTE_0 src1_sel:DWORD
	v_or_b32_sdwa v65, v88, v65 dst_sel:WORD_1 dst_unused:UNUSED_PAD src0_sel:BYTE_0 src1_sel:DWORD
	s_waitcnt lgkmcnt(0)
	v_or_b32_sdwa v65, v66, v65 dst_sel:DWORD dst_unused:UNUSED_PAD src0_sel:WORD_0 src1_sel:DWORD
	s_barrier
	ds_write_b64 v2, v[64:65]
	v_mov_b32_e32 v65, v41
	s_waitcnt lgkmcnt(0)
	s_barrier
	s_and_saveexec_b64 s[16:17], s[6:7]
	s_cbranch_execz .LBB69_134
; %bb.131:                              ;   in Loop: Header=BB69_2 Depth=1
	s_mov_b64 s[18:19], 0
	v_mov_b32_e32 v65, v41
	v_mov_b32_e32 v64, v36
.LBB69_132:                             ;   Parent Loop BB69_2 Depth=1
                                        ; =>  This Inner Loop Header: Depth=2
	v_sub_u32_e32 v66, v64, v65
	v_lshrrev_b32_e32 v67, 31, v66
	v_add_u32_e32 v66, v66, v67
	v_ashrrev_i32_e32 v66, 1, v66
	v_add_u32_e32 v66, v66, v65
	v_not_b32_e32 v68, v66
	v_add_u32_e32 v67, v11, v66
	v_add3_u32 v68, v12, v68, v23
	ds_read_i8 v67, v67
	ds_read_i8 v68, v68
	v_add_u32_e32 v69, 1, v66
	s_waitcnt lgkmcnt(0)
	v_cmp_lt_i16_e64 s[14:15], v68, v67
	s_nop 1
	v_cndmask_b32_e64 v64, v64, v66, s[14:15]
	v_cndmask_b32_e64 v65, v69, v65, s[14:15]
	v_cmp_ge_i32_e64 s[14:15], v65, v64
	s_or_b64 s[18:19], s[14:15], s[18:19]
	s_andn2_b64 exec, exec, s[18:19]
	s_cbranch_execnz .LBB69_132
; %bb.133:                              ;   in Loop: Header=BB69_2 Depth=1
	s_or_b64 exec, exec, s[18:19]
.LBB69_134:                             ;   in Loop: Header=BB69_2 Depth=1
	s_or_b64 exec, exec, s[16:17]
	v_add_u32_e32 v64, v65, v11
	v_sub_u32_e32 v65, v31, v65
	ds_read_u8 v66, v64
	ds_read_u8 v67, v65
	v_cmp_le_i32_e64 s[16:17], v23, v64
	v_cmp_gt_i32_e64 s[14:15], v24, v65
                                        ; implicit-def: $vgpr68
	s_waitcnt lgkmcnt(1)
	v_bfe_i32 v66, v66, 0, 8
	s_waitcnt lgkmcnt(0)
	v_bfe_i32 v67, v67, 0, 8
	v_cmp_lt_i16_e64 s[18:19], v67, v66
	s_or_b64 s[0:1], s[16:17], s[18:19]
	s_and_b64 s[14:15], s[14:15], s[0:1]
	s_xor_b64 s[0:1], s[14:15], -1
	s_and_saveexec_b64 s[16:17], s[0:1]
	s_xor_b64 s[16:17], exec, s[16:17]
	s_cbranch_execz .LBB69_136
; %bb.135:                              ;   in Loop: Header=BB69_2 Depth=1
	ds_read_u8 v68, v64 offset:1
.LBB69_136:                             ;   in Loop: Header=BB69_2 Depth=1
	s_or_saveexec_b64 s[16:17], s[16:17]
	v_mov_b32_e32 v69, v67
	s_xor_b64 exec, exec, s[16:17]
	s_cbranch_execz .LBB69_138
; %bb.137:                              ;   in Loop: Header=BB69_2 Depth=1
	ds_read_u8 v69, v65 offset:1
	s_waitcnt lgkmcnt(1)
	v_mov_b32_e32 v68, v66
.LBB69_138:                             ;   in Loop: Header=BB69_2 Depth=1
	s_or_b64 exec, exec, s[16:17]
	v_add_u32_e32 v71, 1, v64
	v_add_u32_e32 v70, 1, v65
	v_cndmask_b32_e64 v71, v71, v64, s[14:15]
	v_cndmask_b32_e64 v70, v65, v70, s[14:15]
	v_cmp_ge_i32_e64 s[18:19], v71, v23
	s_waitcnt lgkmcnt(0)
	v_cmp_lt_i16_sdwa s[0:1], sext(v69), sext(v68) src0_sel:BYTE_0 src1_sel:BYTE_0
	v_cmp_lt_i32_e64 s[16:17], v70, v24
	s_or_b64 s[0:1], s[18:19], s[0:1]
	s_and_b64 s[16:17], s[16:17], s[0:1]
	s_xor_b64 s[0:1], s[16:17], -1
                                        ; implicit-def: $vgpr72
	s_and_saveexec_b64 s[18:19], s[0:1]
	s_xor_b64 s[18:19], exec, s[18:19]
	s_cbranch_execz .LBB69_140
; %bb.139:                              ;   in Loop: Header=BB69_2 Depth=1
	ds_read_u8 v72, v71 offset:1
.LBB69_140:                             ;   in Loop: Header=BB69_2 Depth=1
	s_or_saveexec_b64 s[18:19], s[18:19]
	v_mov_b32_e32 v73, v69
	s_xor_b64 exec, exec, s[18:19]
	s_cbranch_execz .LBB69_142
; %bb.141:                              ;   in Loop: Header=BB69_2 Depth=1
	ds_read_u8 v73, v70 offset:1
	s_waitcnt lgkmcnt(1)
	v_mov_b32_e32 v72, v68
.LBB69_142:                             ;   in Loop: Header=BB69_2 Depth=1
	s_or_b64 exec, exec, s[18:19]
	v_add_u32_e32 v75, 1, v71
	v_add_u32_e32 v74, 1, v70
	v_cndmask_b32_e64 v75, v75, v71, s[16:17]
	v_cndmask_b32_e64 v74, v70, v74, s[16:17]
	v_cmp_ge_i32_e64 s[20:21], v75, v23
	s_waitcnt lgkmcnt(0)
	v_cmp_lt_i16_sdwa s[0:1], sext(v73), sext(v72) src0_sel:BYTE_0 src1_sel:BYTE_0
	v_cmp_lt_i32_e64 s[18:19], v74, v24
	s_or_b64 s[0:1], s[20:21], s[0:1]
	s_and_b64 s[18:19], s[18:19], s[0:1]
	s_xor_b64 s[0:1], s[18:19], -1
                                        ; implicit-def: $vgpr76
	s_and_saveexec_b64 s[20:21], s[0:1]
	s_xor_b64 s[20:21], exec, s[20:21]
	s_cbranch_execz .LBB69_144
; %bb.143:                              ;   in Loop: Header=BB69_2 Depth=1
	ds_read_u8 v76, v75 offset:1
.LBB69_144:                             ;   in Loop: Header=BB69_2 Depth=1
	s_or_saveexec_b64 s[20:21], s[20:21]
	v_mov_b32_e32 v77, v73
	s_xor_b64 exec, exec, s[20:21]
	s_cbranch_execz .LBB69_146
; %bb.145:                              ;   in Loop: Header=BB69_2 Depth=1
	ds_read_u8 v77, v74 offset:1
	s_waitcnt lgkmcnt(1)
	v_mov_b32_e32 v76, v72
.LBB69_146:                             ;   in Loop: Header=BB69_2 Depth=1
	s_or_b64 exec, exec, s[20:21]
	v_add_u32_e32 v79, 1, v75
	v_add_u32_e32 v78, 1, v74
	v_cndmask_b32_e64 v79, v79, v75, s[18:19]
	v_cndmask_b32_e64 v78, v74, v78, s[18:19]
	v_cmp_ge_i32_e64 s[22:23], v79, v23
	s_waitcnt lgkmcnt(0)
	v_cmp_lt_i16_sdwa s[0:1], sext(v77), sext(v76) src0_sel:BYTE_0 src1_sel:BYTE_0
	v_cmp_lt_i32_e64 s[20:21], v78, v24
	s_or_b64 s[0:1], s[22:23], s[0:1]
	s_and_b64 s[20:21], s[20:21], s[0:1]
	s_xor_b64 s[0:1], s[20:21], -1
                                        ; implicit-def: $vgpr80
	s_and_saveexec_b64 s[22:23], s[0:1]
	s_xor_b64 s[22:23], exec, s[22:23]
	s_cbranch_execz .LBB69_148
; %bb.147:                              ;   in Loop: Header=BB69_2 Depth=1
	ds_read_u8 v80, v79 offset:1
.LBB69_148:                             ;   in Loop: Header=BB69_2 Depth=1
	s_or_saveexec_b64 s[22:23], s[22:23]
	v_mov_b32_e32 v81, v77
	s_xor_b64 exec, exec, s[22:23]
	s_cbranch_execz .LBB69_150
; %bb.149:                              ;   in Loop: Header=BB69_2 Depth=1
	ds_read_u8 v81, v78 offset:1
	s_waitcnt lgkmcnt(1)
	v_mov_b32_e32 v80, v76
.LBB69_150:                             ;   in Loop: Header=BB69_2 Depth=1
	s_or_b64 exec, exec, s[22:23]
	v_add_u32_e32 v83, 1, v79
	v_add_u32_e32 v82, 1, v78
	v_cndmask_b32_e64 v83, v83, v79, s[20:21]
	v_cndmask_b32_e64 v82, v78, v82, s[20:21]
	v_cmp_ge_i32_e64 s[24:25], v83, v23
	s_waitcnt lgkmcnt(0)
	v_cmp_lt_i16_sdwa s[0:1], sext(v81), sext(v80) src0_sel:BYTE_0 src1_sel:BYTE_0
	v_cmp_lt_i32_e64 s[22:23], v82, v24
	s_or_b64 s[0:1], s[24:25], s[0:1]
	s_and_b64 s[22:23], s[22:23], s[0:1]
	s_xor_b64 s[0:1], s[22:23], -1
                                        ; implicit-def: $vgpr84
	s_and_saveexec_b64 s[24:25], s[0:1]
	s_xor_b64 s[24:25], exec, s[24:25]
	s_cbranch_execz .LBB69_152
; %bb.151:                              ;   in Loop: Header=BB69_2 Depth=1
	ds_read_u8 v84, v83 offset:1
.LBB69_152:                             ;   in Loop: Header=BB69_2 Depth=1
	s_or_saveexec_b64 s[24:25], s[24:25]
	v_mov_b32_e32 v85, v81
	s_xor_b64 exec, exec, s[24:25]
	s_cbranch_execz .LBB69_154
; %bb.153:                              ;   in Loop: Header=BB69_2 Depth=1
	ds_read_u8 v85, v82 offset:1
	s_waitcnt lgkmcnt(1)
	v_mov_b32_e32 v84, v80
.LBB69_154:                             ;   in Loop: Header=BB69_2 Depth=1
	s_or_b64 exec, exec, s[24:25]
	v_add_u32_e32 v87, 1, v83
	v_add_u32_e32 v86, 1, v82
	v_cndmask_b32_e64 v87, v87, v83, s[22:23]
	v_cndmask_b32_e64 v86, v82, v86, s[22:23]
	v_cmp_ge_i32_e64 s[26:27], v87, v23
	s_waitcnt lgkmcnt(0)
	v_cmp_lt_i16_sdwa s[0:1], sext(v85), sext(v84) src0_sel:BYTE_0 src1_sel:BYTE_0
	v_cmp_lt_i32_e64 s[24:25], v86, v24
	s_or_b64 s[0:1], s[26:27], s[0:1]
	s_and_b64 s[24:25], s[24:25], s[0:1]
	s_xor_b64 s[0:1], s[24:25], -1
                                        ; implicit-def: $vgpr88
	s_and_saveexec_b64 s[26:27], s[0:1]
	s_xor_b64 s[26:27], exec, s[26:27]
	s_cbranch_execz .LBB69_156
; %bb.155:                              ;   in Loop: Header=BB69_2 Depth=1
	ds_read_u8 v88, v87 offset:1
.LBB69_156:                             ;   in Loop: Header=BB69_2 Depth=1
	s_or_saveexec_b64 s[26:27], s[26:27]
	v_mov_b32_e32 v89, v85
	s_xor_b64 exec, exec, s[26:27]
	s_cbranch_execz .LBB69_158
; %bb.157:                              ;   in Loop: Header=BB69_2 Depth=1
	ds_read_u8 v89, v86 offset:1
	s_waitcnt lgkmcnt(1)
	v_mov_b32_e32 v88, v84
.LBB69_158:                             ;   in Loop: Header=BB69_2 Depth=1
	s_or_b64 exec, exec, s[26:27]
	v_add_u32_e32 v92, 1, v87
	v_add_u32_e32 v90, 1, v86
	v_cndmask_b32_e64 v92, v92, v87, s[24:25]
	v_cndmask_b32_e64 v91, v86, v90, s[24:25]
	v_cmp_ge_i32_e64 s[28:29], v92, v23
	s_waitcnt lgkmcnt(0)
	v_cmp_lt_i16_sdwa s[0:1], sext(v89), sext(v88) src0_sel:BYTE_0 src1_sel:BYTE_0
	v_cmp_lt_i32_e64 s[26:27], v91, v24
	s_or_b64 s[0:1], s[28:29], s[0:1]
	s_and_b64 s[26:27], s[26:27], s[0:1]
	s_xor_b64 s[0:1], s[26:27], -1
                                        ; implicit-def: $vgpr90
	s_and_saveexec_b64 s[28:29], s[0:1]
	s_xor_b64 s[28:29], exec, s[28:29]
	s_cbranch_execz .LBB69_160
; %bb.159:                              ;   in Loop: Header=BB69_2 Depth=1
	ds_read_u8 v90, v92 offset:1
.LBB69_160:                             ;   in Loop: Header=BB69_2 Depth=1
	s_or_saveexec_b64 s[28:29], s[28:29]
	v_mov_b32_e32 v93, v89
	s_xor_b64 exec, exec, s[28:29]
	s_cbranch_execz .LBB69_162
; %bb.161:                              ;   in Loop: Header=BB69_2 Depth=1
	ds_read_u8 v93, v91 offset:1
	s_waitcnt lgkmcnt(1)
	v_mov_b32_e32 v90, v88
.LBB69_162:                             ;   in Loop: Header=BB69_2 Depth=1
	s_or_b64 exec, exec, s[28:29]
	v_add_u32_e32 v94, 1, v92
	v_cndmask_b32_e64 v88, v88, v89, s[26:27]
	v_add_u32_e32 v89, 1, v91
	v_cndmask_b32_e64 v94, v94, v92, s[26:27]
	v_cndmask_b32_e64 v89, v91, v89, s[26:27]
	;; [unrolled: 1-line block ×4, first 2 shown]
	v_cmp_ge_i32_e64 s[16:17], v94, v23
	s_waitcnt lgkmcnt(0)
	v_cmp_lt_i16_sdwa s[0:1], sext(v93), sext(v90) src0_sel:BYTE_0 src1_sel:BYTE_0
	v_lshlrev_b16_e32 v58, 8, v58
	v_cndmask_b32_e64 v66, v66, v67, s[14:15]
	v_cndmask_b32_e64 v64, v64, v65, s[14:15]
	v_cmp_lt_i32_e64 s[14:15], v89, v24
	s_or_b64 s[0:1], s[16:17], s[0:1]
	v_lshlrev_b16_e32 v63, 8, v63
	v_lshlrev_b16_e32 v60, 8, v60
	v_or_b32_sdwa v56, v56, v58 dst_sel:DWORD dst_unused:UNUSED_PAD src0_sel:BYTE_0 src1_sel:DWORD
	v_lshlrev_b16_e32 v58, 8, v59
	s_and_b64 s[14:15], s[14:15], s[0:1]
	v_or_b32_sdwa v61, v61, v63 dst_sel:DWORD dst_unused:UNUSED_PAD src0_sel:BYTE_0 src1_sel:DWORD
	v_or_b32_sdwa v60, v62, v60 dst_sel:WORD_1 dst_unused:UNUSED_PAD src0_sel:BYTE_0 src1_sel:DWORD
	v_or_b32_sdwa v57, v57, v58 dst_sel:WORD_1 dst_unused:UNUSED_PAD src0_sel:BYTE_0 src1_sel:DWORD
	v_cndmask_b32_e64 v67, v94, v89, s[14:15]
	v_or_b32_sdwa v61, v61, v60 dst_sel:DWORD dst_unused:UNUSED_PAD src0_sel:WORD_0 src1_sel:DWORD
	v_or_b32_sdwa v60, v56, v57 dst_sel:DWORD dst_unused:UNUSED_PAD src0_sel:WORD_0 src1_sel:DWORD
	v_cndmask_b32_e64 v91, v92, v91, s[26:27]
	v_cndmask_b32_e64 v84, v84, v85, s[24:25]
	;; [unrolled: 1-line block ×9, first 2 shown]
	s_barrier
	ds_write_b64 v2, v[60:61]
	s_waitcnt lgkmcnt(0)
	s_barrier
	ds_read_u8 v60, v67
	ds_read_u8 v56, v64
	;; [unrolled: 1-line block ×8, first 2 shown]
	v_lshlrev_b16_e32 v64, 8, v68
	v_or_b32_sdwa v64, v66, v64 dst_sel:DWORD dst_unused:UNUSED_PAD src0_sel:BYTE_0 src1_sel:DWORD
	v_lshlrev_b16_e32 v66, 8, v76
	v_cndmask_b32_e64 v65, v90, v93, s[14:15]
	v_or_b32_sdwa v66, v72, v66 dst_sel:WORD_1 dst_unused:UNUSED_PAD src0_sel:BYTE_0 src1_sel:DWORD
	v_lshlrev_b16_e32 v65, 8, v65
	v_or_b32_sdwa v64, v64, v66 dst_sel:DWORD dst_unused:UNUSED_PAD src0_sel:WORD_0 src1_sel:DWORD
	v_lshlrev_b16_e32 v66, 8, v84
	v_or_b32_sdwa v66, v80, v66 dst_sel:DWORD dst_unused:UNUSED_PAD src0_sel:BYTE_0 src1_sel:DWORD
	v_or_b32_sdwa v65, v88, v65 dst_sel:WORD_1 dst_unused:UNUSED_PAD src0_sel:BYTE_0 src1_sel:DWORD
	s_waitcnt lgkmcnt(0)
	v_or_b32_sdwa v65, v66, v65 dst_sel:DWORD dst_unused:UNUSED_PAD src0_sel:WORD_0 src1_sel:DWORD
	s_barrier
	ds_write_b64 v2, v[64:65]
	v_mov_b32_e32 v65, v42
	s_waitcnt lgkmcnt(0)
	s_barrier
	s_and_saveexec_b64 s[16:17], s[8:9]
	s_cbranch_execz .LBB69_166
; %bb.163:                              ;   in Loop: Header=BB69_2 Depth=1
	s_mov_b64 s[18:19], 0
	v_mov_b32_e32 v65, v42
	v_mov_b32_e32 v64, v43
.LBB69_164:                             ;   Parent Loop BB69_2 Depth=1
                                        ; =>  This Inner Loop Header: Depth=2
	v_sub_u32_e32 v66, v64, v65
	v_lshrrev_b32_e32 v67, 31, v66
	v_add_u32_e32 v66, v66, v67
	v_ashrrev_i32_e32 v66, 1, v66
	v_add_u32_e32 v66, v66, v65
	v_not_b32_e32 v68, v66
	v_add_u32_e32 v67, v13, v66
	v_add3_u32 v68, v14, v68, v25
	ds_read_i8 v67, v67
	ds_read_i8 v68, v68
	v_add_u32_e32 v69, 1, v66
	s_waitcnt lgkmcnt(0)
	v_cmp_lt_i16_e64 s[14:15], v68, v67
	s_nop 1
	v_cndmask_b32_e64 v64, v64, v66, s[14:15]
	v_cndmask_b32_e64 v65, v69, v65, s[14:15]
	v_cmp_ge_i32_e64 s[14:15], v65, v64
	s_or_b64 s[18:19], s[14:15], s[18:19]
	s_andn2_b64 exec, exec, s[18:19]
	s_cbranch_execnz .LBB69_164
; %bb.165:                              ;   in Loop: Header=BB69_2 Depth=1
	s_or_b64 exec, exec, s[18:19]
.LBB69_166:                             ;   in Loop: Header=BB69_2 Depth=1
	s_or_b64 exec, exec, s[16:17]
	v_add_u32_e32 v64, v65, v13
	v_sub_u32_e32 v65, v44, v65
	ds_read_u8 v66, v64
	ds_read_u8 v67, v65
	v_cmp_le_i32_e64 s[16:17], v25, v64
	v_cmp_gt_i32_e64 s[14:15], v26, v65
                                        ; implicit-def: $vgpr68
	s_waitcnt lgkmcnt(1)
	v_bfe_i32 v66, v66, 0, 8
	s_waitcnt lgkmcnt(0)
	v_bfe_i32 v67, v67, 0, 8
	v_cmp_lt_i16_e64 s[18:19], v67, v66
	s_or_b64 s[0:1], s[16:17], s[18:19]
	s_and_b64 s[14:15], s[14:15], s[0:1]
	s_xor_b64 s[0:1], s[14:15], -1
	s_and_saveexec_b64 s[16:17], s[0:1]
	s_xor_b64 s[16:17], exec, s[16:17]
	s_cbranch_execz .LBB69_168
; %bb.167:                              ;   in Loop: Header=BB69_2 Depth=1
	ds_read_u8 v68, v64 offset:1
.LBB69_168:                             ;   in Loop: Header=BB69_2 Depth=1
	s_or_saveexec_b64 s[16:17], s[16:17]
	v_mov_b32_e32 v69, v67
	s_xor_b64 exec, exec, s[16:17]
	s_cbranch_execz .LBB69_170
; %bb.169:                              ;   in Loop: Header=BB69_2 Depth=1
	ds_read_u8 v69, v65 offset:1
	s_waitcnt lgkmcnt(1)
	v_mov_b32_e32 v68, v66
.LBB69_170:                             ;   in Loop: Header=BB69_2 Depth=1
	s_or_b64 exec, exec, s[16:17]
	v_add_u32_e32 v71, 1, v64
	v_add_u32_e32 v70, 1, v65
	v_cndmask_b32_e64 v71, v71, v64, s[14:15]
	v_cndmask_b32_e64 v70, v65, v70, s[14:15]
	v_cmp_ge_i32_e64 s[18:19], v71, v25
	s_waitcnt lgkmcnt(0)
	v_cmp_lt_i16_sdwa s[0:1], sext(v69), sext(v68) src0_sel:BYTE_0 src1_sel:BYTE_0
	v_cmp_lt_i32_e64 s[16:17], v70, v26
	s_or_b64 s[0:1], s[18:19], s[0:1]
	s_and_b64 s[16:17], s[16:17], s[0:1]
	s_xor_b64 s[0:1], s[16:17], -1
                                        ; implicit-def: $vgpr72
	s_and_saveexec_b64 s[18:19], s[0:1]
	s_xor_b64 s[18:19], exec, s[18:19]
	s_cbranch_execz .LBB69_172
; %bb.171:                              ;   in Loop: Header=BB69_2 Depth=1
	ds_read_u8 v72, v71 offset:1
.LBB69_172:                             ;   in Loop: Header=BB69_2 Depth=1
	s_or_saveexec_b64 s[18:19], s[18:19]
	v_mov_b32_e32 v73, v69
	s_xor_b64 exec, exec, s[18:19]
	s_cbranch_execz .LBB69_174
; %bb.173:                              ;   in Loop: Header=BB69_2 Depth=1
	ds_read_u8 v73, v70 offset:1
	s_waitcnt lgkmcnt(1)
	v_mov_b32_e32 v72, v68
.LBB69_174:                             ;   in Loop: Header=BB69_2 Depth=1
	s_or_b64 exec, exec, s[18:19]
	v_add_u32_e32 v75, 1, v71
	v_add_u32_e32 v74, 1, v70
	v_cndmask_b32_e64 v75, v75, v71, s[16:17]
	v_cndmask_b32_e64 v74, v70, v74, s[16:17]
	v_cmp_ge_i32_e64 s[20:21], v75, v25
	s_waitcnt lgkmcnt(0)
	v_cmp_lt_i16_sdwa s[0:1], sext(v73), sext(v72) src0_sel:BYTE_0 src1_sel:BYTE_0
	v_cmp_lt_i32_e64 s[18:19], v74, v26
	s_or_b64 s[0:1], s[20:21], s[0:1]
	s_and_b64 s[18:19], s[18:19], s[0:1]
	s_xor_b64 s[0:1], s[18:19], -1
                                        ; implicit-def: $vgpr76
	s_and_saveexec_b64 s[20:21], s[0:1]
	s_xor_b64 s[20:21], exec, s[20:21]
	s_cbranch_execz .LBB69_176
; %bb.175:                              ;   in Loop: Header=BB69_2 Depth=1
	ds_read_u8 v76, v75 offset:1
.LBB69_176:                             ;   in Loop: Header=BB69_2 Depth=1
	s_or_saveexec_b64 s[20:21], s[20:21]
	v_mov_b32_e32 v77, v73
	s_xor_b64 exec, exec, s[20:21]
	s_cbranch_execz .LBB69_178
; %bb.177:                              ;   in Loop: Header=BB69_2 Depth=1
	ds_read_u8 v77, v74 offset:1
	s_waitcnt lgkmcnt(1)
	v_mov_b32_e32 v76, v72
.LBB69_178:                             ;   in Loop: Header=BB69_2 Depth=1
	s_or_b64 exec, exec, s[20:21]
	v_add_u32_e32 v79, 1, v75
	v_add_u32_e32 v78, 1, v74
	v_cndmask_b32_e64 v79, v79, v75, s[18:19]
	v_cndmask_b32_e64 v78, v74, v78, s[18:19]
	v_cmp_ge_i32_e64 s[22:23], v79, v25
	s_waitcnt lgkmcnt(0)
	v_cmp_lt_i16_sdwa s[0:1], sext(v77), sext(v76) src0_sel:BYTE_0 src1_sel:BYTE_0
	v_cmp_lt_i32_e64 s[20:21], v78, v26
	s_or_b64 s[0:1], s[22:23], s[0:1]
	s_and_b64 s[20:21], s[20:21], s[0:1]
	s_xor_b64 s[0:1], s[20:21], -1
                                        ; implicit-def: $vgpr80
	s_and_saveexec_b64 s[22:23], s[0:1]
	s_xor_b64 s[22:23], exec, s[22:23]
	s_cbranch_execz .LBB69_180
; %bb.179:                              ;   in Loop: Header=BB69_2 Depth=1
	ds_read_u8 v80, v79 offset:1
.LBB69_180:                             ;   in Loop: Header=BB69_2 Depth=1
	s_or_saveexec_b64 s[22:23], s[22:23]
	v_mov_b32_e32 v81, v77
	s_xor_b64 exec, exec, s[22:23]
	s_cbranch_execz .LBB69_182
; %bb.181:                              ;   in Loop: Header=BB69_2 Depth=1
	ds_read_u8 v81, v78 offset:1
	s_waitcnt lgkmcnt(1)
	v_mov_b32_e32 v80, v76
.LBB69_182:                             ;   in Loop: Header=BB69_2 Depth=1
	s_or_b64 exec, exec, s[22:23]
	v_add_u32_e32 v83, 1, v79
	v_add_u32_e32 v82, 1, v78
	v_cndmask_b32_e64 v83, v83, v79, s[20:21]
	v_cndmask_b32_e64 v82, v78, v82, s[20:21]
	v_cmp_ge_i32_e64 s[24:25], v83, v25
	s_waitcnt lgkmcnt(0)
	v_cmp_lt_i16_sdwa s[0:1], sext(v81), sext(v80) src0_sel:BYTE_0 src1_sel:BYTE_0
	v_cmp_lt_i32_e64 s[22:23], v82, v26
	s_or_b64 s[0:1], s[24:25], s[0:1]
	s_and_b64 s[22:23], s[22:23], s[0:1]
	s_xor_b64 s[0:1], s[22:23], -1
                                        ; implicit-def: $vgpr84
	s_and_saveexec_b64 s[24:25], s[0:1]
	s_xor_b64 s[24:25], exec, s[24:25]
	s_cbranch_execz .LBB69_184
; %bb.183:                              ;   in Loop: Header=BB69_2 Depth=1
	ds_read_u8 v84, v83 offset:1
.LBB69_184:                             ;   in Loop: Header=BB69_2 Depth=1
	s_or_saveexec_b64 s[24:25], s[24:25]
	v_mov_b32_e32 v85, v81
	s_xor_b64 exec, exec, s[24:25]
	s_cbranch_execz .LBB69_186
; %bb.185:                              ;   in Loop: Header=BB69_2 Depth=1
	ds_read_u8 v85, v82 offset:1
	s_waitcnt lgkmcnt(1)
	v_mov_b32_e32 v84, v80
.LBB69_186:                             ;   in Loop: Header=BB69_2 Depth=1
	s_or_b64 exec, exec, s[24:25]
	v_add_u32_e32 v87, 1, v83
	v_add_u32_e32 v86, 1, v82
	v_cndmask_b32_e64 v87, v87, v83, s[22:23]
	v_cndmask_b32_e64 v86, v82, v86, s[22:23]
	v_cmp_ge_i32_e64 s[26:27], v87, v25
	s_waitcnt lgkmcnt(0)
	v_cmp_lt_i16_sdwa s[0:1], sext(v85), sext(v84) src0_sel:BYTE_0 src1_sel:BYTE_0
	v_cmp_lt_i32_e64 s[24:25], v86, v26
	s_or_b64 s[0:1], s[26:27], s[0:1]
	s_and_b64 s[24:25], s[24:25], s[0:1]
	s_xor_b64 s[0:1], s[24:25], -1
                                        ; implicit-def: $vgpr88
	s_and_saveexec_b64 s[26:27], s[0:1]
	s_xor_b64 s[26:27], exec, s[26:27]
	s_cbranch_execz .LBB69_188
; %bb.187:                              ;   in Loop: Header=BB69_2 Depth=1
	ds_read_u8 v88, v87 offset:1
.LBB69_188:                             ;   in Loop: Header=BB69_2 Depth=1
	s_or_saveexec_b64 s[26:27], s[26:27]
	v_mov_b32_e32 v89, v85
	s_xor_b64 exec, exec, s[26:27]
	s_cbranch_execz .LBB69_190
; %bb.189:                              ;   in Loop: Header=BB69_2 Depth=1
	ds_read_u8 v89, v86 offset:1
	s_waitcnt lgkmcnt(1)
	v_mov_b32_e32 v88, v84
.LBB69_190:                             ;   in Loop: Header=BB69_2 Depth=1
	s_or_b64 exec, exec, s[26:27]
	v_add_u32_e32 v92, 1, v87
	v_add_u32_e32 v90, 1, v86
	v_cndmask_b32_e64 v92, v92, v87, s[24:25]
	v_cndmask_b32_e64 v91, v86, v90, s[24:25]
	v_cmp_ge_i32_e64 s[28:29], v92, v25
	s_waitcnt lgkmcnt(0)
	v_cmp_lt_i16_sdwa s[0:1], sext(v89), sext(v88) src0_sel:BYTE_0 src1_sel:BYTE_0
	v_cmp_lt_i32_e64 s[26:27], v91, v26
	s_or_b64 s[0:1], s[28:29], s[0:1]
	s_and_b64 s[26:27], s[26:27], s[0:1]
	s_xor_b64 s[0:1], s[26:27], -1
                                        ; implicit-def: $vgpr90
	s_and_saveexec_b64 s[28:29], s[0:1]
	s_xor_b64 s[28:29], exec, s[28:29]
	s_cbranch_execz .LBB69_192
; %bb.191:                              ;   in Loop: Header=BB69_2 Depth=1
	ds_read_u8 v90, v92 offset:1
.LBB69_192:                             ;   in Loop: Header=BB69_2 Depth=1
	s_or_saveexec_b64 s[28:29], s[28:29]
	v_mov_b32_e32 v93, v89
	s_xor_b64 exec, exec, s[28:29]
	s_cbranch_execz .LBB69_194
; %bb.193:                              ;   in Loop: Header=BB69_2 Depth=1
	ds_read_u8 v93, v91 offset:1
	s_waitcnt lgkmcnt(1)
	v_mov_b32_e32 v90, v88
.LBB69_194:                             ;   in Loop: Header=BB69_2 Depth=1
	s_or_b64 exec, exec, s[28:29]
	v_add_u32_e32 v94, 1, v92
	v_cndmask_b32_e64 v88, v88, v89, s[26:27]
	v_add_u32_e32 v89, 1, v91
	v_cndmask_b32_e64 v94, v94, v92, s[26:27]
	v_cndmask_b32_e64 v89, v91, v89, s[26:27]
	;; [unrolled: 1-line block ×4, first 2 shown]
	v_cmp_ge_i32_e64 s[16:17], v94, v25
	s_waitcnt lgkmcnt(0)
	v_cmp_lt_i16_sdwa s[0:1], sext(v93), sext(v90) src0_sel:BYTE_0 src1_sel:BYTE_0
	v_lshlrev_b16_e32 v58, 8, v58
	v_cndmask_b32_e64 v66, v66, v67, s[14:15]
	v_cndmask_b32_e64 v64, v64, v65, s[14:15]
	v_cmp_lt_i32_e64 s[14:15], v89, v26
	s_or_b64 s[0:1], s[16:17], s[0:1]
	v_lshlrev_b16_e32 v63, 8, v63
	v_lshlrev_b16_e32 v60, 8, v60
	v_or_b32_sdwa v56, v56, v58 dst_sel:DWORD dst_unused:UNUSED_PAD src0_sel:BYTE_0 src1_sel:DWORD
	v_lshlrev_b16_e32 v58, 8, v59
	s_and_b64 s[14:15], s[14:15], s[0:1]
	v_or_b32_sdwa v61, v61, v63 dst_sel:DWORD dst_unused:UNUSED_PAD src0_sel:BYTE_0 src1_sel:DWORD
	v_or_b32_sdwa v60, v62, v60 dst_sel:WORD_1 dst_unused:UNUSED_PAD src0_sel:BYTE_0 src1_sel:DWORD
	v_or_b32_sdwa v57, v57, v58 dst_sel:WORD_1 dst_unused:UNUSED_PAD src0_sel:BYTE_0 src1_sel:DWORD
	v_cndmask_b32_e64 v67, v94, v89, s[14:15]
	v_or_b32_sdwa v61, v61, v60 dst_sel:DWORD dst_unused:UNUSED_PAD src0_sel:WORD_0 src1_sel:DWORD
	v_or_b32_sdwa v60, v56, v57 dst_sel:DWORD dst_unused:UNUSED_PAD src0_sel:WORD_0 src1_sel:DWORD
	v_cndmask_b32_e64 v91, v92, v91, s[26:27]
	v_cndmask_b32_e64 v84, v84, v85, s[24:25]
	v_cndmask_b32_e64 v85, v87, v86, s[24:25]
	v_cndmask_b32_e64 v80, v80, v81, s[22:23]
	v_cndmask_b32_e64 v81, v83, v82, s[22:23]
	v_cndmask_b32_e64 v76, v76, v77, s[20:21]
	v_cndmask_b32_e64 v77, v79, v78, s[20:21]
	v_cndmask_b32_e64 v72, v72, v73, s[18:19]
	v_cndmask_b32_e64 v73, v75, v74, s[18:19]
	s_barrier
	ds_write_b64 v2, v[60:61]
	s_waitcnt lgkmcnt(0)
	s_barrier
	ds_read_u8 v60, v67
	ds_read_u8 v56, v64
	;; [unrolled: 1-line block ×8, first 2 shown]
	v_lshlrev_b16_e32 v64, 8, v68
	v_or_b32_sdwa v64, v66, v64 dst_sel:DWORD dst_unused:UNUSED_PAD src0_sel:BYTE_0 src1_sel:DWORD
	v_lshlrev_b16_e32 v66, 8, v76
	v_cndmask_b32_e64 v65, v90, v93, s[14:15]
	v_or_b32_sdwa v66, v72, v66 dst_sel:WORD_1 dst_unused:UNUSED_PAD src0_sel:BYTE_0 src1_sel:DWORD
	v_lshlrev_b16_e32 v65, 8, v65
	v_or_b32_sdwa v64, v64, v66 dst_sel:DWORD dst_unused:UNUSED_PAD src0_sel:WORD_0 src1_sel:DWORD
	v_lshlrev_b16_e32 v66, 8, v84
	v_or_b32_sdwa v66, v80, v66 dst_sel:DWORD dst_unused:UNUSED_PAD src0_sel:BYTE_0 src1_sel:DWORD
	v_or_b32_sdwa v65, v88, v65 dst_sel:WORD_1 dst_unused:UNUSED_PAD src0_sel:BYTE_0 src1_sel:DWORD
	s_waitcnt lgkmcnt(0)
	v_or_b32_sdwa v65, v66, v65 dst_sel:DWORD dst_unused:UNUSED_PAD src0_sel:WORD_0 src1_sel:DWORD
	s_barrier
	ds_write_b64 v2, v[64:65]
	v_mov_b32_e32 v65, v50
	s_waitcnt lgkmcnt(0)
	s_barrier
	s_and_saveexec_b64 s[16:17], s[10:11]
	s_cbranch_execz .LBB69_198
; %bb.195:                              ;   in Loop: Header=BB69_2 Depth=1
	s_mov_b64 s[18:19], 0
	v_mov_b32_e32 v65, v50
	v_mov_b32_e32 v64, v51
.LBB69_196:                             ;   Parent Loop BB69_2 Depth=1
                                        ; =>  This Inner Loop Header: Depth=2
	v_sub_u32_e32 v66, v64, v65
	v_lshrrev_b32_e32 v67, 31, v66
	v_add_u32_e32 v66, v66, v67
	v_ashrrev_i32_e32 v66, 1, v66
	v_add_u32_e32 v66, v66, v65
	v_not_b32_e32 v68, v66
	v_add_u32_e32 v67, v46, v66
	v_add3_u32 v68, v47, v68, v48
	ds_read_i8 v67, v67
	ds_read_i8 v68, v68
	v_add_u32_e32 v69, 1, v66
	s_waitcnt lgkmcnt(0)
	v_cmp_lt_i16_e64 s[14:15], v68, v67
	s_nop 1
	v_cndmask_b32_e64 v64, v64, v66, s[14:15]
	v_cndmask_b32_e64 v65, v69, v65, s[14:15]
	v_cmp_ge_i32_e64 s[14:15], v65, v64
	s_or_b64 s[18:19], s[14:15], s[18:19]
	s_andn2_b64 exec, exec, s[18:19]
	s_cbranch_execnz .LBB69_196
; %bb.197:                              ;   in Loop: Header=BB69_2 Depth=1
	s_or_b64 exec, exec, s[18:19]
.LBB69_198:                             ;   in Loop: Header=BB69_2 Depth=1
	s_or_b64 exec, exec, s[16:17]
	v_add_u32_e32 v64, v65, v46
	v_sub_u32_e32 v65, v52, v65
	ds_read_u8 v66, v64
	ds_read_u8 v67, v65
	v_cmp_le_i32_e64 s[16:17], v48, v64
	v_cmp_gt_i32_e64 s[14:15], v49, v65
                                        ; implicit-def: $vgpr68
	s_waitcnt lgkmcnt(1)
	v_bfe_i32 v66, v66, 0, 8
	s_waitcnt lgkmcnt(0)
	v_bfe_i32 v67, v67, 0, 8
	v_cmp_lt_i16_e64 s[18:19], v67, v66
	s_or_b64 s[0:1], s[16:17], s[18:19]
	s_and_b64 s[14:15], s[14:15], s[0:1]
	s_xor_b64 s[0:1], s[14:15], -1
	s_and_saveexec_b64 s[16:17], s[0:1]
	s_xor_b64 s[16:17], exec, s[16:17]
	s_cbranch_execz .LBB69_200
; %bb.199:                              ;   in Loop: Header=BB69_2 Depth=1
	ds_read_u8 v68, v64 offset:1
.LBB69_200:                             ;   in Loop: Header=BB69_2 Depth=1
	s_or_saveexec_b64 s[16:17], s[16:17]
	v_mov_b32_e32 v69, v67
	s_xor_b64 exec, exec, s[16:17]
	s_cbranch_execz .LBB69_202
; %bb.201:                              ;   in Loop: Header=BB69_2 Depth=1
	ds_read_u8 v69, v65 offset:1
	s_waitcnt lgkmcnt(1)
	v_mov_b32_e32 v68, v66
.LBB69_202:                             ;   in Loop: Header=BB69_2 Depth=1
	s_or_b64 exec, exec, s[16:17]
	v_add_u32_e32 v71, 1, v64
	v_add_u32_e32 v70, 1, v65
	v_cndmask_b32_e64 v71, v71, v64, s[14:15]
	v_cndmask_b32_e64 v70, v65, v70, s[14:15]
	v_cmp_ge_i32_e64 s[18:19], v71, v48
	s_waitcnt lgkmcnt(0)
	v_cmp_lt_i16_sdwa s[0:1], sext(v69), sext(v68) src0_sel:BYTE_0 src1_sel:BYTE_0
	v_cmp_lt_i32_e64 s[16:17], v70, v49
	s_or_b64 s[0:1], s[18:19], s[0:1]
	s_and_b64 s[16:17], s[16:17], s[0:1]
	s_xor_b64 s[0:1], s[16:17], -1
                                        ; implicit-def: $vgpr72
	s_and_saveexec_b64 s[18:19], s[0:1]
	s_xor_b64 s[18:19], exec, s[18:19]
	s_cbranch_execz .LBB69_204
; %bb.203:                              ;   in Loop: Header=BB69_2 Depth=1
	ds_read_u8 v72, v71 offset:1
.LBB69_204:                             ;   in Loop: Header=BB69_2 Depth=1
	s_or_saveexec_b64 s[18:19], s[18:19]
	v_mov_b32_e32 v73, v69
	s_xor_b64 exec, exec, s[18:19]
	s_cbranch_execz .LBB69_206
; %bb.205:                              ;   in Loop: Header=BB69_2 Depth=1
	ds_read_u8 v73, v70 offset:1
	s_waitcnt lgkmcnt(1)
	v_mov_b32_e32 v72, v68
.LBB69_206:                             ;   in Loop: Header=BB69_2 Depth=1
	s_or_b64 exec, exec, s[18:19]
	v_add_u32_e32 v75, 1, v71
	v_add_u32_e32 v74, 1, v70
	v_cndmask_b32_e64 v75, v75, v71, s[16:17]
	v_cndmask_b32_e64 v74, v70, v74, s[16:17]
	v_cmp_ge_i32_e64 s[20:21], v75, v48
	s_waitcnt lgkmcnt(0)
	v_cmp_lt_i16_sdwa s[0:1], sext(v73), sext(v72) src0_sel:BYTE_0 src1_sel:BYTE_0
	v_cmp_lt_i32_e64 s[18:19], v74, v49
	s_or_b64 s[0:1], s[20:21], s[0:1]
	s_and_b64 s[18:19], s[18:19], s[0:1]
	s_xor_b64 s[0:1], s[18:19], -1
                                        ; implicit-def: $vgpr76
	s_and_saveexec_b64 s[20:21], s[0:1]
	s_xor_b64 s[20:21], exec, s[20:21]
	s_cbranch_execz .LBB69_208
; %bb.207:                              ;   in Loop: Header=BB69_2 Depth=1
	ds_read_u8 v76, v75 offset:1
.LBB69_208:                             ;   in Loop: Header=BB69_2 Depth=1
	s_or_saveexec_b64 s[20:21], s[20:21]
	v_mov_b32_e32 v77, v73
	s_xor_b64 exec, exec, s[20:21]
	s_cbranch_execz .LBB69_210
; %bb.209:                              ;   in Loop: Header=BB69_2 Depth=1
	ds_read_u8 v77, v74 offset:1
	s_waitcnt lgkmcnt(1)
	v_mov_b32_e32 v76, v72
.LBB69_210:                             ;   in Loop: Header=BB69_2 Depth=1
	s_or_b64 exec, exec, s[20:21]
	v_add_u32_e32 v79, 1, v75
	v_add_u32_e32 v78, 1, v74
	v_cndmask_b32_e64 v79, v79, v75, s[18:19]
	v_cndmask_b32_e64 v78, v74, v78, s[18:19]
	v_cmp_ge_i32_e64 s[22:23], v79, v48
	s_waitcnt lgkmcnt(0)
	v_cmp_lt_i16_sdwa s[0:1], sext(v77), sext(v76) src0_sel:BYTE_0 src1_sel:BYTE_0
	v_cmp_lt_i32_e64 s[20:21], v78, v49
	s_or_b64 s[0:1], s[22:23], s[0:1]
	s_and_b64 s[20:21], s[20:21], s[0:1]
	s_xor_b64 s[0:1], s[20:21], -1
                                        ; implicit-def: $vgpr80
	s_and_saveexec_b64 s[22:23], s[0:1]
	s_xor_b64 s[22:23], exec, s[22:23]
	s_cbranch_execz .LBB69_212
; %bb.211:                              ;   in Loop: Header=BB69_2 Depth=1
	ds_read_u8 v80, v79 offset:1
.LBB69_212:                             ;   in Loop: Header=BB69_2 Depth=1
	s_or_saveexec_b64 s[22:23], s[22:23]
	v_mov_b32_e32 v81, v77
	s_xor_b64 exec, exec, s[22:23]
	s_cbranch_execz .LBB69_214
; %bb.213:                              ;   in Loop: Header=BB69_2 Depth=1
	ds_read_u8 v81, v78 offset:1
	s_waitcnt lgkmcnt(1)
	v_mov_b32_e32 v80, v76
.LBB69_214:                             ;   in Loop: Header=BB69_2 Depth=1
	s_or_b64 exec, exec, s[22:23]
	v_add_u32_e32 v83, 1, v79
	v_add_u32_e32 v82, 1, v78
	v_cndmask_b32_e64 v83, v83, v79, s[20:21]
	v_cndmask_b32_e64 v82, v78, v82, s[20:21]
	v_cmp_ge_i32_e64 s[24:25], v83, v48
	s_waitcnt lgkmcnt(0)
	v_cmp_lt_i16_sdwa s[0:1], sext(v81), sext(v80) src0_sel:BYTE_0 src1_sel:BYTE_0
	v_cmp_lt_i32_e64 s[22:23], v82, v49
	s_or_b64 s[0:1], s[24:25], s[0:1]
	s_and_b64 s[22:23], s[22:23], s[0:1]
	s_xor_b64 s[0:1], s[22:23], -1
                                        ; implicit-def: $vgpr84
	s_and_saveexec_b64 s[24:25], s[0:1]
	s_xor_b64 s[24:25], exec, s[24:25]
	s_cbranch_execz .LBB69_216
; %bb.215:                              ;   in Loop: Header=BB69_2 Depth=1
	ds_read_u8 v84, v83 offset:1
.LBB69_216:                             ;   in Loop: Header=BB69_2 Depth=1
	s_or_saveexec_b64 s[24:25], s[24:25]
	v_mov_b32_e32 v85, v81
	s_xor_b64 exec, exec, s[24:25]
	s_cbranch_execz .LBB69_218
; %bb.217:                              ;   in Loop: Header=BB69_2 Depth=1
	ds_read_u8 v85, v82 offset:1
	s_waitcnt lgkmcnt(1)
	v_mov_b32_e32 v84, v80
.LBB69_218:                             ;   in Loop: Header=BB69_2 Depth=1
	s_or_b64 exec, exec, s[24:25]
	v_add_u32_e32 v87, 1, v83
	v_add_u32_e32 v86, 1, v82
	v_cndmask_b32_e64 v87, v87, v83, s[22:23]
	v_cndmask_b32_e64 v86, v82, v86, s[22:23]
	v_cmp_ge_i32_e64 s[26:27], v87, v48
	s_waitcnt lgkmcnt(0)
	v_cmp_lt_i16_sdwa s[0:1], sext(v85), sext(v84) src0_sel:BYTE_0 src1_sel:BYTE_0
	v_cmp_lt_i32_e64 s[24:25], v86, v49
	s_or_b64 s[0:1], s[26:27], s[0:1]
	s_and_b64 s[24:25], s[24:25], s[0:1]
	s_xor_b64 s[0:1], s[24:25], -1
                                        ; implicit-def: $vgpr88
	s_and_saveexec_b64 s[26:27], s[0:1]
	s_xor_b64 s[26:27], exec, s[26:27]
	s_cbranch_execz .LBB69_220
; %bb.219:                              ;   in Loop: Header=BB69_2 Depth=1
	ds_read_u8 v88, v87 offset:1
.LBB69_220:                             ;   in Loop: Header=BB69_2 Depth=1
	s_or_saveexec_b64 s[26:27], s[26:27]
	v_mov_b32_e32 v89, v85
	s_xor_b64 exec, exec, s[26:27]
	s_cbranch_execz .LBB69_222
; %bb.221:                              ;   in Loop: Header=BB69_2 Depth=1
	ds_read_u8 v89, v86 offset:1
	s_waitcnt lgkmcnt(1)
	v_mov_b32_e32 v88, v84
.LBB69_222:                             ;   in Loop: Header=BB69_2 Depth=1
	s_or_b64 exec, exec, s[26:27]
	v_add_u32_e32 v92, 1, v87
	v_add_u32_e32 v90, 1, v86
	v_cndmask_b32_e64 v92, v92, v87, s[24:25]
	v_cndmask_b32_e64 v91, v86, v90, s[24:25]
	v_cmp_ge_i32_e64 s[28:29], v92, v48
	s_waitcnt lgkmcnt(0)
	v_cmp_lt_i16_sdwa s[0:1], sext(v89), sext(v88) src0_sel:BYTE_0 src1_sel:BYTE_0
	v_cmp_lt_i32_e64 s[26:27], v91, v49
	s_or_b64 s[0:1], s[28:29], s[0:1]
	s_and_b64 s[26:27], s[26:27], s[0:1]
	s_xor_b64 s[0:1], s[26:27], -1
                                        ; implicit-def: $vgpr90
	s_and_saveexec_b64 s[28:29], s[0:1]
	s_xor_b64 s[28:29], exec, s[28:29]
	s_cbranch_execz .LBB69_224
; %bb.223:                              ;   in Loop: Header=BB69_2 Depth=1
	ds_read_u8 v90, v92 offset:1
.LBB69_224:                             ;   in Loop: Header=BB69_2 Depth=1
	s_or_saveexec_b64 s[28:29], s[28:29]
	v_mov_b32_e32 v93, v89
	s_xor_b64 exec, exec, s[28:29]
	s_cbranch_execz .LBB69_226
; %bb.225:                              ;   in Loop: Header=BB69_2 Depth=1
	ds_read_u8 v93, v91 offset:1
	s_waitcnt lgkmcnt(1)
	v_mov_b32_e32 v90, v88
.LBB69_226:                             ;   in Loop: Header=BB69_2 Depth=1
	s_or_b64 exec, exec, s[28:29]
	v_add_u32_e32 v94, 1, v92
	v_cndmask_b32_e64 v88, v88, v89, s[26:27]
	v_add_u32_e32 v89, 1, v91
	v_cndmask_b32_e64 v94, v94, v92, s[26:27]
	v_cndmask_b32_e64 v89, v91, v89, s[26:27]
	;; [unrolled: 1-line block ×4, first 2 shown]
	v_cmp_ge_i32_e64 s[16:17], v94, v48
	s_waitcnt lgkmcnt(0)
	v_cmp_lt_i16_sdwa s[0:1], sext(v93), sext(v90) src0_sel:BYTE_0 src1_sel:BYTE_0
	v_lshlrev_b16_e32 v58, 8, v58
	v_cndmask_b32_e64 v66, v66, v67, s[14:15]
	v_cndmask_b32_e64 v64, v64, v65, s[14:15]
	v_cmp_lt_i32_e64 s[14:15], v89, v49
	s_or_b64 s[0:1], s[16:17], s[0:1]
	v_lshlrev_b16_e32 v63, 8, v63
	v_lshlrev_b16_e32 v60, 8, v60
	v_or_b32_sdwa v56, v56, v58 dst_sel:DWORD dst_unused:UNUSED_PAD src0_sel:BYTE_0 src1_sel:DWORD
	v_lshlrev_b16_e32 v58, 8, v59
	s_and_b64 s[14:15], s[14:15], s[0:1]
	v_or_b32_sdwa v61, v61, v63 dst_sel:DWORD dst_unused:UNUSED_PAD src0_sel:BYTE_0 src1_sel:DWORD
	v_or_b32_sdwa v60, v62, v60 dst_sel:WORD_1 dst_unused:UNUSED_PAD src0_sel:BYTE_0 src1_sel:DWORD
	v_or_b32_sdwa v57, v57, v58 dst_sel:WORD_1 dst_unused:UNUSED_PAD src0_sel:BYTE_0 src1_sel:DWORD
	v_cndmask_b32_e64 v67, v94, v89, s[14:15]
	v_or_b32_sdwa v61, v61, v60 dst_sel:DWORD dst_unused:UNUSED_PAD src0_sel:WORD_0 src1_sel:DWORD
	v_or_b32_sdwa v60, v56, v57 dst_sel:DWORD dst_unused:UNUSED_PAD src0_sel:WORD_0 src1_sel:DWORD
	v_cndmask_b32_e64 v91, v92, v91, s[26:27]
	v_cndmask_b32_e64 v84, v84, v85, s[24:25]
	;; [unrolled: 1-line block ×9, first 2 shown]
	s_barrier
	ds_write_b64 v2, v[60:61]
	s_waitcnt lgkmcnt(0)
	s_barrier
	ds_read_u8 v60, v67
	ds_read_u8 v56, v64
	;; [unrolled: 1-line block ×8, first 2 shown]
	v_lshlrev_b16_e32 v64, 8, v68
	v_or_b32_sdwa v64, v66, v64 dst_sel:DWORD dst_unused:UNUSED_PAD src0_sel:BYTE_0 src1_sel:DWORD
	v_lshlrev_b16_e32 v66, 8, v76
	v_cndmask_b32_e64 v65, v90, v93, s[14:15]
	v_or_b32_sdwa v66, v72, v66 dst_sel:WORD_1 dst_unused:UNUSED_PAD src0_sel:BYTE_0 src1_sel:DWORD
	v_lshlrev_b16_e32 v65, 8, v65
	v_or_b32_sdwa v64, v64, v66 dst_sel:DWORD dst_unused:UNUSED_PAD src0_sel:WORD_0 src1_sel:DWORD
	v_lshlrev_b16_e32 v66, 8, v84
	v_or_b32_sdwa v66, v80, v66 dst_sel:DWORD dst_unused:UNUSED_PAD src0_sel:BYTE_0 src1_sel:DWORD
	v_or_b32_sdwa v65, v88, v65 dst_sel:WORD_1 dst_unused:UNUSED_PAD src0_sel:BYTE_0 src1_sel:DWORD
	s_waitcnt lgkmcnt(0)
	v_or_b32_sdwa v65, v66, v65 dst_sel:DWORD dst_unused:UNUSED_PAD src0_sel:WORD_0 src1_sel:DWORD
	s_barrier
	ds_write_b64 v2, v[64:65]
	v_mov_b32_e32 v64, v53
	s_waitcnt lgkmcnt(0)
	s_barrier
	s_and_saveexec_b64 s[16:17], s[12:13]
	s_cbranch_execz .LBB69_230
; %bb.227:                              ;   in Loop: Header=BB69_2 Depth=1
	s_mov_b64 s[18:19], 0
	v_mov_b32_e32 v64, v53
	v_mov_b32_e32 v65, v54
.LBB69_228:                             ;   Parent Loop BB69_2 Depth=1
                                        ; =>  This Inner Loop Header: Depth=2
	v_sub_u32_e32 v66, v65, v64
	v_lshrrev_b32_e32 v67, 31, v66
	v_add_u32_e32 v66, v66, v67
	v_ashrrev_i32_e32 v66, 1, v66
	v_add_u32_e32 v66, v66, v64
	v_not_b32_e32 v67, v66
	v_add3_u32 v67, v2, v67, v45
	ds_read_i8 v68, v66
	ds_read_i8 v67, v67
	v_add_u32_e32 v69, 1, v66
	s_waitcnt lgkmcnt(0)
	v_cmp_lt_i16_e64 s[14:15], v67, v68
	s_nop 1
	v_cndmask_b32_e64 v65, v65, v66, s[14:15]
	v_cndmask_b32_e64 v64, v69, v64, s[14:15]
	v_cmp_ge_i32_e64 s[14:15], v64, v65
	s_or_b64 s[18:19], s[14:15], s[18:19]
	s_andn2_b64 exec, exec, s[18:19]
	s_cbranch_execnz .LBB69_228
; %bb.229:                              ;   in Loop: Header=BB69_2 Depth=1
	s_or_b64 exec, exec, s[18:19]
.LBB69_230:                             ;   in Loop: Header=BB69_2 Depth=1
	s_or_b64 exec, exec, s[16:17]
	v_sub_u32_e32 v65, v55, v64
	ds_read_u8 v66, v64
	ds_read_u8 v67, v65
	v_cmp_le_i32_e64 s[16:17], v45, v64
	v_cmp_gt_i32_e64 s[14:15], s99, v65
                                        ; implicit-def: $vgpr68
	s_waitcnt lgkmcnt(1)
	v_bfe_i32 v66, v66, 0, 8
	s_waitcnt lgkmcnt(0)
	v_bfe_i32 v67, v67, 0, 8
	v_cmp_lt_i16_e64 s[18:19], v67, v66
	s_or_b64 s[0:1], s[16:17], s[18:19]
	s_and_b64 s[14:15], s[14:15], s[0:1]
	s_xor_b64 s[0:1], s[14:15], -1
	s_and_saveexec_b64 s[16:17], s[0:1]
	s_xor_b64 s[16:17], exec, s[16:17]
	s_cbranch_execz .LBB69_232
; %bb.231:                              ;   in Loop: Header=BB69_2 Depth=1
	ds_read_u8 v68, v64 offset:1
.LBB69_232:                             ;   in Loop: Header=BB69_2 Depth=1
	s_or_saveexec_b64 s[16:17], s[16:17]
	v_mov_b32_e32 v69, v67
	s_xor_b64 exec, exec, s[16:17]
	s_cbranch_execz .LBB69_234
; %bb.233:                              ;   in Loop: Header=BB69_2 Depth=1
	ds_read_u8 v69, v65 offset:1
	s_waitcnt lgkmcnt(1)
	v_mov_b32_e32 v68, v66
.LBB69_234:                             ;   in Loop: Header=BB69_2 Depth=1
	s_or_b64 exec, exec, s[16:17]
	v_add_u32_e32 v71, 1, v64
	v_add_u32_e32 v70, 1, v65
	v_cndmask_b32_e64 v71, v71, v64, s[14:15]
	v_cndmask_b32_e64 v70, v65, v70, s[14:15]
	v_cmp_ge_i32_e64 s[18:19], v71, v45
	s_waitcnt lgkmcnt(0)
	v_cmp_lt_i16_sdwa s[0:1], sext(v69), sext(v68) src0_sel:BYTE_0 src1_sel:BYTE_0
	v_cmp_gt_i32_e64 s[16:17], s99, v70
	s_or_b64 s[0:1], s[18:19], s[0:1]
	s_and_b64 s[16:17], s[16:17], s[0:1]
	s_xor_b64 s[0:1], s[16:17], -1
                                        ; implicit-def: $vgpr72
	s_and_saveexec_b64 s[18:19], s[0:1]
	s_xor_b64 s[18:19], exec, s[18:19]
	s_cbranch_execz .LBB69_236
; %bb.235:                              ;   in Loop: Header=BB69_2 Depth=1
	ds_read_u8 v72, v71 offset:1
.LBB69_236:                             ;   in Loop: Header=BB69_2 Depth=1
	s_or_saveexec_b64 s[18:19], s[18:19]
	v_mov_b32_e32 v73, v69
	s_xor_b64 exec, exec, s[18:19]
	s_cbranch_execz .LBB69_238
; %bb.237:                              ;   in Loop: Header=BB69_2 Depth=1
	ds_read_u8 v73, v70 offset:1
	s_waitcnt lgkmcnt(1)
	v_mov_b32_e32 v72, v68
.LBB69_238:                             ;   in Loop: Header=BB69_2 Depth=1
	s_or_b64 exec, exec, s[18:19]
	v_add_u32_e32 v75, 1, v71
	v_add_u32_e32 v74, 1, v70
	v_cndmask_b32_e64 v75, v75, v71, s[16:17]
	v_cndmask_b32_e64 v74, v70, v74, s[16:17]
	v_cmp_ge_i32_e64 s[20:21], v75, v45
	s_waitcnt lgkmcnt(0)
	v_cmp_lt_i16_sdwa s[0:1], sext(v73), sext(v72) src0_sel:BYTE_0 src1_sel:BYTE_0
	v_cmp_gt_i32_e64 s[18:19], s99, v74
	s_or_b64 s[0:1], s[20:21], s[0:1]
	s_and_b64 s[18:19], s[18:19], s[0:1]
	s_xor_b64 s[0:1], s[18:19], -1
                                        ; implicit-def: $vgpr76
	s_and_saveexec_b64 s[20:21], s[0:1]
	s_xor_b64 s[20:21], exec, s[20:21]
	s_cbranch_execz .LBB69_240
; %bb.239:                              ;   in Loop: Header=BB69_2 Depth=1
	ds_read_u8 v76, v75 offset:1
.LBB69_240:                             ;   in Loop: Header=BB69_2 Depth=1
	s_or_saveexec_b64 s[20:21], s[20:21]
	v_mov_b32_e32 v77, v73
	s_xor_b64 exec, exec, s[20:21]
	s_cbranch_execz .LBB69_242
; %bb.241:                              ;   in Loop: Header=BB69_2 Depth=1
	ds_read_u8 v77, v74 offset:1
	s_waitcnt lgkmcnt(1)
	v_mov_b32_e32 v76, v72
.LBB69_242:                             ;   in Loop: Header=BB69_2 Depth=1
	s_or_b64 exec, exec, s[20:21]
	v_add_u32_e32 v79, 1, v75
	v_add_u32_e32 v78, 1, v74
	v_cndmask_b32_e64 v79, v79, v75, s[18:19]
	v_cndmask_b32_e64 v78, v74, v78, s[18:19]
	v_cmp_ge_i32_e64 s[22:23], v79, v45
	s_waitcnt lgkmcnt(0)
	v_cmp_lt_i16_sdwa s[0:1], sext(v77), sext(v76) src0_sel:BYTE_0 src1_sel:BYTE_0
	v_cmp_gt_i32_e64 s[20:21], s99, v78
	s_or_b64 s[0:1], s[22:23], s[0:1]
	s_and_b64 s[20:21], s[20:21], s[0:1]
	s_xor_b64 s[0:1], s[20:21], -1
                                        ; implicit-def: $vgpr80
	s_and_saveexec_b64 s[22:23], s[0:1]
	s_xor_b64 s[22:23], exec, s[22:23]
	s_cbranch_execz .LBB69_244
; %bb.243:                              ;   in Loop: Header=BB69_2 Depth=1
	ds_read_u8 v80, v79 offset:1
.LBB69_244:                             ;   in Loop: Header=BB69_2 Depth=1
	s_or_saveexec_b64 s[22:23], s[22:23]
	v_mov_b32_e32 v81, v77
	s_xor_b64 exec, exec, s[22:23]
	s_cbranch_execz .LBB69_246
; %bb.245:                              ;   in Loop: Header=BB69_2 Depth=1
	ds_read_u8 v81, v78 offset:1
	s_waitcnt lgkmcnt(1)
	v_mov_b32_e32 v80, v76
.LBB69_246:                             ;   in Loop: Header=BB69_2 Depth=1
	s_or_b64 exec, exec, s[22:23]
	v_add_u32_e32 v83, 1, v79
	v_add_u32_e32 v82, 1, v78
	v_cndmask_b32_e64 v83, v83, v79, s[20:21]
	v_cndmask_b32_e64 v82, v78, v82, s[20:21]
	v_cmp_ge_i32_e64 s[24:25], v83, v45
	s_waitcnt lgkmcnt(0)
	v_cmp_lt_i16_sdwa s[0:1], sext(v81), sext(v80) src0_sel:BYTE_0 src1_sel:BYTE_0
	v_cmp_gt_i32_e64 s[22:23], s99, v82
	s_or_b64 s[0:1], s[24:25], s[0:1]
	s_and_b64 s[22:23], s[22:23], s[0:1]
	s_xor_b64 s[0:1], s[22:23], -1
                                        ; implicit-def: $vgpr84
	s_and_saveexec_b64 s[24:25], s[0:1]
	s_xor_b64 s[24:25], exec, s[24:25]
	s_cbranch_execz .LBB69_248
; %bb.247:                              ;   in Loop: Header=BB69_2 Depth=1
	ds_read_u8 v84, v83 offset:1
.LBB69_248:                             ;   in Loop: Header=BB69_2 Depth=1
	s_or_saveexec_b64 s[24:25], s[24:25]
	v_mov_b32_e32 v85, v81
	s_xor_b64 exec, exec, s[24:25]
	s_cbranch_execz .LBB69_250
; %bb.249:                              ;   in Loop: Header=BB69_2 Depth=1
	ds_read_u8 v85, v82 offset:1
	s_waitcnt lgkmcnt(1)
	v_mov_b32_e32 v84, v80
.LBB69_250:                             ;   in Loop: Header=BB69_2 Depth=1
	s_or_b64 exec, exec, s[24:25]
	v_add_u32_e32 v87, 1, v83
	v_add_u32_e32 v86, 1, v82
	v_cndmask_b32_e64 v87, v87, v83, s[22:23]
	v_cndmask_b32_e64 v86, v82, v86, s[22:23]
	v_cmp_ge_i32_e64 s[26:27], v87, v45
	s_waitcnt lgkmcnt(0)
	v_cmp_lt_i16_sdwa s[0:1], sext(v85), sext(v84) src0_sel:BYTE_0 src1_sel:BYTE_0
	v_cmp_gt_i32_e64 s[24:25], s99, v86
	s_or_b64 s[0:1], s[26:27], s[0:1]
	s_and_b64 s[24:25], s[24:25], s[0:1]
	s_xor_b64 s[0:1], s[24:25], -1
                                        ; implicit-def: $vgpr88
	s_and_saveexec_b64 s[26:27], s[0:1]
	s_xor_b64 s[26:27], exec, s[26:27]
	s_cbranch_execz .LBB69_252
; %bb.251:                              ;   in Loop: Header=BB69_2 Depth=1
	ds_read_u8 v88, v87 offset:1
.LBB69_252:                             ;   in Loop: Header=BB69_2 Depth=1
	s_or_saveexec_b64 s[26:27], s[26:27]
	v_mov_b32_e32 v89, v85
	s_xor_b64 exec, exec, s[26:27]
	s_cbranch_execz .LBB69_254
; %bb.253:                              ;   in Loop: Header=BB69_2 Depth=1
	ds_read_u8 v89, v86 offset:1
	s_waitcnt lgkmcnt(1)
	v_mov_b32_e32 v88, v84
.LBB69_254:                             ;   in Loop: Header=BB69_2 Depth=1
	s_or_b64 exec, exec, s[26:27]
	v_add_u32_e32 v91, 1, v87
	v_add_u32_e32 v90, 1, v86
	v_cndmask_b32_e64 v94, v91, v87, s[24:25]
	v_cndmask_b32_e64 v90, v86, v90, s[24:25]
	v_cmp_ge_i32_e64 s[28:29], v94, v45
	s_waitcnt lgkmcnt(0)
	v_cmp_lt_i16_sdwa s[0:1], sext(v89), sext(v88) src0_sel:BYTE_0 src1_sel:BYTE_0
	v_cmp_gt_i32_e64 s[26:27], s99, v90
	s_or_b64 s[0:1], s[28:29], s[0:1]
	s_and_b64 s[26:27], s[26:27], s[0:1]
	s_xor_b64 s[0:1], s[26:27], -1
                                        ; implicit-def: $vgpr93
                                        ; implicit-def: $vgpr92
	s_and_saveexec_b64 s[28:29], s[0:1]
	s_xor_b64 s[28:29], exec, s[28:29]
	s_cbranch_execz .LBB69_256
; %bb.255:                              ;   in Loop: Header=BB69_2 Depth=1
	ds_read_u8 v93, v94 offset:1
	v_add_u32_e32 v92, 1, v94
.LBB69_256:                             ;   in Loop: Header=BB69_2 Depth=1
	s_or_saveexec_b64 s[28:29], s[28:29]
	v_mov_b32_e32 v91, v94
	v_mov_b32_e32 v95, v89
	s_xor_b64 exec, exec, s[28:29]
	s_cbranch_execz .LBB69_1
; %bb.257:                              ;   in Loop: Header=BB69_2 Depth=1
	ds_read_u8 v95, v90 offset:1
	s_waitcnt lgkmcnt(1)
	v_add_u32_e32 v93, 1, v90
	v_mov_b32_e32 v91, v90
	v_mov_b32_e32 v92, v94
	;; [unrolled: 1-line block ×4, first 2 shown]
	s_branch .LBB69_1
.LBB69_258:
	v_readlane_b32 s0, v96, 0
	v_readlane_b32 s2, v96, 2
	;; [unrolled: 1-line block ×4, first 2 shown]
	s_add_u32 s0, s2, s33
	s_addc_u32 s1, s3, 0
	v_add_u16_e32 v2, v66, v62
	v_lshl_add_u64 v[0:1], s[0:1], 0, v[0:1]
	v_add_u16_e32 v3, v67, v63
	v_add_u16_e32 v4, v68, v65
	;; [unrolled: 1-line block ×7, first 2 shown]
	global_store_byte v[0:1], v2, off
	global_store_byte v[0:1], v3, off offset:256
	global_store_byte v[0:1], v4, off offset:512
	;; [unrolled: 1-line block ×7, first 2 shown]
	s_endpgm
	.section	.rodata,"a",@progbits
	.p2align	6, 0x0
	.amdhsa_kernel _Z17sort_pairs_kernelIaLj256ELj8EN10test_utils4lessELj10EEvPKT_PS2_T2_
		.amdhsa_group_segment_fixed_size 2049
		.amdhsa_private_segment_fixed_size 0
		.amdhsa_kernarg_size 20
		.amdhsa_user_sgpr_count 2
		.amdhsa_user_sgpr_dispatch_ptr 0
		.amdhsa_user_sgpr_queue_ptr 0
		.amdhsa_user_sgpr_kernarg_segment_ptr 1
		.amdhsa_user_sgpr_dispatch_id 0
		.amdhsa_user_sgpr_kernarg_preload_length 0
		.amdhsa_user_sgpr_kernarg_preload_offset 0
		.amdhsa_user_sgpr_private_segment_size 0
		.amdhsa_uses_dynamic_stack 0
		.amdhsa_enable_private_segment 0
		.amdhsa_system_sgpr_workgroup_id_x 1
		.amdhsa_system_sgpr_workgroup_id_y 0
		.amdhsa_system_sgpr_workgroup_id_z 0
		.amdhsa_system_sgpr_workgroup_info 0
		.amdhsa_system_vgpr_workitem_id 0
		.amdhsa_next_free_vgpr 97
		.amdhsa_next_free_sgpr 100
		.amdhsa_accum_offset 100
		.amdhsa_reserve_vcc 1
		.amdhsa_float_round_mode_32 0
		.amdhsa_float_round_mode_16_64 0
		.amdhsa_float_denorm_mode_32 3
		.amdhsa_float_denorm_mode_16_64 3
		.amdhsa_dx10_clamp 1
		.amdhsa_ieee_mode 1
		.amdhsa_fp16_overflow 0
		.amdhsa_tg_split 0
		.amdhsa_exception_fp_ieee_invalid_op 0
		.amdhsa_exception_fp_denorm_src 0
		.amdhsa_exception_fp_ieee_div_zero 0
		.amdhsa_exception_fp_ieee_overflow 0
		.amdhsa_exception_fp_ieee_underflow 0
		.amdhsa_exception_fp_ieee_inexact 0
		.amdhsa_exception_int_div_zero 0
	.end_amdhsa_kernel
	.section	.text._Z17sort_pairs_kernelIaLj256ELj8EN10test_utils4lessELj10EEvPKT_PS2_T2_,"axG",@progbits,_Z17sort_pairs_kernelIaLj256ELj8EN10test_utils4lessELj10EEvPKT_PS2_T2_,comdat
.Lfunc_end69:
	.size	_Z17sort_pairs_kernelIaLj256ELj8EN10test_utils4lessELj10EEvPKT_PS2_T2_, .Lfunc_end69-_Z17sort_pairs_kernelIaLj256ELj8EN10test_utils4lessELj10EEvPKT_PS2_T2_
                                        ; -- End function
	.section	.AMDGPU.csdata,"",@progbits
; Kernel info:
; codeLenInByte = 14260
; NumSgprs: 106
; NumVgprs: 97
; NumAgprs: 0
; TotalNumVgprs: 97
; ScratchSize: 0
; MemoryBound: 0
; FloatMode: 240
; IeeeMode: 1
; LDSByteSize: 2049 bytes/workgroup (compile time only)
; SGPRBlocks: 13
; VGPRBlocks: 12
; NumSGPRsForWavesPerEU: 106
; NumVGPRsForWavesPerEU: 97
; AccumOffset: 100
; Occupancy: 4
; WaveLimiterHint : 1
; COMPUTE_PGM_RSRC2:SCRATCH_EN: 0
; COMPUTE_PGM_RSRC2:USER_SGPR: 2
; COMPUTE_PGM_RSRC2:TRAP_HANDLER: 0
; COMPUTE_PGM_RSRC2:TGID_X_EN: 1
; COMPUTE_PGM_RSRC2:TGID_Y_EN: 0
; COMPUTE_PGM_RSRC2:TGID_Z_EN: 0
; COMPUTE_PGM_RSRC2:TIDIG_COMP_CNT: 0
; COMPUTE_PGM_RSRC3_GFX90A:ACCUM_OFFSET: 24
; COMPUTE_PGM_RSRC3_GFX90A:TG_SPLIT: 0
	.section	.text._Z16sort_keys_kernelIaLj512ELj1EN10test_utils4lessELj10EEvPKT_PS2_T2_,"axG",@progbits,_Z16sort_keys_kernelIaLj512ELj1EN10test_utils4lessELj10EEvPKT_PS2_T2_,comdat
	.protected	_Z16sort_keys_kernelIaLj512ELj1EN10test_utils4lessELj10EEvPKT_PS2_T2_ ; -- Begin function _Z16sort_keys_kernelIaLj512ELj1EN10test_utils4lessELj10EEvPKT_PS2_T2_
	.globl	_Z16sort_keys_kernelIaLj512ELj1EN10test_utils4lessELj10EEvPKT_PS2_T2_
	.p2align	8
	.type	_Z16sort_keys_kernelIaLj512ELj1EN10test_utils4lessELj10EEvPKT_PS2_T2_,@function
_Z16sort_keys_kernelIaLj512ELj1EN10test_utils4lessELj10EEvPKT_PS2_T2_: ; @_Z16sort_keys_kernelIaLj512ELj1EN10test_utils4lessELj10EEvPKT_PS2_T2_
; %bb.0:
	s_load_dwordx4 s[20:23], s[0:1], 0x0
	s_lshl_b32 s24, s2, 9
	v_and_b32_e32 v8, 0x1fc, v0
	v_and_b32_e32 v15, 0x1f8, v0
	;; [unrolled: 1-line block ×3, first 2 shown]
	s_waitcnt lgkmcnt(0)
	s_add_u32 s2, s20, s24
	s_addc_u32 s3, s21, 0
	global_load_ubyte v69, v0, s[2:3]
	v_and_b32_e32 v29, 0x1e0, v0
	v_and_b32_e32 v36, 0x1c0, v0
	;; [unrolled: 1-line block ×5, first 2 shown]
	v_or_b32_e32 v10, 2, v8
	v_add_u32_e32 v11, 4, v8
	v_or_b32_e32 v17, 4, v15
	v_add_u32_e32 v18, 8, v15
	;; [unrolled: 2-line block ×7, first 2 shown]
	v_and_b32_e32 v3, 1, v0
	v_or_b32_e32 v4, 1, v2
	v_and_b32_e32 v9, 3, v0
	v_sub_u32_e32 v13, v11, v10
	v_and_b32_e32 v16, 7, v0
	v_sub_u32_e32 v20, v18, v17
	;; [unrolled: 2-line block ×7, first 2 shown]
	v_sub_u32_e32 v5, v4, v2
	v_add_u32_e32 v6, -1, v3
	v_cmp_lt_i32_e32 vcc, 0, v3
	v_sub_u32_e32 v12, v10, v8
	v_sub_u32_e32 v14, v9, v13
	v_cmp_ge_i32_e64 s[0:1], v9, v13
	v_sub_u32_e32 v19, v17, v15
	v_sub_u32_e32 v21, v16, v20
	v_cmp_ge_i32_e64 s[2:3], v16, v20
	;; [unrolled: 3-line block ×6, first 2 shown]
	v_mov_b32_e32 v50, 0x100
	v_sub_u32_e32 v55, v53, v51
	v_sub_u32_e32 v57, v52, v56
	v_cmp_ge_i32_e64 s[12:13], v52, v56
	v_cndmask_b32_e32 v6, 0, v6, vcc
	v_min_i32_e32 v7, v3, v5
	v_cndmask_b32_e64 v13, 0, v14, s[0:1]
	v_min_i32_e32 v14, v9, v12
	v_cndmask_b32_e64 v20, 0, v21, s[2:3]
	;; [unrolled: 2-line block ×7, first 2 shown]
	v_min_i32_e32 v57, v52, v55
	v_sub_u32_e64 v58, v0, v50 clamp
	v_min_i32_e32 v59, 0x100, v0
	s_mov_b32 s25, 0
	v_mov_b32_e32 v1, 0
	v_cmp_lt_i32_e32 vcc, v6, v7
	v_cmp_lt_i32_e64 s[0:1], v13, v14
	v_cmp_lt_i32_e64 s[2:3], v20, v21
	;; [unrolled: 1-line block ×8, first 2 shown]
	s_movk_i32 s26, 0x200
	v_add_u32_e32 v60, v4, v3
	v_add_u32_e32 v61, v10, v9
	;; [unrolled: 1-line block ×9, first 2 shown]
	s_branch .LBB70_2
.LBB70_1:                               ;   in Loop: Header=BB70_2 Depth=1
	s_or_b64 exec, exec, s[18:19]
	v_sub_u32_e32 v70, v68, v69
	ds_read_u8 v71, v69
	ds_read_u8 v72, v70
	v_cmp_ge_i32_e64 s[16:17], v69, v50
	v_cmp_gt_i32_e64 s[18:19], s26, v70
	s_add_i32 s25, s25, 1
	s_waitcnt lgkmcnt(0)
	v_cmp_lt_i16_sdwa s[20:21], sext(v72), sext(v71) src0_sel:BYTE_0 src1_sel:BYTE_0
	s_or_b64 s[16:17], s[16:17], s[20:21]
	s_and_b64 s[16:17], s[18:19], s[16:17]
	s_cmp_eq_u32 s25, 10
	v_cndmask_b32_e64 v69, v71, v72, s[16:17]
	s_cbranch_scc1 .LBB70_38
.LBB70_2:                               ; =>This Loop Header: Depth=1
                                        ;     Child Loop BB70_4 Depth 2
                                        ;     Child Loop BB70_8 Depth 2
	;; [unrolled: 1-line block ×9, first 2 shown]
	s_barrier
	s_waitcnt vmcnt(0)
	ds_write_b8 v0, v69
	v_mov_b32_e32 v69, v6
	s_waitcnt lgkmcnt(0)
	s_barrier
	s_and_saveexec_b64 s[18:19], vcc
	s_cbranch_execz .LBB70_6
; %bb.3:                                ;   in Loop: Header=BB70_2 Depth=1
	s_mov_b64 s[20:21], 0
	v_mov_b32_e32 v69, v6
	v_mov_b32_e32 v70, v7
.LBB70_4:                               ;   Parent Loop BB70_2 Depth=1
                                        ; =>  This Inner Loop Header: Depth=2
	v_sub_u32_e32 v71, v70, v69
	v_lshrrev_b32_e32 v72, 31, v71
	v_add_u32_e32 v71, v71, v72
	v_ashrrev_i32_e32 v71, 1, v71
	v_add_u32_e32 v71, v71, v69
	v_not_b32_e32 v73, v71
	v_add_u32_e32 v72, v2, v71
	v_add3_u32 v73, v3, v73, v4
	ds_read_i8 v72, v72
	ds_read_i8 v73, v73
	v_add_u32_e32 v74, 1, v71
	s_waitcnt lgkmcnt(0)
	v_cmp_lt_i16_e64 s[16:17], v73, v72
	s_nop 1
	v_cndmask_b32_e64 v70, v70, v71, s[16:17]
	v_cndmask_b32_e64 v69, v74, v69, s[16:17]
	v_cmp_ge_i32_e64 s[16:17], v69, v70
	s_or_b64 s[20:21], s[16:17], s[20:21]
	s_andn2_b64 exec, exec, s[20:21]
	s_cbranch_execnz .LBB70_4
; %bb.5:                                ;   in Loop: Header=BB70_2 Depth=1
	s_or_b64 exec, exec, s[20:21]
.LBB70_6:                               ;   in Loop: Header=BB70_2 Depth=1
	s_or_b64 exec, exec, s[18:19]
	v_add_u32_e32 v71, v2, v69
	v_sub_u32_e32 v70, v60, v69
	ds_read_u8 v71, v71
	ds_read_u8 v72, v70
	v_cmp_ge_i32_e64 s[16:17], v69, v5
	v_cmp_ge_i32_e64 s[18:19], v4, v70
	s_waitcnt lgkmcnt(0)
	s_barrier
	v_cmp_lt_i16_sdwa s[20:21], sext(v72), sext(v71) src0_sel:BYTE_0 src1_sel:BYTE_0
	s_or_b64 s[16:17], s[16:17], s[20:21]
	s_and_b64 s[16:17], s[18:19], s[16:17]
	v_cndmask_b32_e64 v69, v71, v72, s[16:17]
	ds_write_b8 v0, v69
	v_mov_b32_e32 v69, v13
	s_waitcnt lgkmcnt(0)
	s_barrier
	s_and_saveexec_b64 s[18:19], s[0:1]
	s_cbranch_execz .LBB70_10
; %bb.7:                                ;   in Loop: Header=BB70_2 Depth=1
	s_mov_b64 s[20:21], 0
	v_mov_b32_e32 v69, v13
	v_mov_b32_e32 v70, v14
.LBB70_8:                               ;   Parent Loop BB70_2 Depth=1
                                        ; =>  This Inner Loop Header: Depth=2
	v_sub_u32_e32 v71, v70, v69
	v_lshrrev_b32_e32 v72, 31, v71
	v_add_u32_e32 v71, v71, v72
	v_ashrrev_i32_e32 v71, 1, v71
	v_add_u32_e32 v71, v71, v69
	v_not_b32_e32 v73, v71
	v_add_u32_e32 v72, v8, v71
	v_add3_u32 v73, v9, v73, v10
	ds_read_i8 v72, v72
	ds_read_i8 v73, v73
	v_add_u32_e32 v74, 1, v71
	s_waitcnt lgkmcnt(0)
	v_cmp_lt_i16_e64 s[16:17], v73, v72
	s_nop 1
	v_cndmask_b32_e64 v70, v70, v71, s[16:17]
	v_cndmask_b32_e64 v69, v74, v69, s[16:17]
	v_cmp_ge_i32_e64 s[16:17], v69, v70
	s_or_b64 s[20:21], s[16:17], s[20:21]
	s_andn2_b64 exec, exec, s[20:21]
	s_cbranch_execnz .LBB70_8
; %bb.9:                                ;   in Loop: Header=BB70_2 Depth=1
	s_or_b64 exec, exec, s[20:21]
.LBB70_10:                              ;   in Loop: Header=BB70_2 Depth=1
	s_or_b64 exec, exec, s[18:19]
	v_add_u32_e32 v71, v8, v69
	v_sub_u32_e32 v70, v61, v69
	ds_read_u8 v71, v71
	ds_read_u8 v72, v70
	v_cmp_ge_i32_e64 s[16:17], v69, v12
	v_cmp_gt_i32_e64 s[18:19], v11, v70
	s_waitcnt lgkmcnt(0)
	s_barrier
	v_cmp_lt_i16_sdwa s[20:21], sext(v72), sext(v71) src0_sel:BYTE_0 src1_sel:BYTE_0
	s_or_b64 s[16:17], s[16:17], s[20:21]
	s_and_b64 s[16:17], s[18:19], s[16:17]
	v_cndmask_b32_e64 v69, v71, v72, s[16:17]
	ds_write_b8 v0, v69
	v_mov_b32_e32 v69, v20
	s_waitcnt lgkmcnt(0)
	s_barrier
	s_and_saveexec_b64 s[18:19], s[2:3]
	s_cbranch_execz .LBB70_14
; %bb.11:                               ;   in Loop: Header=BB70_2 Depth=1
	s_mov_b64 s[20:21], 0
	v_mov_b32_e32 v69, v20
	v_mov_b32_e32 v70, v21
.LBB70_12:                              ;   Parent Loop BB70_2 Depth=1
                                        ; =>  This Inner Loop Header: Depth=2
	v_sub_u32_e32 v71, v70, v69
	v_lshrrev_b32_e32 v72, 31, v71
	v_add_u32_e32 v71, v71, v72
	v_ashrrev_i32_e32 v71, 1, v71
	v_add_u32_e32 v71, v71, v69
	v_not_b32_e32 v73, v71
	v_add_u32_e32 v72, v15, v71
	v_add3_u32 v73, v16, v73, v17
	ds_read_i8 v72, v72
	ds_read_i8 v73, v73
	v_add_u32_e32 v74, 1, v71
	s_waitcnt lgkmcnt(0)
	v_cmp_lt_i16_e64 s[16:17], v73, v72
	s_nop 1
	v_cndmask_b32_e64 v70, v70, v71, s[16:17]
	v_cndmask_b32_e64 v69, v74, v69, s[16:17]
	v_cmp_ge_i32_e64 s[16:17], v69, v70
	s_or_b64 s[20:21], s[16:17], s[20:21]
	s_andn2_b64 exec, exec, s[20:21]
	s_cbranch_execnz .LBB70_12
; %bb.13:                               ;   in Loop: Header=BB70_2 Depth=1
	s_or_b64 exec, exec, s[20:21]
.LBB70_14:                              ;   in Loop: Header=BB70_2 Depth=1
	s_or_b64 exec, exec, s[18:19]
	v_add_u32_e32 v71, v15, v69
	v_sub_u32_e32 v70, v62, v69
	ds_read_u8 v71, v71
	ds_read_u8 v72, v70
	v_cmp_ge_i32_e64 s[16:17], v69, v19
	v_cmp_gt_i32_e64 s[18:19], v18, v70
	s_waitcnt lgkmcnt(0)
	s_barrier
	v_cmp_lt_i16_sdwa s[20:21], sext(v72), sext(v71) src0_sel:BYTE_0 src1_sel:BYTE_0
	s_or_b64 s[16:17], s[16:17], s[20:21]
	s_and_b64 s[16:17], s[18:19], s[16:17]
	v_cndmask_b32_e64 v69, v71, v72, s[16:17]
	ds_write_b8 v0, v69
	v_mov_b32_e32 v69, v27
	s_waitcnt lgkmcnt(0)
	s_barrier
	s_and_saveexec_b64 s[18:19], s[4:5]
	s_cbranch_execz .LBB70_18
; %bb.15:                               ;   in Loop: Header=BB70_2 Depth=1
	s_mov_b64 s[20:21], 0
	v_mov_b32_e32 v69, v27
	v_mov_b32_e32 v70, v28
.LBB70_16:                              ;   Parent Loop BB70_2 Depth=1
                                        ; =>  This Inner Loop Header: Depth=2
	v_sub_u32_e32 v71, v70, v69
	v_lshrrev_b32_e32 v72, 31, v71
	v_add_u32_e32 v71, v71, v72
	v_ashrrev_i32_e32 v71, 1, v71
	v_add_u32_e32 v71, v71, v69
	v_not_b32_e32 v73, v71
	v_add_u32_e32 v72, v22, v71
	v_add3_u32 v73, v23, v73, v24
	ds_read_i8 v72, v72
	ds_read_i8 v73, v73
	v_add_u32_e32 v74, 1, v71
	s_waitcnt lgkmcnt(0)
	v_cmp_lt_i16_e64 s[16:17], v73, v72
	s_nop 1
	v_cndmask_b32_e64 v70, v70, v71, s[16:17]
	v_cndmask_b32_e64 v69, v74, v69, s[16:17]
	v_cmp_ge_i32_e64 s[16:17], v69, v70
	s_or_b64 s[20:21], s[16:17], s[20:21]
	s_andn2_b64 exec, exec, s[20:21]
	s_cbranch_execnz .LBB70_16
; %bb.17:                               ;   in Loop: Header=BB70_2 Depth=1
	s_or_b64 exec, exec, s[20:21]
.LBB70_18:                              ;   in Loop: Header=BB70_2 Depth=1
	;; [unrolled: 48-line block ×6, first 2 shown]
	s_or_b64 exec, exec, s[18:19]
	v_add_u32_e32 v71, v51, v69
	v_sub_u32_e32 v70, v67, v69
	ds_read_u8 v71, v71
	ds_read_u8 v72, v70
	v_cmp_ge_i32_e64 s[16:17], v69, v55
	v_cmp_gt_i32_e64 s[18:19], v54, v70
	s_waitcnt lgkmcnt(0)
	s_barrier
	v_cmp_lt_i16_sdwa s[20:21], sext(v72), sext(v71) src0_sel:BYTE_0 src1_sel:BYTE_0
	s_or_b64 s[16:17], s[16:17], s[20:21]
	s_and_b64 s[16:17], s[18:19], s[16:17]
	v_cndmask_b32_e64 v69, v71, v72, s[16:17]
	ds_write_b8 v0, v69
	v_mov_b32_e32 v69, v58
	s_waitcnt lgkmcnt(0)
	s_barrier
	s_and_saveexec_b64 s[18:19], s[14:15]
	s_cbranch_execz .LBB70_1
; %bb.35:                               ;   in Loop: Header=BB70_2 Depth=1
	s_mov_b64 s[20:21], 0
	v_mov_b32_e32 v69, v58
	v_mov_b32_e32 v70, v59
.LBB70_36:                              ;   Parent Loop BB70_2 Depth=1
                                        ; =>  This Inner Loop Header: Depth=2
	v_sub_u32_e32 v71, v70, v69
	v_lshrrev_b32_e32 v72, 31, v71
	v_add_u32_e32 v71, v71, v72
	v_ashrrev_i32_e32 v71, 1, v71
	v_add_u32_e32 v71, v71, v69
	v_not_b32_e32 v72, v71
	v_add3_u32 v72, v0, v72, v50
	ds_read_i8 v73, v71
	ds_read_i8 v72, v72
	v_add_u32_e32 v74, 1, v71
	s_waitcnt lgkmcnt(0)
	v_cmp_lt_i16_e64 s[16:17], v72, v73
	s_nop 1
	v_cndmask_b32_e64 v70, v70, v71, s[16:17]
	v_cndmask_b32_e64 v69, v74, v69, s[16:17]
	v_cmp_ge_i32_e64 s[16:17], v69, v70
	s_or_b64 s[20:21], s[16:17], s[20:21]
	s_andn2_b64 exec, exec, s[20:21]
	s_cbranch_execnz .LBB70_36
; %bb.37:                               ;   in Loop: Header=BB70_2 Depth=1
	s_or_b64 exec, exec, s[20:21]
	s_branch .LBB70_1
.LBB70_38:
	s_add_u32 s0, s22, s24
	s_addc_u32 s1, s23, 0
	v_lshl_add_u64 v[0:1], s[0:1], 0, v[0:1]
	global_store_byte v[0:1], v69, off
	s_endpgm
	.section	.rodata,"a",@progbits
	.p2align	6, 0x0
	.amdhsa_kernel _Z16sort_keys_kernelIaLj512ELj1EN10test_utils4lessELj10EEvPKT_PS2_T2_
		.amdhsa_group_segment_fixed_size 513
		.amdhsa_private_segment_fixed_size 0
		.amdhsa_kernarg_size 20
		.amdhsa_user_sgpr_count 2
		.amdhsa_user_sgpr_dispatch_ptr 0
		.amdhsa_user_sgpr_queue_ptr 0
		.amdhsa_user_sgpr_kernarg_segment_ptr 1
		.amdhsa_user_sgpr_dispatch_id 0
		.amdhsa_user_sgpr_kernarg_preload_length 0
		.amdhsa_user_sgpr_kernarg_preload_offset 0
		.amdhsa_user_sgpr_private_segment_size 0
		.amdhsa_uses_dynamic_stack 0
		.amdhsa_enable_private_segment 0
		.amdhsa_system_sgpr_workgroup_id_x 1
		.amdhsa_system_sgpr_workgroup_id_y 0
		.amdhsa_system_sgpr_workgroup_id_z 0
		.amdhsa_system_sgpr_workgroup_info 0
		.amdhsa_system_vgpr_workitem_id 0
		.amdhsa_next_free_vgpr 75
		.amdhsa_next_free_sgpr 27
		.amdhsa_accum_offset 76
		.amdhsa_reserve_vcc 1
		.amdhsa_float_round_mode_32 0
		.amdhsa_float_round_mode_16_64 0
		.amdhsa_float_denorm_mode_32 3
		.amdhsa_float_denorm_mode_16_64 3
		.amdhsa_dx10_clamp 1
		.amdhsa_ieee_mode 1
		.amdhsa_fp16_overflow 0
		.amdhsa_tg_split 0
		.amdhsa_exception_fp_ieee_invalid_op 0
		.amdhsa_exception_fp_denorm_src 0
		.amdhsa_exception_fp_ieee_div_zero 0
		.amdhsa_exception_fp_ieee_overflow 0
		.amdhsa_exception_fp_ieee_underflow 0
		.amdhsa_exception_fp_ieee_inexact 0
		.amdhsa_exception_int_div_zero 0
	.end_amdhsa_kernel
	.section	.text._Z16sort_keys_kernelIaLj512ELj1EN10test_utils4lessELj10EEvPKT_PS2_T2_,"axG",@progbits,_Z16sort_keys_kernelIaLj512ELj1EN10test_utils4lessELj10EEvPKT_PS2_T2_,comdat
.Lfunc_end70:
	.size	_Z16sort_keys_kernelIaLj512ELj1EN10test_utils4lessELj10EEvPKT_PS2_T2_, .Lfunc_end70-_Z16sort_keys_kernelIaLj512ELj1EN10test_utils4lessELj10EEvPKT_PS2_T2_
                                        ; -- End function
	.section	.AMDGPU.csdata,"",@progbits
; Kernel info:
; codeLenInByte = 2692
; NumSgprs: 33
; NumVgprs: 75
; NumAgprs: 0
; TotalNumVgprs: 75
; ScratchSize: 0
; MemoryBound: 0
; FloatMode: 240
; IeeeMode: 1
; LDSByteSize: 513 bytes/workgroup (compile time only)
; SGPRBlocks: 4
; VGPRBlocks: 9
; NumSGPRsForWavesPerEU: 33
; NumVGPRsForWavesPerEU: 75
; AccumOffset: 76
; Occupancy: 6
; WaveLimiterHint : 0
; COMPUTE_PGM_RSRC2:SCRATCH_EN: 0
; COMPUTE_PGM_RSRC2:USER_SGPR: 2
; COMPUTE_PGM_RSRC2:TRAP_HANDLER: 0
; COMPUTE_PGM_RSRC2:TGID_X_EN: 1
; COMPUTE_PGM_RSRC2:TGID_Y_EN: 0
; COMPUTE_PGM_RSRC2:TGID_Z_EN: 0
; COMPUTE_PGM_RSRC2:TIDIG_COMP_CNT: 0
; COMPUTE_PGM_RSRC3_GFX90A:ACCUM_OFFSET: 18
; COMPUTE_PGM_RSRC3_GFX90A:TG_SPLIT: 0
	.section	.text._Z17sort_pairs_kernelIaLj512ELj1EN10test_utils4lessELj10EEvPKT_PS2_T2_,"axG",@progbits,_Z17sort_pairs_kernelIaLj512ELj1EN10test_utils4lessELj10EEvPKT_PS2_T2_,comdat
	.protected	_Z17sort_pairs_kernelIaLj512ELj1EN10test_utils4lessELj10EEvPKT_PS2_T2_ ; -- Begin function _Z17sort_pairs_kernelIaLj512ELj1EN10test_utils4lessELj10EEvPKT_PS2_T2_
	.globl	_Z17sort_pairs_kernelIaLj512ELj1EN10test_utils4lessELj10EEvPKT_PS2_T2_
	.p2align	8
	.type	_Z17sort_pairs_kernelIaLj512ELj1EN10test_utils4lessELj10EEvPKT_PS2_T2_,@function
_Z17sort_pairs_kernelIaLj512ELj1EN10test_utils4lessELj10EEvPKT_PS2_T2_: ; @_Z17sort_pairs_kernelIaLj512ELj1EN10test_utils4lessELj10EEvPKT_PS2_T2_
; %bb.0:
	s_load_dwordx4 s[20:23], s[0:1], 0x0
	s_lshl_b32 s24, s2, 9
	v_and_b32_e32 v4, 0x1fc, v0
	v_and_b32_e32 v6, 0x1f8, v0
	v_or_b32_e32 v17, 2, v4
	s_waitcnt lgkmcnt(0)
	s_add_u32 s0, s20, s24
	s_addc_u32 s1, s21, 0
	global_load_ubyte v61, v0, s[0:1]
	v_add_u32_e32 v18, 4, v4
	v_and_b32_e32 v5, 3, v0
	v_and_b32_e32 v8, 0x1f0, v0
	v_or_b32_e32 v19, 4, v6
	v_add_u32_e32 v20, 8, v6
	v_sub_u32_e32 v42, v18, v17
	v_and_b32_e32 v7, 7, v0
	v_and_b32_e32 v10, 0x1e0, v0
	v_or_b32_e32 v21, 8, v8
	v_add_u32_e32 v22, 16, v8
	v_sub_u32_e32 v43, v20, v19
	v_sub_u32_e32 v49, v5, v42
	v_cmp_ge_i32_e64 s[0:1], v5, v42
	v_and_b32_e32 v9, 15, v0
	v_and_b32_e32 v12, 0x1c0, v0
	v_or_b32_e32 v23, 16, v10
	v_add_u32_e32 v24, 32, v10
	v_sub_u32_e32 v44, v22, v21
	v_sub_u32_e32 v50, v7, v43
	v_cndmask_b32_e64 v42, 0, v49, s[0:1]
	v_cmp_ge_i32_e64 s[0:1], v7, v43
	v_and_b32_e32 v11, 31, v0
	v_and_b32_e32 v14, 0x180, v0
	v_or_b32_e32 v25, 32, v12
	v_add_u32_e32 v26, 64, v12
	v_sub_u32_e32 v45, v24, v23
	v_sub_u32_e32 v51, v9, v44
	v_cndmask_b32_e64 v43, 0, v50, s[0:1]
	v_cmp_ge_i32_e64 s[0:1], v9, v44
	v_and_b32_e32 v13, 63, v0
	v_or_b32_e32 v27, 64, v14
	v_add_u32_e32 v28, 0x80, v14
	v_sub_u32_e32 v46, v26, v25
	v_sub_u32_e32 v52, v11, v45
	v_cndmask_b32_e64 v44, 0, v51, s[0:1]
	v_cmp_ge_i32_e64 s[0:1], v11, v45
	v_and_b32_e32 v15, 0x7f, v0
	v_sub_u32_e32 v47, v28, v27
	v_sub_u32_e32 v53, v13, v46
	v_cndmask_b32_e64 v45, 0, v52, s[0:1]
	v_cmp_ge_i32_e64 s[0:1], v13, v46
	v_and_b32_e32 v50, 0x100, v0
	v_and_b32_e32 v2, 0x1fe, v0
	v_sub_u32_e32 v54, v15, v47
	v_cndmask_b32_e64 v46, 0, v53, s[0:1]
	v_cmp_ge_i32_e64 s[10:11], v15, v47
	v_or_b32_e32 v52, 0x80, v50
	v_add_u32_e32 v53, 0x100, v50
	v_and_b32_e32 v3, 1, v0
	v_or_b32_e32 v16, 1, v2
	v_cndmask_b32_e64 v47, 0, v54, s[10:11]
	v_and_b32_e32 v51, 0xff, v0
	v_sub_u32_e32 v54, v53, v52
	v_add_u32_e32 v29, -1, v3
	v_sub_u32_e32 v36, v16, v2
	v_cmp_lt_i32_e32 vcc, 0, v3
	v_sub_u32_e32 v37, v17, v4
	v_sub_u32_e32 v38, v19, v6
	;; [unrolled: 1-line block ×6, first 2 shown]
	v_mov_b32_e32 v49, 0x100
	v_sub_u32_e32 v55, v52, v50
	v_sub_u32_e32 v56, v51, v54
	v_cmp_ge_i32_e64 s[12:13], v51, v54
	v_cndmask_b32_e32 v29, 0, v29, vcc
	v_min_i32_e32 v36, v3, v36
	v_min_i32_e32 v37, v5, v37
	;; [unrolled: 1-line block ×7, first 2 shown]
	v_cndmask_b32_e64 v54, 0, v56, s[12:13]
	v_min_i32_e32 v55, v51, v55
	v_sub_u32_e64 v56, v0, v49 clamp
	v_min_i32_e32 v57, 0x100, v0
	s_mov_b32 s25, 0
	v_mov_b32_e32 v1, 0
	v_add_u32_e32 v30, v16, v3
	v_add_u32_e32 v31, v17, v5
	;; [unrolled: 1-line block ×6, first 2 shown]
	v_cmp_lt_i32_e32 vcc, v29, v36
	v_cmp_lt_i32_e64 s[0:1], v42, v37
	v_cmp_lt_i32_e64 s[2:3], v43, v38
	;; [unrolled: 1-line block ×5, first 2 shown]
	s_waitcnt vmcnt(0)
	v_add_u16_e32 v62, 1, v61
	v_cmp_lt_i32_e64 s[10:11], v47, v48
	v_cmp_lt_i32_e64 s[12:13], v54, v55
	;; [unrolled: 1-line block ×3, first 2 shown]
	s_movk_i32 s26, 0x200
	v_add_u32_e32 v58, v27, v15
	v_add_u32_e32 v59, v52, v51
	;; [unrolled: 1-line block ×3, first 2 shown]
	s_branch .LBB71_2
.LBB71_1:                               ;   in Loop: Header=BB71_2 Depth=1
	s_or_b64 exec, exec, s[18:19]
	v_sub_u32_e32 v64, v60, v63
	ds_read_u8 v61, v63
	ds_read_u8 v65, v64
	v_cmp_le_i32_e64 s[16:17], v49, v63
	v_cmp_gt_i32_e64 s[18:19], s26, v64
	s_waitcnt lgkmcnt(0)
	s_barrier
	v_cmp_lt_i16_sdwa s[20:21], sext(v65), sext(v61) src0_sel:BYTE_0 src1_sel:BYTE_0
	s_or_b64 s[16:17], s[16:17], s[20:21]
	s_and_b64 s[16:17], s[18:19], s[16:17]
	v_cndmask_b32_e64 v63, v63, v64, s[16:17]
	ds_write_b8 v0, v62
	s_waitcnt lgkmcnt(0)
	s_barrier
	ds_read_u8 v62, v63
	s_add_i32 s25, s25, 1
	v_cndmask_b32_e64 v61, v61, v65, s[16:17]
	s_cmp_lg_u32 s25, 10
	s_cbranch_scc0 .LBB71_38
.LBB71_2:                               ; =>This Loop Header: Depth=1
                                        ;     Child Loop BB71_4 Depth 2
                                        ;     Child Loop BB71_8 Depth 2
	;; [unrolled: 1-line block ×9, first 2 shown]
	s_barrier
	ds_write_b8 v0, v61
	v_mov_b32_e32 v61, v29
	s_waitcnt lgkmcnt(0)
	s_barrier
	s_and_saveexec_b64 s[18:19], vcc
	s_cbranch_execz .LBB71_6
; %bb.3:                                ;   in Loop: Header=BB71_2 Depth=1
	s_mov_b64 s[20:21], 0
	v_mov_b32_e32 v61, v29
	v_mov_b32_e32 v63, v36
.LBB71_4:                               ;   Parent Loop BB71_2 Depth=1
                                        ; =>  This Inner Loop Header: Depth=2
	v_sub_u32_e32 v64, v63, v61
	v_lshrrev_b32_e32 v65, 31, v64
	v_add_u32_e32 v64, v64, v65
	v_ashrrev_i32_e32 v64, 1, v64
	v_add_u32_e32 v64, v64, v61
	v_not_b32_e32 v66, v64
	v_add_u32_e32 v65, v2, v64
	v_add3_u32 v66, v3, v66, v16
	ds_read_i8 v65, v65
	ds_read_i8 v66, v66
	v_add_u32_e32 v67, 1, v64
	s_waitcnt lgkmcnt(0)
	v_cmp_lt_i16_e64 s[16:17], v66, v65
	s_nop 1
	v_cndmask_b32_e64 v63, v63, v64, s[16:17]
	v_cndmask_b32_e64 v61, v67, v61, s[16:17]
	v_cmp_ge_i32_e64 s[16:17], v61, v63
	s_or_b64 s[20:21], s[16:17], s[20:21]
	s_andn2_b64 exec, exec, s[20:21]
	s_cbranch_execnz .LBB71_4
; %bb.5:                                ;   in Loop: Header=BB71_2 Depth=1
	s_or_b64 exec, exec, s[20:21]
.LBB71_6:                               ;   in Loop: Header=BB71_2 Depth=1
	s_or_b64 exec, exec, s[18:19]
	v_add_u32_e32 v63, v61, v2
	v_sub_u32_e32 v61, v30, v61
	ds_read_u8 v64, v63
	ds_read_u8 v65, v61
	v_cmp_le_i32_e64 s[18:19], v16, v63
	v_cmp_ge_i32_e64 s[16:17], v16, v61
	s_waitcnt lgkmcnt(0)
	s_barrier
	v_cmp_lt_i16_sdwa s[20:21], sext(v65), sext(v64) src0_sel:BYTE_0 src1_sel:BYTE_0
	s_or_b64 s[18:19], s[18:19], s[20:21]
	s_and_b64 s[16:17], s[16:17], s[18:19]
	v_cndmask_b32_e64 v61, v63, v61, s[16:17]
	ds_write_b8 v0, v62
	s_waitcnt lgkmcnt(0)
	s_barrier
	ds_read_u8 v61, v61
	v_cndmask_b32_e64 v64, v64, v65, s[16:17]
	v_mov_b32_e32 v62, v42
	s_waitcnt lgkmcnt(0)
	s_barrier
	ds_write_b8 v0, v64
	s_waitcnt lgkmcnt(0)
	s_barrier
	s_and_saveexec_b64 s[18:19], s[0:1]
	s_cbranch_execz .LBB71_10
; %bb.7:                                ;   in Loop: Header=BB71_2 Depth=1
	s_mov_b64 s[20:21], 0
	v_mov_b32_e32 v62, v42
	v_mov_b32_e32 v63, v37
.LBB71_8:                               ;   Parent Loop BB71_2 Depth=1
                                        ; =>  This Inner Loop Header: Depth=2
	v_sub_u32_e32 v64, v63, v62
	v_lshrrev_b32_e32 v65, 31, v64
	v_add_u32_e32 v64, v64, v65
	v_ashrrev_i32_e32 v64, 1, v64
	v_add_u32_e32 v64, v64, v62
	v_not_b32_e32 v66, v64
	v_add_u32_e32 v65, v4, v64
	v_add3_u32 v66, v5, v66, v17
	ds_read_i8 v65, v65
	ds_read_i8 v66, v66
	v_add_u32_e32 v67, 1, v64
	s_waitcnt lgkmcnt(0)
	v_cmp_lt_i16_e64 s[16:17], v66, v65
	s_nop 1
	v_cndmask_b32_e64 v63, v63, v64, s[16:17]
	v_cndmask_b32_e64 v62, v67, v62, s[16:17]
	v_cmp_ge_i32_e64 s[16:17], v62, v63
	s_or_b64 s[20:21], s[16:17], s[20:21]
	s_andn2_b64 exec, exec, s[20:21]
	s_cbranch_execnz .LBB71_8
; %bb.9:                                ;   in Loop: Header=BB71_2 Depth=1
	s_or_b64 exec, exec, s[20:21]
.LBB71_10:                              ;   in Loop: Header=BB71_2 Depth=1
	s_or_b64 exec, exec, s[18:19]
	v_add_u32_e32 v63, v62, v4
	v_sub_u32_e32 v62, v31, v62
	ds_read_u8 v64, v63
	ds_read_u8 v65, v62
	v_cmp_le_i32_e64 s[18:19], v17, v63
	v_cmp_gt_i32_e64 s[16:17], v18, v62
	s_waitcnt lgkmcnt(0)
	s_barrier
	v_cmp_lt_i16_sdwa s[20:21], sext(v65), sext(v64) src0_sel:BYTE_0 src1_sel:BYTE_0
	s_or_b64 s[18:19], s[18:19], s[20:21]
	s_and_b64 s[16:17], s[16:17], s[18:19]
	v_cndmask_b32_e64 v62, v63, v62, s[16:17]
	ds_write_b8 v0, v61
	s_waitcnt lgkmcnt(0)
	s_barrier
	ds_read_u8 v61, v62
	v_cndmask_b32_e64 v64, v64, v65, s[16:17]
	v_mov_b32_e32 v62, v43
	s_waitcnt lgkmcnt(0)
	s_barrier
	ds_write_b8 v0, v64
	s_waitcnt lgkmcnt(0)
	s_barrier
	s_and_saveexec_b64 s[18:19], s[2:3]
	s_cbranch_execz .LBB71_14
; %bb.11:                               ;   in Loop: Header=BB71_2 Depth=1
	s_mov_b64 s[20:21], 0
	v_mov_b32_e32 v62, v43
	v_mov_b32_e32 v63, v38
.LBB71_12:                              ;   Parent Loop BB71_2 Depth=1
                                        ; =>  This Inner Loop Header: Depth=2
	v_sub_u32_e32 v64, v63, v62
	v_lshrrev_b32_e32 v65, 31, v64
	v_add_u32_e32 v64, v64, v65
	v_ashrrev_i32_e32 v64, 1, v64
	v_add_u32_e32 v64, v64, v62
	v_not_b32_e32 v66, v64
	v_add_u32_e32 v65, v6, v64
	v_add3_u32 v66, v7, v66, v19
	ds_read_i8 v65, v65
	ds_read_i8 v66, v66
	v_add_u32_e32 v67, 1, v64
	s_waitcnt lgkmcnt(0)
	v_cmp_lt_i16_e64 s[16:17], v66, v65
	s_nop 1
	v_cndmask_b32_e64 v63, v63, v64, s[16:17]
	v_cndmask_b32_e64 v62, v67, v62, s[16:17]
	v_cmp_ge_i32_e64 s[16:17], v62, v63
	s_or_b64 s[20:21], s[16:17], s[20:21]
	s_andn2_b64 exec, exec, s[20:21]
	s_cbranch_execnz .LBB71_12
; %bb.13:                               ;   in Loop: Header=BB71_2 Depth=1
	s_or_b64 exec, exec, s[20:21]
.LBB71_14:                              ;   in Loop: Header=BB71_2 Depth=1
	s_or_b64 exec, exec, s[18:19]
	v_add_u32_e32 v63, v62, v6
	v_sub_u32_e32 v62, v32, v62
	ds_read_u8 v64, v63
	ds_read_u8 v65, v62
	v_cmp_le_i32_e64 s[18:19], v19, v63
	v_cmp_gt_i32_e64 s[16:17], v20, v62
	s_waitcnt lgkmcnt(0)
	s_barrier
	v_cmp_lt_i16_sdwa s[20:21], sext(v65), sext(v64) src0_sel:BYTE_0 src1_sel:BYTE_0
	s_or_b64 s[18:19], s[18:19], s[20:21]
	s_and_b64 s[16:17], s[16:17], s[18:19]
	v_cndmask_b32_e64 v62, v63, v62, s[16:17]
	ds_write_b8 v0, v61
	s_waitcnt lgkmcnt(0)
	s_barrier
	ds_read_u8 v61, v62
	v_cndmask_b32_e64 v64, v64, v65, s[16:17]
	v_mov_b32_e32 v62, v44
	s_waitcnt lgkmcnt(0)
	s_barrier
	ds_write_b8 v0, v64
	s_waitcnt lgkmcnt(0)
	s_barrier
	s_and_saveexec_b64 s[18:19], s[4:5]
	s_cbranch_execz .LBB71_18
; %bb.15:                               ;   in Loop: Header=BB71_2 Depth=1
	s_mov_b64 s[20:21], 0
	v_mov_b32_e32 v62, v44
	v_mov_b32_e32 v63, v39
.LBB71_16:                              ;   Parent Loop BB71_2 Depth=1
                                        ; =>  This Inner Loop Header: Depth=2
	v_sub_u32_e32 v64, v63, v62
	v_lshrrev_b32_e32 v65, 31, v64
	v_add_u32_e32 v64, v64, v65
	v_ashrrev_i32_e32 v64, 1, v64
	v_add_u32_e32 v64, v64, v62
	v_not_b32_e32 v66, v64
	v_add_u32_e32 v65, v8, v64
	v_add3_u32 v66, v9, v66, v21
	ds_read_i8 v65, v65
	ds_read_i8 v66, v66
	v_add_u32_e32 v67, 1, v64
	s_waitcnt lgkmcnt(0)
	v_cmp_lt_i16_e64 s[16:17], v66, v65
	s_nop 1
	v_cndmask_b32_e64 v63, v63, v64, s[16:17]
	v_cndmask_b32_e64 v62, v67, v62, s[16:17]
	v_cmp_ge_i32_e64 s[16:17], v62, v63
	s_or_b64 s[20:21], s[16:17], s[20:21]
	s_andn2_b64 exec, exec, s[20:21]
	s_cbranch_execnz .LBB71_16
; %bb.17:                               ;   in Loop: Header=BB71_2 Depth=1
	s_or_b64 exec, exec, s[20:21]
.LBB71_18:                              ;   in Loop: Header=BB71_2 Depth=1
	;; [unrolled: 55-line block ×6, first 2 shown]
	s_or_b64 exec, exec, s[18:19]
	v_add_u32_e32 v63, v62, v50
	v_sub_u32_e32 v62, v59, v62
	ds_read_u8 v64, v63
	ds_read_u8 v65, v62
	v_cmp_le_i32_e64 s[18:19], v52, v63
	v_cmp_gt_i32_e64 s[16:17], v53, v62
	s_waitcnt lgkmcnt(0)
	s_barrier
	v_cmp_lt_i16_sdwa s[20:21], sext(v65), sext(v64) src0_sel:BYTE_0 src1_sel:BYTE_0
	s_or_b64 s[18:19], s[18:19], s[20:21]
	s_and_b64 s[16:17], s[16:17], s[18:19]
	v_cndmask_b32_e64 v62, v63, v62, s[16:17]
	ds_write_b8 v0, v61
	s_waitcnt lgkmcnt(0)
	s_barrier
	ds_read_u8 v62, v62
	v_cndmask_b32_e64 v64, v64, v65, s[16:17]
	v_mov_b32_e32 v63, v56
	s_waitcnt lgkmcnt(0)
	s_barrier
	ds_write_b8 v0, v64
	s_waitcnt lgkmcnt(0)
	s_barrier
	s_and_saveexec_b64 s[18:19], s[14:15]
	s_cbranch_execz .LBB71_1
; %bb.35:                               ;   in Loop: Header=BB71_2 Depth=1
	s_mov_b64 s[20:21], 0
	v_mov_b32_e32 v63, v56
	v_mov_b32_e32 v61, v57
.LBB71_36:                              ;   Parent Loop BB71_2 Depth=1
                                        ; =>  This Inner Loop Header: Depth=2
	v_sub_u32_e32 v64, v61, v63
	v_lshrrev_b32_e32 v65, 31, v64
	v_add_u32_e32 v64, v64, v65
	v_ashrrev_i32_e32 v64, 1, v64
	v_add_u32_e32 v64, v64, v63
	v_not_b32_e32 v65, v64
	v_add3_u32 v65, v0, v65, v49
	ds_read_i8 v66, v64
	ds_read_i8 v65, v65
	v_add_u32_e32 v67, 1, v64
	s_waitcnt lgkmcnt(0)
	v_cmp_lt_i16_e64 s[16:17], v65, v66
	s_nop 1
	v_cndmask_b32_e64 v61, v61, v64, s[16:17]
	v_cndmask_b32_e64 v63, v67, v63, s[16:17]
	v_cmp_ge_i32_e64 s[16:17], v63, v61
	s_or_b64 s[20:21], s[16:17], s[20:21]
	s_andn2_b64 exec, exec, s[20:21]
	s_cbranch_execnz .LBB71_36
; %bb.37:                               ;   in Loop: Header=BB71_2 Depth=1
	s_or_b64 exec, exec, s[20:21]
	s_branch .LBB71_1
.LBB71_38:
	s_add_u32 s0, s22, s24
	s_addc_u32 s1, s23, 0
	s_waitcnt lgkmcnt(0)
	v_add_u16_e32 v2, v61, v62
	v_lshl_add_u64 v[0:1], s[0:1], 0, v[0:1]
	global_store_byte v[0:1], v2, off
	s_endpgm
	.section	.rodata,"a",@progbits
	.p2align	6, 0x0
	.amdhsa_kernel _Z17sort_pairs_kernelIaLj512ELj1EN10test_utils4lessELj10EEvPKT_PS2_T2_
		.amdhsa_group_segment_fixed_size 513
		.amdhsa_private_segment_fixed_size 0
		.amdhsa_kernarg_size 20
		.amdhsa_user_sgpr_count 2
		.amdhsa_user_sgpr_dispatch_ptr 0
		.amdhsa_user_sgpr_queue_ptr 0
		.amdhsa_user_sgpr_kernarg_segment_ptr 1
		.amdhsa_user_sgpr_dispatch_id 0
		.amdhsa_user_sgpr_kernarg_preload_length 0
		.amdhsa_user_sgpr_kernarg_preload_offset 0
		.amdhsa_user_sgpr_private_segment_size 0
		.amdhsa_uses_dynamic_stack 0
		.amdhsa_enable_private_segment 0
		.amdhsa_system_sgpr_workgroup_id_x 1
		.amdhsa_system_sgpr_workgroup_id_y 0
		.amdhsa_system_sgpr_workgroup_id_z 0
		.amdhsa_system_sgpr_workgroup_info 0
		.amdhsa_system_vgpr_workitem_id 0
		.amdhsa_next_free_vgpr 68
		.amdhsa_next_free_sgpr 27
		.amdhsa_accum_offset 68
		.amdhsa_reserve_vcc 1
		.amdhsa_float_round_mode_32 0
		.amdhsa_float_round_mode_16_64 0
		.amdhsa_float_denorm_mode_32 3
		.amdhsa_float_denorm_mode_16_64 3
		.amdhsa_dx10_clamp 1
		.amdhsa_ieee_mode 1
		.amdhsa_fp16_overflow 0
		.amdhsa_tg_split 0
		.amdhsa_exception_fp_ieee_invalid_op 0
		.amdhsa_exception_fp_denorm_src 0
		.amdhsa_exception_fp_ieee_div_zero 0
		.amdhsa_exception_fp_ieee_overflow 0
		.amdhsa_exception_fp_ieee_underflow 0
		.amdhsa_exception_fp_ieee_inexact 0
		.amdhsa_exception_int_div_zero 0
	.end_amdhsa_kernel
	.section	.text._Z17sort_pairs_kernelIaLj512ELj1EN10test_utils4lessELj10EEvPKT_PS2_T2_,"axG",@progbits,_Z17sort_pairs_kernelIaLj512ELj1EN10test_utils4lessELj10EEvPKT_PS2_T2_,comdat
.Lfunc_end71:
	.size	_Z17sort_pairs_kernelIaLj512ELj1EN10test_utils4lessELj10EEvPKT_PS2_T2_, .Lfunc_end71-_Z17sort_pairs_kernelIaLj512ELj1EN10test_utils4lessELj10EEvPKT_PS2_T2_
                                        ; -- End function
	.section	.AMDGPU.csdata,"",@progbits
; Kernel info:
; codeLenInByte = 3060
; NumSgprs: 33
; NumVgprs: 68
; NumAgprs: 0
; TotalNumVgprs: 68
; ScratchSize: 0
; MemoryBound: 0
; FloatMode: 240
; IeeeMode: 1
; LDSByteSize: 513 bytes/workgroup (compile time only)
; SGPRBlocks: 4
; VGPRBlocks: 8
; NumSGPRsForWavesPerEU: 33
; NumVGPRsForWavesPerEU: 68
; AccumOffset: 68
; Occupancy: 7
; WaveLimiterHint : 0
; COMPUTE_PGM_RSRC2:SCRATCH_EN: 0
; COMPUTE_PGM_RSRC2:USER_SGPR: 2
; COMPUTE_PGM_RSRC2:TRAP_HANDLER: 0
; COMPUTE_PGM_RSRC2:TGID_X_EN: 1
; COMPUTE_PGM_RSRC2:TGID_Y_EN: 0
; COMPUTE_PGM_RSRC2:TGID_Z_EN: 0
; COMPUTE_PGM_RSRC2:TIDIG_COMP_CNT: 0
; COMPUTE_PGM_RSRC3_GFX90A:ACCUM_OFFSET: 16
; COMPUTE_PGM_RSRC3_GFX90A:TG_SPLIT: 0
	.section	.text._Z16sort_keys_kernelIaLj512ELj2EN10test_utils4lessELj10EEvPKT_PS2_T2_,"axG",@progbits,_Z16sort_keys_kernelIaLj512ELj2EN10test_utils4lessELj10EEvPKT_PS2_T2_,comdat
	.protected	_Z16sort_keys_kernelIaLj512ELj2EN10test_utils4lessELj10EEvPKT_PS2_T2_ ; -- Begin function _Z16sort_keys_kernelIaLj512ELj2EN10test_utils4lessELj10EEvPKT_PS2_T2_
	.globl	_Z16sort_keys_kernelIaLj512ELj2EN10test_utils4lessELj10EEvPKT_PS2_T2_
	.p2align	8
	.type	_Z16sort_keys_kernelIaLj512ELj2EN10test_utils4lessELj10EEvPKT_PS2_T2_,@function
_Z16sort_keys_kernelIaLj512ELj2EN10test_utils4lessELj10EEvPKT_PS2_T2_: ; @_Z16sort_keys_kernelIaLj512ELj2EN10test_utils4lessELj10EEvPKT_PS2_T2_
; %bb.0:
	s_load_dwordx4 s[20:23], s[0:1], 0x0
	s_lshl_b32 s24, s2, 10
	v_lshlrev_b32_e32 v2, 1, v0
	v_and_b32_e32 v3, 0x3fc, v2
	v_and_b32_e32 v5, 0x3f8, v2
	s_waitcnt lgkmcnt(0)
	s_add_u32 s0, s20, s24
	s_addc_u32 s1, s21, 0
	global_load_ubyte v48, v0, s[0:1]
	global_load_ubyte v49, v0, s[0:1] offset:512
	v_or_b32_e32 v17, 2, v3
	v_add_u32_e32 v18, 4, v3
	v_and_b32_e32 v4, 2, v2
	v_and_b32_e32 v7, 0x3f0, v2
	v_or_b32_e32 v19, 4, v5
	v_add_u32_e32 v20, 8, v5
	v_sub_u32_e32 v42, v18, v17
	v_and_b32_e32 v6, 6, v2
	v_and_b32_e32 v9, 0x3e0, v2
	v_or_b32_e32 v21, 8, v7
	v_add_u32_e32 v22, 16, v7
	v_sub_u32_e32 v43, v20, v19
	v_sub_u32_e32 v51, v4, v42
	v_cmp_ge_i32_e32 vcc, v4, v42
	v_and_b32_e32 v8, 14, v2
	v_and_b32_e32 v11, 0x3c0, v2
	v_or_b32_e32 v23, 16, v9
	v_add_u32_e32 v24, 32, v9
	v_sub_u32_e32 v44, v22, v21
	v_sub_u32_e32 v52, v6, v43
	v_cndmask_b32_e32 v42, 0, v51, vcc
	v_cmp_ge_i32_e32 vcc, v6, v43
	v_and_b32_e32 v10, 30, v2
	v_and_b32_e32 v13, 0x380, v2
	;; [unrolled: 1-line block ×3, first 2 shown]
	v_or_b32_e32 v25, 32, v11
	v_add_u32_e32 v26, 64, v11
	v_sub_u32_e32 v45, v24, v23
	v_sub_u32_e32 v53, v8, v44
	v_cndmask_b32_e32 v43, 0, v52, vcc
	v_cmp_ge_i32_e32 vcc, v8, v44
	v_and_b32_e32 v12, 62, v2
	v_or_b32_e32 v27, 64, v13
	v_add_u32_e32 v28, 0x80, v13
	v_or_b32_e32 v29, 0x80, v15
	v_add_u32_e32 v30, 0x100, v15
	v_sub_u32_e32 v46, v26, v25
	v_sub_u32_e32 v54, v10, v45
	v_cndmask_b32_e32 v44, 0, v53, vcc
	v_cmp_ge_i32_e32 vcc, v10, v45
	v_and_b32_e32 v51, 0x200, v2
	v_and_b32_e32 v14, 0x7e, v2
	;; [unrolled: 1-line block ×3, first 2 shown]
	v_sub_u32_e32 v47, v28, v27
	v_sub_u32_e32 v55, v12, v46
	v_cndmask_b32_e32 v45, 0, v54, vcc
	v_cmp_ge_i32_e32 vcc, v12, v46
	v_or_b32_e32 v53, 0x100, v51
	v_add_u32_e32 v54, 0x200, v51
	v_sub_u32_e32 v50, v29, v15
	v_sub_u32_e32 v56, v14, v47
	v_cndmask_b32_e32 v46, 0, v55, vcc
	v_cmp_ge_i32_e32 vcc, v14, v47
	v_and_b32_e32 v52, 0x1fe, v2
	v_sub_u32_e32 v55, v54, v53
	v_sub_u32_e32 v36, v17, v3
	;; [unrolled: 1-line block ×7, first 2 shown]
	v_cndmask_b32_e32 v47, 0, v56, vcc
	v_sub_u32_e32 v56, v53, v51
	v_sub_u32_e32 v57, v52, v55
	v_cmp_ge_i32_e64 s[12:13], v52, v55
	v_min_i32_e32 v36, v4, v36
	v_min_i32_e32 v37, v6, v37
	;; [unrolled: 1-line block ×6, first 2 shown]
	v_cndmask_b32_e64 v55, 0, v57, s[12:13]
	v_min_i32_e32 v56, v52, v56
	v_min_i32_e32 v58, 0x200, v2
	s_mov_b32 s25, 0
	v_mov_b32_e32 v1, 0
	v_add_u32_e32 v31, v17, v4
	v_add_u32_e32 v32, v19, v6
	;; [unrolled: 1-line block ×3, first 2 shown]
	s_waitcnt vmcnt(0)
	v_lshlrev_b16_e32 v49, 8, v49
	v_or_b32_e32 v48, v48, v49
	v_and_b32_e32 v63, 0xffff, v48
	v_sub_u32_e32 v48, v30, v29
	v_sub_u32_e32 v49, v16, v48
	v_cmp_ge_i32_e64 s[10:11], v16, v48
	v_add_u32_e32 v34, v23, v10
	v_add_u32_e32 v35, v25, v12
	v_cndmask_b32_e64 v48, 0, v49, s[10:11]
	v_min_i32_e32 v49, v16, v50
	v_mov_b32_e32 v50, 0x200
	v_sub_u32_e64 v57, v2, v50 clamp
	v_cmp_lt_i32_e32 vcc, v42, v36
	v_cmp_lt_i32_e64 s[0:1], v43, v37
	v_cmp_lt_i32_e64 s[2:3], v44, v38
	;; [unrolled: 1-line block ×8, first 2 shown]
	s_mov_b32 s26, 0xc0c0001
	s_movk_i32 s27, 0x400
	v_add_u32_e32 v59, v27, v14
	v_add_u32_e32 v60, v29, v16
	;; [unrolled: 1-line block ×4, first 2 shown]
	s_branch .LBB72_2
.LBB72_1:                               ;   in Loop: Header=BB72_2 Depth=1
	s_or_b64 exec, exec, s[18:19]
	v_cmp_ge_i32_e64 s[18:19], v68, v50
	s_waitcnt lgkmcnt(0)
	v_cmp_lt_i16_sdwa s[20:21], sext(v69), sext(v67) src0_sel:BYTE_0 src1_sel:BYTE_0
	v_cndmask_b32_e64 v65, v65, v66, s[16:17]
	v_cmp_gt_i32_e64 s[16:17], s27, v64
	s_or_b64 s[18:19], s[18:19], s[20:21]
	s_and_b64 s[16:17], s[16:17], s[18:19]
	v_cndmask_b32_e64 v64, v67, v69, s[16:17]
	v_lshlrev_b16_e32 v63, 8, v64
	v_or_b32_sdwa v63, v65, v63 dst_sel:DWORD dst_unused:UNUSED_PAD src0_sel:BYTE_0 src1_sel:DWORD
	s_add_i32 s25, s25, 1
	s_cmp_eq_u32 s25, 10
	v_and_b32_e32 v63, 0xffff, v63
	s_cbranch_scc1 .LBB72_74
.LBB72_2:                               ; =>This Loop Header: Depth=1
                                        ;     Child Loop BB72_4 Depth 2
                                        ;     Child Loop BB72_12 Depth 2
                                        ;     Child Loop BB72_20 Depth 2
                                        ;     Child Loop BB72_28 Depth 2
                                        ;     Child Loop BB72_36 Depth 2
                                        ;     Child Loop BB72_44 Depth 2
                                        ;     Child Loop BB72_52 Depth 2
                                        ;     Child Loop BB72_60 Depth 2
                                        ;     Child Loop BB72_68 Depth 2
	v_perm_b32 v64, 0, v63, s26
	v_cmp_lt_i16_sdwa s[16:17], sext(v63), sext(v63) src0_sel:BYTE_1 src1_sel:BYTE_0
	s_barrier
	s_nop 0
	v_cndmask_b32_e64 v63, v63, v64, s[16:17]
	ds_write_b8 v2, v63
	v_lshrrev_b16_e32 v63, 8, v63
	v_mov_b32_e32 v64, v42
	ds_write_b8 v2, v63 offset:1
	s_waitcnt lgkmcnt(0)
	s_barrier
	s_and_saveexec_b64 s[18:19], vcc
	s_cbranch_execz .LBB72_6
; %bb.3:                                ;   in Loop: Header=BB72_2 Depth=1
	s_mov_b64 s[20:21], 0
	v_mov_b32_e32 v64, v42
	v_mov_b32_e32 v63, v36
.LBB72_4:                               ;   Parent Loop BB72_2 Depth=1
                                        ; =>  This Inner Loop Header: Depth=2
	v_sub_u32_e32 v65, v63, v64
	v_lshrrev_b32_e32 v66, 31, v65
	v_add_u32_e32 v65, v65, v66
	v_ashrrev_i32_e32 v65, 1, v65
	v_add_u32_e32 v65, v65, v64
	v_not_b32_e32 v67, v65
	v_add_u32_e32 v66, v3, v65
	v_add3_u32 v67, v4, v67, v17
	ds_read_i8 v66, v66
	ds_read_i8 v67, v67
	v_add_u32_e32 v68, 1, v65
	s_waitcnt lgkmcnt(0)
	v_cmp_lt_i16_e64 s[16:17], v67, v66
	s_nop 1
	v_cndmask_b32_e64 v63, v63, v65, s[16:17]
	v_cndmask_b32_e64 v64, v68, v64, s[16:17]
	v_cmp_ge_i32_e64 s[16:17], v64, v63
	s_or_b64 s[20:21], s[16:17], s[20:21]
	s_andn2_b64 exec, exec, s[20:21]
	s_cbranch_execnz .LBB72_4
; %bb.5:                                ;   in Loop: Header=BB72_2 Depth=1
	s_or_b64 exec, exec, s[20:21]
.LBB72_6:                               ;   in Loop: Header=BB72_2 Depth=1
	s_or_b64 exec, exec, s[18:19]
	v_add_u32_e32 v63, v64, v3
	v_sub_u32_e32 v64, v31, v64
	ds_read_u8 v65, v63
	ds_read_u8 v66, v64
	v_cmp_le_i32_e64 s[18:19], v17, v63
	v_cmp_gt_i32_e64 s[16:17], v18, v64
                                        ; implicit-def: $vgpr67
	s_waitcnt lgkmcnt(1)
	v_bfe_i32 v65, v65, 0, 8
	s_waitcnt lgkmcnt(0)
	v_bfe_i32 v66, v66, 0, 8
	v_cmp_lt_i16_e64 s[20:21], v66, v65
	s_or_b64 s[18:19], s[18:19], s[20:21]
	s_and_b64 s[16:17], s[16:17], s[18:19]
	s_xor_b64 s[18:19], s[16:17], -1
	s_and_saveexec_b64 s[20:21], s[18:19]
	s_xor_b64 s[18:19], exec, s[20:21]
	s_cbranch_execz .LBB72_8
; %bb.7:                                ;   in Loop: Header=BB72_2 Depth=1
	ds_read_u8 v67, v63 offset:1
.LBB72_8:                               ;   in Loop: Header=BB72_2 Depth=1
	s_or_saveexec_b64 s[18:19], s[18:19]
	v_mov_b32_e32 v68, v66
	s_xor_b64 exec, exec, s[18:19]
	s_cbranch_execz .LBB72_10
; %bb.9:                                ;   in Loop: Header=BB72_2 Depth=1
	ds_read_u8 v68, v64 offset:1
	s_waitcnt lgkmcnt(1)
	v_mov_b32_e32 v67, v65
.LBB72_10:                              ;   in Loop: Header=BB72_2 Depth=1
	s_or_b64 exec, exec, s[18:19]
	v_add_u32_e32 v69, 1, v63
	v_cndmask_b32_e64 v65, v65, v66, s[16:17]
	v_add_u32_e32 v66, 1, v64
	v_cndmask_b32_e64 v63, v69, v63, s[16:17]
	v_cndmask_b32_e64 v64, v64, v66, s[16:17]
	v_cmp_ge_i32_e64 s[18:19], v63, v17
	s_waitcnt lgkmcnt(0)
	v_cmp_lt_i16_sdwa s[20:21], sext(v68), sext(v67) src0_sel:BYTE_0 src1_sel:BYTE_0
	v_cmp_lt_i32_e64 s[16:17], v64, v18
	s_or_b64 s[18:19], s[18:19], s[20:21]
	s_and_b64 s[16:17], s[16:17], s[18:19]
	v_mov_b32_e32 v64, v43
	v_cndmask_b32_e64 v63, v67, v68, s[16:17]
	s_barrier
	ds_write_b8 v2, v65
	ds_write_b8 v2, v63 offset:1
	s_waitcnt lgkmcnt(0)
	s_barrier
	s_and_saveexec_b64 s[18:19], s[0:1]
	s_cbranch_execz .LBB72_14
; %bb.11:                               ;   in Loop: Header=BB72_2 Depth=1
	s_mov_b64 s[20:21], 0
	v_mov_b32_e32 v64, v43
	v_mov_b32_e32 v63, v37
.LBB72_12:                              ;   Parent Loop BB72_2 Depth=1
                                        ; =>  This Inner Loop Header: Depth=2
	v_sub_u32_e32 v65, v63, v64
	v_lshrrev_b32_e32 v66, 31, v65
	v_add_u32_e32 v65, v65, v66
	v_ashrrev_i32_e32 v65, 1, v65
	v_add_u32_e32 v65, v65, v64
	v_not_b32_e32 v67, v65
	v_add_u32_e32 v66, v5, v65
	v_add3_u32 v67, v6, v67, v19
	ds_read_i8 v66, v66
	ds_read_i8 v67, v67
	v_add_u32_e32 v68, 1, v65
	s_waitcnt lgkmcnt(0)
	v_cmp_lt_i16_e64 s[16:17], v67, v66
	s_nop 1
	v_cndmask_b32_e64 v63, v63, v65, s[16:17]
	v_cndmask_b32_e64 v64, v68, v64, s[16:17]
	v_cmp_ge_i32_e64 s[16:17], v64, v63
	s_or_b64 s[20:21], s[16:17], s[20:21]
	s_andn2_b64 exec, exec, s[20:21]
	s_cbranch_execnz .LBB72_12
; %bb.13:                               ;   in Loop: Header=BB72_2 Depth=1
	s_or_b64 exec, exec, s[20:21]
.LBB72_14:                              ;   in Loop: Header=BB72_2 Depth=1
	s_or_b64 exec, exec, s[18:19]
	v_add_u32_e32 v63, v64, v5
	v_sub_u32_e32 v64, v32, v64
	ds_read_u8 v65, v63
	ds_read_u8 v66, v64
	v_cmp_le_i32_e64 s[18:19], v19, v63
	v_cmp_gt_i32_e64 s[16:17], v20, v64
                                        ; implicit-def: $vgpr67
	s_waitcnt lgkmcnt(1)
	v_bfe_i32 v65, v65, 0, 8
	s_waitcnt lgkmcnt(0)
	v_bfe_i32 v66, v66, 0, 8
	v_cmp_lt_i16_e64 s[20:21], v66, v65
	s_or_b64 s[18:19], s[18:19], s[20:21]
	s_and_b64 s[16:17], s[16:17], s[18:19]
	s_xor_b64 s[18:19], s[16:17], -1
	s_and_saveexec_b64 s[20:21], s[18:19]
	s_xor_b64 s[18:19], exec, s[20:21]
	s_cbranch_execz .LBB72_16
; %bb.15:                               ;   in Loop: Header=BB72_2 Depth=1
	ds_read_u8 v67, v63 offset:1
.LBB72_16:                              ;   in Loop: Header=BB72_2 Depth=1
	s_or_saveexec_b64 s[18:19], s[18:19]
	v_mov_b32_e32 v68, v66
	s_xor_b64 exec, exec, s[18:19]
	s_cbranch_execz .LBB72_18
; %bb.17:                               ;   in Loop: Header=BB72_2 Depth=1
	ds_read_u8 v68, v64 offset:1
	s_waitcnt lgkmcnt(1)
	v_mov_b32_e32 v67, v65
.LBB72_18:                              ;   in Loop: Header=BB72_2 Depth=1
	s_or_b64 exec, exec, s[18:19]
	v_add_u32_e32 v69, 1, v63
	v_cndmask_b32_e64 v65, v65, v66, s[16:17]
	v_add_u32_e32 v66, 1, v64
	v_cndmask_b32_e64 v63, v69, v63, s[16:17]
	v_cndmask_b32_e64 v64, v64, v66, s[16:17]
	v_cmp_ge_i32_e64 s[18:19], v63, v19
	s_waitcnt lgkmcnt(0)
	v_cmp_lt_i16_sdwa s[20:21], sext(v68), sext(v67) src0_sel:BYTE_0 src1_sel:BYTE_0
	v_cmp_lt_i32_e64 s[16:17], v64, v20
	s_or_b64 s[18:19], s[18:19], s[20:21]
	s_and_b64 s[16:17], s[16:17], s[18:19]
	v_mov_b32_e32 v64, v44
	v_cndmask_b32_e64 v63, v67, v68, s[16:17]
	s_barrier
	ds_write_b8 v2, v65
	ds_write_b8 v2, v63 offset:1
	s_waitcnt lgkmcnt(0)
	s_barrier
	s_and_saveexec_b64 s[18:19], s[2:3]
	s_cbranch_execz .LBB72_22
; %bb.19:                               ;   in Loop: Header=BB72_2 Depth=1
	s_mov_b64 s[20:21], 0
	v_mov_b32_e32 v64, v44
	v_mov_b32_e32 v63, v38
.LBB72_20:                              ;   Parent Loop BB72_2 Depth=1
                                        ; =>  This Inner Loop Header: Depth=2
	v_sub_u32_e32 v65, v63, v64
	v_lshrrev_b32_e32 v66, 31, v65
	v_add_u32_e32 v65, v65, v66
	v_ashrrev_i32_e32 v65, 1, v65
	v_add_u32_e32 v65, v65, v64
	v_not_b32_e32 v67, v65
	v_add_u32_e32 v66, v7, v65
	v_add3_u32 v67, v8, v67, v21
	ds_read_i8 v66, v66
	ds_read_i8 v67, v67
	v_add_u32_e32 v68, 1, v65
	s_waitcnt lgkmcnt(0)
	v_cmp_lt_i16_e64 s[16:17], v67, v66
	s_nop 1
	v_cndmask_b32_e64 v63, v63, v65, s[16:17]
	v_cndmask_b32_e64 v64, v68, v64, s[16:17]
	v_cmp_ge_i32_e64 s[16:17], v64, v63
	s_or_b64 s[20:21], s[16:17], s[20:21]
	s_andn2_b64 exec, exec, s[20:21]
	s_cbranch_execnz .LBB72_20
; %bb.21:                               ;   in Loop: Header=BB72_2 Depth=1
	s_or_b64 exec, exec, s[20:21]
.LBB72_22:                              ;   in Loop: Header=BB72_2 Depth=1
	s_or_b64 exec, exec, s[18:19]
	v_add_u32_e32 v63, v64, v7
	v_sub_u32_e32 v64, v33, v64
	ds_read_u8 v65, v63
	ds_read_u8 v66, v64
	v_cmp_le_i32_e64 s[18:19], v21, v63
	v_cmp_gt_i32_e64 s[16:17], v22, v64
                                        ; implicit-def: $vgpr67
	s_waitcnt lgkmcnt(1)
	v_bfe_i32 v65, v65, 0, 8
	s_waitcnt lgkmcnt(0)
	v_bfe_i32 v66, v66, 0, 8
	v_cmp_lt_i16_e64 s[20:21], v66, v65
	s_or_b64 s[18:19], s[18:19], s[20:21]
	s_and_b64 s[16:17], s[16:17], s[18:19]
	s_xor_b64 s[18:19], s[16:17], -1
	s_and_saveexec_b64 s[20:21], s[18:19]
	s_xor_b64 s[18:19], exec, s[20:21]
	s_cbranch_execz .LBB72_24
; %bb.23:                               ;   in Loop: Header=BB72_2 Depth=1
	ds_read_u8 v67, v63 offset:1
.LBB72_24:                              ;   in Loop: Header=BB72_2 Depth=1
	s_or_saveexec_b64 s[18:19], s[18:19]
	v_mov_b32_e32 v68, v66
	s_xor_b64 exec, exec, s[18:19]
	s_cbranch_execz .LBB72_26
; %bb.25:                               ;   in Loop: Header=BB72_2 Depth=1
	ds_read_u8 v68, v64 offset:1
	s_waitcnt lgkmcnt(1)
	v_mov_b32_e32 v67, v65
.LBB72_26:                              ;   in Loop: Header=BB72_2 Depth=1
	s_or_b64 exec, exec, s[18:19]
	v_add_u32_e32 v69, 1, v63
	v_cndmask_b32_e64 v65, v65, v66, s[16:17]
	v_add_u32_e32 v66, 1, v64
	v_cndmask_b32_e64 v63, v69, v63, s[16:17]
	v_cndmask_b32_e64 v64, v64, v66, s[16:17]
	v_cmp_ge_i32_e64 s[18:19], v63, v21
	s_waitcnt lgkmcnt(0)
	v_cmp_lt_i16_sdwa s[20:21], sext(v68), sext(v67) src0_sel:BYTE_0 src1_sel:BYTE_0
	v_cmp_lt_i32_e64 s[16:17], v64, v22
	s_or_b64 s[18:19], s[18:19], s[20:21]
	s_and_b64 s[16:17], s[16:17], s[18:19]
	v_mov_b32_e32 v64, v45
	v_cndmask_b32_e64 v63, v67, v68, s[16:17]
	s_barrier
	ds_write_b8 v2, v65
	ds_write_b8 v2, v63 offset:1
	s_waitcnt lgkmcnt(0)
	s_barrier
	s_and_saveexec_b64 s[18:19], s[4:5]
	s_cbranch_execz .LBB72_30
; %bb.27:                               ;   in Loop: Header=BB72_2 Depth=1
	s_mov_b64 s[20:21], 0
	v_mov_b32_e32 v64, v45
	v_mov_b32_e32 v63, v39
.LBB72_28:                              ;   Parent Loop BB72_2 Depth=1
                                        ; =>  This Inner Loop Header: Depth=2
	v_sub_u32_e32 v65, v63, v64
	v_lshrrev_b32_e32 v66, 31, v65
	v_add_u32_e32 v65, v65, v66
	v_ashrrev_i32_e32 v65, 1, v65
	v_add_u32_e32 v65, v65, v64
	v_not_b32_e32 v67, v65
	v_add_u32_e32 v66, v9, v65
	v_add3_u32 v67, v10, v67, v23
	ds_read_i8 v66, v66
	ds_read_i8 v67, v67
	v_add_u32_e32 v68, 1, v65
	s_waitcnt lgkmcnt(0)
	v_cmp_lt_i16_e64 s[16:17], v67, v66
	s_nop 1
	v_cndmask_b32_e64 v63, v63, v65, s[16:17]
	v_cndmask_b32_e64 v64, v68, v64, s[16:17]
	v_cmp_ge_i32_e64 s[16:17], v64, v63
	s_or_b64 s[20:21], s[16:17], s[20:21]
	s_andn2_b64 exec, exec, s[20:21]
	s_cbranch_execnz .LBB72_28
; %bb.29:                               ;   in Loop: Header=BB72_2 Depth=1
	s_or_b64 exec, exec, s[20:21]
.LBB72_30:                              ;   in Loop: Header=BB72_2 Depth=1
	s_or_b64 exec, exec, s[18:19]
	v_add_u32_e32 v63, v64, v9
	v_sub_u32_e32 v64, v34, v64
	ds_read_u8 v65, v63
	ds_read_u8 v66, v64
	v_cmp_le_i32_e64 s[18:19], v23, v63
	v_cmp_gt_i32_e64 s[16:17], v24, v64
                                        ; implicit-def: $vgpr67
	s_waitcnt lgkmcnt(1)
	v_bfe_i32 v65, v65, 0, 8
	s_waitcnt lgkmcnt(0)
	v_bfe_i32 v66, v66, 0, 8
	v_cmp_lt_i16_e64 s[20:21], v66, v65
	s_or_b64 s[18:19], s[18:19], s[20:21]
	s_and_b64 s[16:17], s[16:17], s[18:19]
	s_xor_b64 s[18:19], s[16:17], -1
	s_and_saveexec_b64 s[20:21], s[18:19]
	s_xor_b64 s[18:19], exec, s[20:21]
	s_cbranch_execz .LBB72_32
; %bb.31:                               ;   in Loop: Header=BB72_2 Depth=1
	ds_read_u8 v67, v63 offset:1
.LBB72_32:                              ;   in Loop: Header=BB72_2 Depth=1
	s_or_saveexec_b64 s[18:19], s[18:19]
	v_mov_b32_e32 v68, v66
	s_xor_b64 exec, exec, s[18:19]
	s_cbranch_execz .LBB72_34
; %bb.33:                               ;   in Loop: Header=BB72_2 Depth=1
	ds_read_u8 v68, v64 offset:1
	s_waitcnt lgkmcnt(1)
	v_mov_b32_e32 v67, v65
.LBB72_34:                              ;   in Loop: Header=BB72_2 Depth=1
	s_or_b64 exec, exec, s[18:19]
	v_add_u32_e32 v69, 1, v63
	v_cndmask_b32_e64 v65, v65, v66, s[16:17]
	v_add_u32_e32 v66, 1, v64
	v_cndmask_b32_e64 v63, v69, v63, s[16:17]
	v_cndmask_b32_e64 v64, v64, v66, s[16:17]
	v_cmp_ge_i32_e64 s[18:19], v63, v23
	s_waitcnt lgkmcnt(0)
	v_cmp_lt_i16_sdwa s[20:21], sext(v68), sext(v67) src0_sel:BYTE_0 src1_sel:BYTE_0
	v_cmp_lt_i32_e64 s[16:17], v64, v24
	s_or_b64 s[18:19], s[18:19], s[20:21]
	s_and_b64 s[16:17], s[16:17], s[18:19]
	v_mov_b32_e32 v64, v46
	v_cndmask_b32_e64 v63, v67, v68, s[16:17]
	s_barrier
	ds_write_b8 v2, v65
	ds_write_b8 v2, v63 offset:1
	s_waitcnt lgkmcnt(0)
	s_barrier
	s_and_saveexec_b64 s[18:19], s[6:7]
	s_cbranch_execz .LBB72_38
; %bb.35:                               ;   in Loop: Header=BB72_2 Depth=1
	s_mov_b64 s[20:21], 0
	v_mov_b32_e32 v64, v46
	v_mov_b32_e32 v63, v40
.LBB72_36:                              ;   Parent Loop BB72_2 Depth=1
                                        ; =>  This Inner Loop Header: Depth=2
	v_sub_u32_e32 v65, v63, v64
	v_lshrrev_b32_e32 v66, 31, v65
	v_add_u32_e32 v65, v65, v66
	v_ashrrev_i32_e32 v65, 1, v65
	v_add_u32_e32 v65, v65, v64
	v_not_b32_e32 v67, v65
	v_add_u32_e32 v66, v11, v65
	v_add3_u32 v67, v12, v67, v25
	ds_read_i8 v66, v66
	ds_read_i8 v67, v67
	v_add_u32_e32 v68, 1, v65
	s_waitcnt lgkmcnt(0)
	v_cmp_lt_i16_e64 s[16:17], v67, v66
	s_nop 1
	v_cndmask_b32_e64 v63, v63, v65, s[16:17]
	v_cndmask_b32_e64 v64, v68, v64, s[16:17]
	v_cmp_ge_i32_e64 s[16:17], v64, v63
	s_or_b64 s[20:21], s[16:17], s[20:21]
	s_andn2_b64 exec, exec, s[20:21]
	s_cbranch_execnz .LBB72_36
; %bb.37:                               ;   in Loop: Header=BB72_2 Depth=1
	s_or_b64 exec, exec, s[20:21]
.LBB72_38:                              ;   in Loop: Header=BB72_2 Depth=1
	s_or_b64 exec, exec, s[18:19]
	v_add_u32_e32 v63, v64, v11
	v_sub_u32_e32 v64, v35, v64
	ds_read_u8 v65, v63
	ds_read_u8 v66, v64
	v_cmp_le_i32_e64 s[18:19], v25, v63
	v_cmp_gt_i32_e64 s[16:17], v26, v64
                                        ; implicit-def: $vgpr67
	s_waitcnt lgkmcnt(1)
	v_bfe_i32 v65, v65, 0, 8
	s_waitcnt lgkmcnt(0)
	v_bfe_i32 v66, v66, 0, 8
	v_cmp_lt_i16_e64 s[20:21], v66, v65
	s_or_b64 s[18:19], s[18:19], s[20:21]
	s_and_b64 s[16:17], s[16:17], s[18:19]
	s_xor_b64 s[18:19], s[16:17], -1
	s_and_saveexec_b64 s[20:21], s[18:19]
	s_xor_b64 s[18:19], exec, s[20:21]
	s_cbranch_execz .LBB72_40
; %bb.39:                               ;   in Loop: Header=BB72_2 Depth=1
	ds_read_u8 v67, v63 offset:1
.LBB72_40:                              ;   in Loop: Header=BB72_2 Depth=1
	s_or_saveexec_b64 s[18:19], s[18:19]
	v_mov_b32_e32 v68, v66
	s_xor_b64 exec, exec, s[18:19]
	s_cbranch_execz .LBB72_42
; %bb.41:                               ;   in Loop: Header=BB72_2 Depth=1
	ds_read_u8 v68, v64 offset:1
	s_waitcnt lgkmcnt(1)
	v_mov_b32_e32 v67, v65
.LBB72_42:                              ;   in Loop: Header=BB72_2 Depth=1
	s_or_b64 exec, exec, s[18:19]
	v_add_u32_e32 v69, 1, v63
	v_cndmask_b32_e64 v65, v65, v66, s[16:17]
	v_add_u32_e32 v66, 1, v64
	v_cndmask_b32_e64 v63, v69, v63, s[16:17]
	v_cndmask_b32_e64 v64, v64, v66, s[16:17]
	v_cmp_ge_i32_e64 s[18:19], v63, v25
	s_waitcnt lgkmcnt(0)
	v_cmp_lt_i16_sdwa s[20:21], sext(v68), sext(v67) src0_sel:BYTE_0 src1_sel:BYTE_0
	v_cmp_lt_i32_e64 s[16:17], v64, v26
	s_or_b64 s[18:19], s[18:19], s[20:21]
	s_and_b64 s[16:17], s[16:17], s[18:19]
	v_mov_b32_e32 v64, v47
	v_cndmask_b32_e64 v63, v67, v68, s[16:17]
	s_barrier
	ds_write_b8 v2, v65
	ds_write_b8 v2, v63 offset:1
	s_waitcnt lgkmcnt(0)
	s_barrier
	s_and_saveexec_b64 s[18:19], s[8:9]
	s_cbranch_execz .LBB72_46
; %bb.43:                               ;   in Loop: Header=BB72_2 Depth=1
	s_mov_b64 s[20:21], 0
	v_mov_b32_e32 v64, v47
	v_mov_b32_e32 v63, v41
.LBB72_44:                              ;   Parent Loop BB72_2 Depth=1
                                        ; =>  This Inner Loop Header: Depth=2
	v_sub_u32_e32 v65, v63, v64
	v_lshrrev_b32_e32 v66, 31, v65
	v_add_u32_e32 v65, v65, v66
	v_ashrrev_i32_e32 v65, 1, v65
	v_add_u32_e32 v65, v65, v64
	v_not_b32_e32 v67, v65
	v_add_u32_e32 v66, v13, v65
	v_add3_u32 v67, v14, v67, v27
	ds_read_i8 v66, v66
	ds_read_i8 v67, v67
	v_add_u32_e32 v68, 1, v65
	s_waitcnt lgkmcnt(0)
	v_cmp_lt_i16_e64 s[16:17], v67, v66
	s_nop 1
	v_cndmask_b32_e64 v63, v63, v65, s[16:17]
	v_cndmask_b32_e64 v64, v68, v64, s[16:17]
	v_cmp_ge_i32_e64 s[16:17], v64, v63
	s_or_b64 s[20:21], s[16:17], s[20:21]
	s_andn2_b64 exec, exec, s[20:21]
	s_cbranch_execnz .LBB72_44
; %bb.45:                               ;   in Loop: Header=BB72_2 Depth=1
	s_or_b64 exec, exec, s[20:21]
.LBB72_46:                              ;   in Loop: Header=BB72_2 Depth=1
	s_or_b64 exec, exec, s[18:19]
	v_add_u32_e32 v63, v64, v13
	v_sub_u32_e32 v64, v59, v64
	ds_read_u8 v65, v63
	ds_read_u8 v66, v64
	v_cmp_le_i32_e64 s[18:19], v27, v63
	v_cmp_gt_i32_e64 s[16:17], v28, v64
                                        ; implicit-def: $vgpr67
	s_waitcnt lgkmcnt(1)
	v_bfe_i32 v65, v65, 0, 8
	s_waitcnt lgkmcnt(0)
	v_bfe_i32 v66, v66, 0, 8
	v_cmp_lt_i16_e64 s[20:21], v66, v65
	s_or_b64 s[18:19], s[18:19], s[20:21]
	s_and_b64 s[16:17], s[16:17], s[18:19]
	s_xor_b64 s[18:19], s[16:17], -1
	s_and_saveexec_b64 s[20:21], s[18:19]
	s_xor_b64 s[18:19], exec, s[20:21]
	s_cbranch_execz .LBB72_48
; %bb.47:                               ;   in Loop: Header=BB72_2 Depth=1
	ds_read_u8 v67, v63 offset:1
.LBB72_48:                              ;   in Loop: Header=BB72_2 Depth=1
	s_or_saveexec_b64 s[18:19], s[18:19]
	v_mov_b32_e32 v68, v66
	s_xor_b64 exec, exec, s[18:19]
	s_cbranch_execz .LBB72_50
; %bb.49:                               ;   in Loop: Header=BB72_2 Depth=1
	ds_read_u8 v68, v64 offset:1
	s_waitcnt lgkmcnt(1)
	v_mov_b32_e32 v67, v65
.LBB72_50:                              ;   in Loop: Header=BB72_2 Depth=1
	s_or_b64 exec, exec, s[18:19]
	v_add_u32_e32 v69, 1, v63
	v_cndmask_b32_e64 v65, v65, v66, s[16:17]
	v_add_u32_e32 v66, 1, v64
	v_cndmask_b32_e64 v63, v69, v63, s[16:17]
	v_cndmask_b32_e64 v64, v64, v66, s[16:17]
	v_cmp_ge_i32_e64 s[18:19], v63, v27
	s_waitcnt lgkmcnt(0)
	v_cmp_lt_i16_sdwa s[20:21], sext(v68), sext(v67) src0_sel:BYTE_0 src1_sel:BYTE_0
	v_cmp_lt_i32_e64 s[16:17], v64, v28
	s_or_b64 s[18:19], s[18:19], s[20:21]
	s_and_b64 s[16:17], s[16:17], s[18:19]
	v_mov_b32_e32 v64, v48
	v_cndmask_b32_e64 v63, v67, v68, s[16:17]
	s_barrier
	ds_write_b8 v2, v65
	ds_write_b8 v2, v63 offset:1
	s_waitcnt lgkmcnt(0)
	s_barrier
	s_and_saveexec_b64 s[18:19], s[10:11]
	s_cbranch_execz .LBB72_54
; %bb.51:                               ;   in Loop: Header=BB72_2 Depth=1
	s_mov_b64 s[20:21], 0
	v_mov_b32_e32 v64, v48
	v_mov_b32_e32 v63, v49
.LBB72_52:                              ;   Parent Loop BB72_2 Depth=1
                                        ; =>  This Inner Loop Header: Depth=2
	v_sub_u32_e32 v65, v63, v64
	v_lshrrev_b32_e32 v66, 31, v65
	v_add_u32_e32 v65, v65, v66
	v_ashrrev_i32_e32 v65, 1, v65
	v_add_u32_e32 v65, v65, v64
	v_not_b32_e32 v67, v65
	v_add_u32_e32 v66, v15, v65
	v_add3_u32 v67, v16, v67, v29
	ds_read_i8 v66, v66
	ds_read_i8 v67, v67
	v_add_u32_e32 v68, 1, v65
	s_waitcnt lgkmcnt(0)
	v_cmp_lt_i16_e64 s[16:17], v67, v66
	s_nop 1
	v_cndmask_b32_e64 v63, v63, v65, s[16:17]
	v_cndmask_b32_e64 v64, v68, v64, s[16:17]
	v_cmp_ge_i32_e64 s[16:17], v64, v63
	s_or_b64 s[20:21], s[16:17], s[20:21]
	s_andn2_b64 exec, exec, s[20:21]
	s_cbranch_execnz .LBB72_52
; %bb.53:                               ;   in Loop: Header=BB72_2 Depth=1
	s_or_b64 exec, exec, s[20:21]
.LBB72_54:                              ;   in Loop: Header=BB72_2 Depth=1
	s_or_b64 exec, exec, s[18:19]
	v_add_u32_e32 v63, v64, v15
	v_sub_u32_e32 v64, v60, v64
	ds_read_u8 v65, v63
	ds_read_u8 v66, v64
	v_cmp_le_i32_e64 s[18:19], v29, v63
	v_cmp_gt_i32_e64 s[16:17], v30, v64
                                        ; implicit-def: $vgpr67
	s_waitcnt lgkmcnt(1)
	v_bfe_i32 v65, v65, 0, 8
	s_waitcnt lgkmcnt(0)
	v_bfe_i32 v66, v66, 0, 8
	v_cmp_lt_i16_e64 s[20:21], v66, v65
	s_or_b64 s[18:19], s[18:19], s[20:21]
	s_and_b64 s[16:17], s[16:17], s[18:19]
	s_xor_b64 s[18:19], s[16:17], -1
	s_and_saveexec_b64 s[20:21], s[18:19]
	s_xor_b64 s[18:19], exec, s[20:21]
	s_cbranch_execz .LBB72_56
; %bb.55:                               ;   in Loop: Header=BB72_2 Depth=1
	ds_read_u8 v67, v63 offset:1
.LBB72_56:                              ;   in Loop: Header=BB72_2 Depth=1
	s_or_saveexec_b64 s[18:19], s[18:19]
	v_mov_b32_e32 v68, v66
	s_xor_b64 exec, exec, s[18:19]
	s_cbranch_execz .LBB72_58
; %bb.57:                               ;   in Loop: Header=BB72_2 Depth=1
	ds_read_u8 v68, v64 offset:1
	s_waitcnt lgkmcnt(1)
	v_mov_b32_e32 v67, v65
.LBB72_58:                              ;   in Loop: Header=BB72_2 Depth=1
	s_or_b64 exec, exec, s[18:19]
	v_add_u32_e32 v69, 1, v63
	v_cndmask_b32_e64 v65, v65, v66, s[16:17]
	v_add_u32_e32 v66, 1, v64
	v_cndmask_b32_e64 v63, v69, v63, s[16:17]
	v_cndmask_b32_e64 v64, v64, v66, s[16:17]
	v_cmp_ge_i32_e64 s[18:19], v63, v29
	s_waitcnt lgkmcnt(0)
	v_cmp_lt_i16_sdwa s[20:21], sext(v68), sext(v67) src0_sel:BYTE_0 src1_sel:BYTE_0
	v_cmp_lt_i32_e64 s[16:17], v64, v30
	s_or_b64 s[18:19], s[18:19], s[20:21]
	s_and_b64 s[16:17], s[16:17], s[18:19]
	v_mov_b32_e32 v64, v55
	v_cndmask_b32_e64 v63, v67, v68, s[16:17]
	s_barrier
	ds_write_b8 v2, v65
	ds_write_b8 v2, v63 offset:1
	s_waitcnt lgkmcnt(0)
	s_barrier
	s_and_saveexec_b64 s[18:19], s[12:13]
	s_cbranch_execz .LBB72_62
; %bb.59:                               ;   in Loop: Header=BB72_2 Depth=1
	s_mov_b64 s[20:21], 0
	v_mov_b32_e32 v64, v55
	v_mov_b32_e32 v63, v56
.LBB72_60:                              ;   Parent Loop BB72_2 Depth=1
                                        ; =>  This Inner Loop Header: Depth=2
	v_sub_u32_e32 v65, v63, v64
	v_lshrrev_b32_e32 v66, 31, v65
	v_add_u32_e32 v65, v65, v66
	v_ashrrev_i32_e32 v65, 1, v65
	v_add_u32_e32 v65, v65, v64
	v_not_b32_e32 v67, v65
	v_add_u32_e32 v66, v51, v65
	v_add3_u32 v67, v52, v67, v53
	ds_read_i8 v66, v66
	ds_read_i8 v67, v67
	v_add_u32_e32 v68, 1, v65
	s_waitcnt lgkmcnt(0)
	v_cmp_lt_i16_e64 s[16:17], v67, v66
	s_nop 1
	v_cndmask_b32_e64 v63, v63, v65, s[16:17]
	v_cndmask_b32_e64 v64, v68, v64, s[16:17]
	v_cmp_ge_i32_e64 s[16:17], v64, v63
	s_or_b64 s[20:21], s[16:17], s[20:21]
	s_andn2_b64 exec, exec, s[20:21]
	s_cbranch_execnz .LBB72_60
; %bb.61:                               ;   in Loop: Header=BB72_2 Depth=1
	s_or_b64 exec, exec, s[20:21]
.LBB72_62:                              ;   in Loop: Header=BB72_2 Depth=1
	s_or_b64 exec, exec, s[18:19]
	v_add_u32_e32 v63, v64, v51
	v_sub_u32_e32 v64, v61, v64
	ds_read_u8 v65, v63
	ds_read_u8 v66, v64
	v_cmp_le_i32_e64 s[18:19], v53, v63
	v_cmp_gt_i32_e64 s[16:17], v54, v64
                                        ; implicit-def: $vgpr67
	s_waitcnt lgkmcnt(1)
	v_bfe_i32 v65, v65, 0, 8
	s_waitcnt lgkmcnt(0)
	v_bfe_i32 v66, v66, 0, 8
	v_cmp_lt_i16_e64 s[20:21], v66, v65
	s_or_b64 s[18:19], s[18:19], s[20:21]
	s_and_b64 s[16:17], s[16:17], s[18:19]
	s_xor_b64 s[18:19], s[16:17], -1
	s_and_saveexec_b64 s[20:21], s[18:19]
	s_xor_b64 s[18:19], exec, s[20:21]
	s_cbranch_execz .LBB72_64
; %bb.63:                               ;   in Loop: Header=BB72_2 Depth=1
	ds_read_u8 v67, v63 offset:1
.LBB72_64:                              ;   in Loop: Header=BB72_2 Depth=1
	s_or_saveexec_b64 s[18:19], s[18:19]
	v_mov_b32_e32 v68, v66
	s_xor_b64 exec, exec, s[18:19]
	s_cbranch_execz .LBB72_66
; %bb.65:                               ;   in Loop: Header=BB72_2 Depth=1
	ds_read_u8 v68, v64 offset:1
	s_waitcnt lgkmcnt(1)
	v_mov_b32_e32 v67, v65
.LBB72_66:                              ;   in Loop: Header=BB72_2 Depth=1
	s_or_b64 exec, exec, s[18:19]
	v_add_u32_e32 v69, 1, v63
	v_cndmask_b32_e64 v65, v65, v66, s[16:17]
	v_add_u32_e32 v66, 1, v64
	v_cndmask_b32_e64 v63, v69, v63, s[16:17]
	v_cndmask_b32_e64 v64, v64, v66, s[16:17]
	v_cmp_ge_i32_e64 s[18:19], v63, v53
	s_waitcnt lgkmcnt(0)
	v_cmp_lt_i16_sdwa s[20:21], sext(v68), sext(v67) src0_sel:BYTE_0 src1_sel:BYTE_0
	v_cmp_lt_i32_e64 s[16:17], v64, v54
	s_or_b64 s[18:19], s[18:19], s[20:21]
	s_and_b64 s[16:17], s[16:17], s[18:19]
	v_cndmask_b32_e64 v63, v67, v68, s[16:17]
	s_barrier
	ds_write_b8 v2, v65
	ds_write_b8 v2, v63 offset:1
	v_mov_b32_e32 v63, v57
	s_waitcnt lgkmcnt(0)
	s_barrier
	s_and_saveexec_b64 s[18:19], s[14:15]
	s_cbranch_execz .LBB72_70
; %bb.67:                               ;   in Loop: Header=BB72_2 Depth=1
	s_mov_b64 s[20:21], 0
	v_mov_b32_e32 v63, v57
	v_mov_b32_e32 v64, v58
.LBB72_68:                              ;   Parent Loop BB72_2 Depth=1
                                        ; =>  This Inner Loop Header: Depth=2
	v_sub_u32_e32 v65, v64, v63
	v_lshrrev_b32_e32 v66, 31, v65
	v_add_u32_e32 v65, v65, v66
	v_ashrrev_i32_e32 v65, 1, v65
	v_add_u32_e32 v65, v65, v63
	v_not_b32_e32 v66, v65
	v_add3_u32 v66, v2, v66, v50
	ds_read_i8 v67, v65
	ds_read_i8 v66, v66
	v_add_u32_e32 v68, 1, v65
	s_waitcnt lgkmcnt(0)
	v_cmp_lt_i16_e64 s[16:17], v66, v67
	s_nop 1
	v_cndmask_b32_e64 v64, v64, v65, s[16:17]
	v_cndmask_b32_e64 v63, v68, v63, s[16:17]
	v_cmp_ge_i32_e64 s[16:17], v63, v64
	s_or_b64 s[20:21], s[16:17], s[20:21]
	s_andn2_b64 exec, exec, s[20:21]
	s_cbranch_execnz .LBB72_68
; %bb.69:                               ;   in Loop: Header=BB72_2 Depth=1
	s_or_b64 exec, exec, s[20:21]
.LBB72_70:                              ;   in Loop: Header=BB72_2 Depth=1
	s_or_b64 exec, exec, s[18:19]
	v_sub_u32_e32 v64, v62, v63
	ds_read_u8 v65, v63
	ds_read_u8 v66, v64
	v_cmp_le_i32_e64 s[18:19], v50, v63
	v_cmp_gt_i32_e64 s[16:17], s27, v64
                                        ; implicit-def: $vgpr67
                                        ; implicit-def: $vgpr68
	s_waitcnt lgkmcnt(1)
	v_bfe_i32 v65, v65, 0, 8
	s_waitcnt lgkmcnt(0)
	v_bfe_i32 v66, v66, 0, 8
	v_cmp_lt_i16_e64 s[20:21], v66, v65
	s_or_b64 s[18:19], s[18:19], s[20:21]
	s_and_b64 s[16:17], s[16:17], s[18:19]
	s_xor_b64 s[18:19], s[16:17], -1
	s_and_saveexec_b64 s[20:21], s[18:19]
	s_xor_b64 s[18:19], exec, s[20:21]
	s_cbranch_execz .LBB72_72
; %bb.71:                               ;   in Loop: Header=BB72_2 Depth=1
	ds_read_u8 v67, v63 offset:1
	v_add_u32_e32 v68, 1, v63
                                        ; implicit-def: $vgpr63
.LBB72_72:                              ;   in Loop: Header=BB72_2 Depth=1
	s_or_saveexec_b64 s[18:19], s[18:19]
	v_mov_b32_e32 v69, v66
	s_xor_b64 exec, exec, s[18:19]
	s_cbranch_execz .LBB72_1
; %bb.73:                               ;   in Loop: Header=BB72_2 Depth=1
	ds_read_u8 v69, v64 offset:1
	v_add_u32_e32 v64, 1, v64
	v_mov_b32_e32 v68, v63
	s_waitcnt lgkmcnt(1)
	v_mov_b32_e32 v67, v65
	s_branch .LBB72_1
.LBB72_74:
	s_add_u32 s0, s22, s24
	s_addc_u32 s1, s23, 0
	v_lshl_add_u64 v[0:1], s[0:1], 0, v[0:1]
	global_store_byte v[0:1], v65, off
	global_store_byte v[0:1], v64, off offset:512
	s_endpgm
	.section	.rodata,"a",@progbits
	.p2align	6, 0x0
	.amdhsa_kernel _Z16sort_keys_kernelIaLj512ELj2EN10test_utils4lessELj10EEvPKT_PS2_T2_
		.amdhsa_group_segment_fixed_size 1025
		.amdhsa_private_segment_fixed_size 0
		.amdhsa_kernarg_size 20
		.amdhsa_user_sgpr_count 2
		.amdhsa_user_sgpr_dispatch_ptr 0
		.amdhsa_user_sgpr_queue_ptr 0
		.amdhsa_user_sgpr_kernarg_segment_ptr 1
		.amdhsa_user_sgpr_dispatch_id 0
		.amdhsa_user_sgpr_kernarg_preload_length 0
		.amdhsa_user_sgpr_kernarg_preload_offset 0
		.amdhsa_user_sgpr_private_segment_size 0
		.amdhsa_uses_dynamic_stack 0
		.amdhsa_enable_private_segment 0
		.amdhsa_system_sgpr_workgroup_id_x 1
		.amdhsa_system_sgpr_workgroup_id_y 0
		.amdhsa_system_sgpr_workgroup_id_z 0
		.amdhsa_system_sgpr_workgroup_info 0
		.amdhsa_system_vgpr_workitem_id 0
		.amdhsa_next_free_vgpr 70
		.amdhsa_next_free_sgpr 28
		.amdhsa_accum_offset 72
		.amdhsa_reserve_vcc 1
		.amdhsa_float_round_mode_32 0
		.amdhsa_float_round_mode_16_64 0
		.amdhsa_float_denorm_mode_32 3
		.amdhsa_float_denorm_mode_16_64 3
		.amdhsa_dx10_clamp 1
		.amdhsa_ieee_mode 1
		.amdhsa_fp16_overflow 0
		.amdhsa_tg_split 0
		.amdhsa_exception_fp_ieee_invalid_op 0
		.amdhsa_exception_fp_denorm_src 0
		.amdhsa_exception_fp_ieee_div_zero 0
		.amdhsa_exception_fp_ieee_overflow 0
		.amdhsa_exception_fp_ieee_underflow 0
		.amdhsa_exception_fp_ieee_inexact 0
		.amdhsa_exception_int_div_zero 0
	.end_amdhsa_kernel
	.section	.text._Z16sort_keys_kernelIaLj512ELj2EN10test_utils4lessELj10EEvPKT_PS2_T2_,"axG",@progbits,_Z16sort_keys_kernelIaLj512ELj2EN10test_utils4lessELj10EEvPKT_PS2_T2_,comdat
.Lfunc_end72:
	.size	_Z16sort_keys_kernelIaLj512ELj2EN10test_utils4lessELj10EEvPKT_PS2_T2_, .Lfunc_end72-_Z16sort_keys_kernelIaLj512ELj2EN10test_utils4lessELj10EEvPKT_PS2_T2_
                                        ; -- End function
	.section	.AMDGPU.csdata,"",@progbits
; Kernel info:
; codeLenInByte = 4160
; NumSgprs: 34
; NumVgprs: 70
; NumAgprs: 0
; TotalNumVgprs: 70
; ScratchSize: 0
; MemoryBound: 0
; FloatMode: 240
; IeeeMode: 1
; LDSByteSize: 1025 bytes/workgroup (compile time only)
; SGPRBlocks: 4
; VGPRBlocks: 8
; NumSGPRsForWavesPerEU: 34
; NumVGPRsForWavesPerEU: 70
; AccumOffset: 72
; Occupancy: 7
; WaveLimiterHint : 1
; COMPUTE_PGM_RSRC2:SCRATCH_EN: 0
; COMPUTE_PGM_RSRC2:USER_SGPR: 2
; COMPUTE_PGM_RSRC2:TRAP_HANDLER: 0
; COMPUTE_PGM_RSRC2:TGID_X_EN: 1
; COMPUTE_PGM_RSRC2:TGID_Y_EN: 0
; COMPUTE_PGM_RSRC2:TGID_Z_EN: 0
; COMPUTE_PGM_RSRC2:TIDIG_COMP_CNT: 0
; COMPUTE_PGM_RSRC3_GFX90A:ACCUM_OFFSET: 17
; COMPUTE_PGM_RSRC3_GFX90A:TG_SPLIT: 0
	.section	.text._Z17sort_pairs_kernelIaLj512ELj2EN10test_utils4lessELj10EEvPKT_PS2_T2_,"axG",@progbits,_Z17sort_pairs_kernelIaLj512ELj2EN10test_utils4lessELj10EEvPKT_PS2_T2_,comdat
	.protected	_Z17sort_pairs_kernelIaLj512ELj2EN10test_utils4lessELj10EEvPKT_PS2_T2_ ; -- Begin function _Z17sort_pairs_kernelIaLj512ELj2EN10test_utils4lessELj10EEvPKT_PS2_T2_
	.globl	_Z17sort_pairs_kernelIaLj512ELj2EN10test_utils4lessELj10EEvPKT_PS2_T2_
	.p2align	8
	.type	_Z17sort_pairs_kernelIaLj512ELj2EN10test_utils4lessELj10EEvPKT_PS2_T2_,@function
_Z17sort_pairs_kernelIaLj512ELj2EN10test_utils4lessELj10EEvPKT_PS2_T2_: ; @_Z17sort_pairs_kernelIaLj512ELj2EN10test_utils4lessELj10EEvPKT_PS2_T2_
; %bb.0:
	s_load_dwordx4 s[24:27], s[0:1], 0x0
	s_lshl_b32 s28, s2, 10
	v_lshlrev_b32_e32 v5, 1, v0
	v_and_b32_e32 v6, 0x3fc, v5
	v_and_b32_e32 v8, 0x3f8, v5
	s_waitcnt lgkmcnt(0)
	s_add_u32 s0, s24, s28
	s_addc_u32 s1, s25, 0
	global_load_ubyte v2, v0, s[0:1] offset:512
	global_load_ubyte v3, v0, s[0:1]
	v_or_b32_e32 v20, 2, v6
	v_add_u32_e32 v21, 4, v6
	v_and_b32_e32 v7, 2, v5
	v_and_b32_e32 v10, 0x3f0, v5
	v_or_b32_e32 v22, 4, v8
	v_add_u32_e32 v23, 8, v8
	v_sub_u32_e32 v43, v21, v20
	v_and_b32_e32 v9, 6, v5
	v_and_b32_e32 v12, 0x3e0, v5
	v_or_b32_e32 v24, 8, v10
	v_add_u32_e32 v25, 16, v10
	v_sub_u32_e32 v4, v20, v6
	v_sub_u32_e32 v44, v23, v22
	;; [unrolled: 1-line block ×3, first 2 shown]
	v_cmp_ge_i32_e32 vcc, v7, v43
	v_and_b32_e32 v11, 14, v5
	v_and_b32_e32 v14, 0x3c0, v5
	v_or_b32_e32 v26, 16, v12
	v_add_u32_e32 v27, 32, v12
	v_sub_u32_e32 v45, v25, v24
	v_min_i32_e32 v37, v7, v4
	v_sub_u32_e32 v4, v9, v44
	v_cndmask_b32_e32 v43, 0, v49, vcc
	v_cmp_ge_i32_e32 vcc, v9, v44
	v_and_b32_e32 v13, 30, v5
	v_and_b32_e32 v16, 0x380, v5
	v_or_b32_e32 v28, 32, v14
	v_add_u32_e32 v29, 64, v14
	v_sub_u32_e32 v46, v27, v26
	v_sub_u32_e32 v50, v11, v45
	v_cndmask_b32_e32 v44, 0, v4, vcc
	v_cmp_ge_i32_e32 vcc, v11, v45
	v_and_b32_e32 v15, 62, v5
	v_or_b32_e32 v30, 64, v16
	v_add_u32_e32 v31, 0x80, v16
	v_sub_u32_e32 v47, v29, v28
	v_sub_u32_e32 v51, v13, v46
	v_cndmask_b32_e32 v45, 0, v50, vcc
	v_cmp_ge_i32_e32 vcc, v13, v46
	v_and_b32_e32 v17, 0x7e, v5
	v_sub_u32_e32 v48, v31, v30
	v_sub_u32_e32 v52, v15, v47
	v_cndmask_b32_e32 v46, 0, v51, vcc
	v_cmp_ge_i32_e32 vcc, v15, v47
	v_and_b32_e32 v18, 0x300, v5
	v_sub_u32_e32 v53, v17, v48
	v_cndmask_b32_e32 v47, 0, v52, vcc
	v_cmp_ge_i32_e32 vcc, v17, v48
	v_or_b32_e32 v32, 0x80, v18
	v_add_u32_e32 v49, 0x100, v18
	v_cndmask_b32_e32 v48, 0, v53, vcc
	v_and_b32_e32 v53, 0x200, v5
	v_and_b32_e32 v19, 0xfe, v5
	v_sub_u32_e32 v50, v49, v32
	v_or_b32_e32 v55, 0x100, v53
	v_add_u32_e32 v56, 0x200, v53
	v_sub_u32_e32 v51, v19, v50
	v_cmp_ge_i32_e64 s[10:11], v19, v50
	v_and_b32_e32 v54, 0x1fe, v5
	v_sub_u32_e32 v57, v56, v55
	v_sub_u32_e32 v38, v22, v8
	;; [unrolled: 1-line block ×6, first 2 shown]
	v_cndmask_b32_e64 v50, 0, v51, s[10:11]
	v_mov_b32_e32 v52, 0x200
	v_sub_u32_e32 v58, v54, v57
	v_cmp_ge_i32_e64 s[12:13], v54, v57
	v_min_i32_e32 v38, v9, v38
	v_min_i32_e32 v39, v11, v39
	;; [unrolled: 1-line block ×5, first 2 shown]
	v_cndmask_b32_e64 v57, 0, v58, s[12:13]
	v_sub_u32_e64 v59, v5, v52 clamp
	v_min_i32_e32 v60, 0x200, v5
	s_mov_b32 s24, 0
	s_waitcnt vmcnt(1)
	v_lshlrev_b16_e32 v2, 8, v2
	s_waitcnt vmcnt(0)
	v_add_u16_e32 v4, 1, v3
	v_or_b32_e32 v3, v3, v2
	v_or_b32_sdwa v2, v2, v4 dst_sel:DWORD dst_unused:UNUSED_PAD src0_sel:DWORD src1_sel:BYTE_0
	v_sub_u32_e32 v4, v32, v18
	v_min_i32_e32 v51, v19, v4
	v_sub_u32_e32 v4, v55, v53
	v_min_i32_e32 v58, v54, v4
	v_mov_b32_e32 v1, 0
	v_add_u32_e32 v33, v20, v7
	v_add_u32_e32 v34, v22, v9
	;; [unrolled: 1-line block ×4, first 2 shown]
	v_cmp_lt_i32_e32 vcc, v43, v37
	v_cmp_lt_i32_e64 s[0:1], v44, v38
	v_cmp_lt_i32_e64 s[2:3], v45, v39
	;; [unrolled: 1-line block ×5, first 2 shown]
	v_and_b32_e32 v3, 0xffff, v3
	v_add_u16_e32 v2, 0x100, v2
	v_cmp_lt_i32_e64 s[10:11], v50, v51
	v_cmp_lt_i32_e64 s[12:13], v57, v58
	v_cmp_lt_i32_e64 s[14:15], v59, v60
	s_mov_b32 s25, 0xc0c0001
	s_movk_i32 s29, 0x400
	v_add_u32_e32 v61, v28, v15
	v_add_u32_e32 v62, v30, v17
	;; [unrolled: 1-line block ×5, first 2 shown]
	s_branch .LBB73_2
.LBB73_1:                               ;   in Loop: Header=BB73_2 Depth=1
	s_or_b64 exec, exec, s[18:19]
	v_cmp_ge_i32_e64 s[20:21], v70, v52
	s_waitcnt lgkmcnt(0)
	v_cmp_lt_i16_sdwa s[22:23], sext(v71), sext(v3) src0_sel:BYTE_0 src1_sel:BYTE_0
	v_cmp_gt_i32_e64 s[18:19], s29, v4
	s_or_b64 s[20:21], s[20:21], s[22:23]
	s_and_b64 s[18:19], s[18:19], s[20:21]
	v_cndmask_b32_e64 v71, v3, v71, s[18:19]
	v_cndmask_b32_e64 v3, v70, v4, s[18:19]
	s_barrier
	ds_write_b8 v5, v66
	ds_write_b8 v5, v67 offset:1
	s_waitcnt lgkmcnt(0)
	s_barrier
	ds_read_u8 v4, v2
	ds_read_u8 v66, v3
	v_cndmask_b32_e64 v67, v68, v69, s[16:17]
	v_lshlrev_b16_e32 v2, 8, v71
	v_or_b32_sdwa v2, v67, v2 dst_sel:DWORD dst_unused:UNUSED_PAD src0_sel:BYTE_0 src1_sel:DWORD
	v_and_b32_e32 v3, 0xffff, v2
	s_waitcnt lgkmcnt(0)
	v_lshlrev_b16_e32 v2, 8, v66
	v_or_b32_e32 v2, v4, v2
	s_add_i32 s24, s24, 1
	s_cmp_eq_u32 s24, 10
	v_and_b32_e32 v2, 0xffff, v2
	s_cbranch_scc1 .LBB73_74
.LBB73_2:                               ; =>This Loop Header: Depth=1
                                        ;     Child Loop BB73_4 Depth 2
                                        ;     Child Loop BB73_12 Depth 2
	;; [unrolled: 1-line block ×9, first 2 shown]
	v_perm_b32 v4, 0, v3, s25
	v_cmp_lt_i16_sdwa s[16:17], sext(v3), sext(v3) src0_sel:BYTE_1 src1_sel:BYTE_0
	s_barrier
	s_nop 0
	v_cndmask_b32_e64 v3, v3, v4, s[16:17]
	ds_write_b8 v5, v3
	v_lshrrev_b16_e32 v3, 8, v3
	v_mov_b32_e32 v4, v43
	ds_write_b8 v5, v3 offset:1
	s_waitcnt lgkmcnt(0)
	s_barrier
	s_and_saveexec_b64 s[20:21], vcc
	s_cbranch_execz .LBB73_6
; %bb.3:                                ;   in Loop: Header=BB73_2 Depth=1
	s_mov_b64 s[22:23], 0
	v_mov_b32_e32 v4, v43
	v_mov_b32_e32 v3, v37
.LBB73_4:                               ;   Parent Loop BB73_2 Depth=1
                                        ; =>  This Inner Loop Header: Depth=2
	v_sub_u32_e32 v66, v3, v4
	v_lshrrev_b32_e32 v67, 31, v66
	v_add_u32_e32 v66, v66, v67
	v_ashrrev_i32_e32 v66, 1, v66
	v_add_u32_e32 v66, v66, v4
	v_not_b32_e32 v68, v66
	v_add_u32_e32 v67, v6, v66
	v_add3_u32 v68, v7, v68, v20
	ds_read_i8 v67, v67
	ds_read_i8 v68, v68
	v_add_u32_e32 v69, 1, v66
	s_waitcnt lgkmcnt(0)
	v_cmp_lt_i16_e64 s[18:19], v68, v67
	s_nop 1
	v_cndmask_b32_e64 v3, v3, v66, s[18:19]
	v_cndmask_b32_e64 v4, v69, v4, s[18:19]
	v_cmp_ge_i32_e64 s[18:19], v4, v3
	s_or_b64 s[22:23], s[18:19], s[22:23]
	s_andn2_b64 exec, exec, s[22:23]
	s_cbranch_execnz .LBB73_4
; %bb.5:                                ;   in Loop: Header=BB73_2 Depth=1
	s_or_b64 exec, exec, s[22:23]
.LBB73_6:                               ;   in Loop: Header=BB73_2 Depth=1
	s_or_b64 exec, exec, s[20:21]
	v_add_u32_e32 v3, v4, v6
	v_sub_u32_e32 v4, v33, v4
	ds_read_u8 v66, v3
	ds_read_u8 v68, v4
	v_cmp_le_i32_e64 s[20:21], v20, v3
	v_cmp_gt_i32_e64 s[18:19], v21, v4
	s_waitcnt lgkmcnt(1)
	v_bfe_i32 v67, v66, 0, 8
	s_waitcnt lgkmcnt(0)
	v_bfe_i32 v68, v68, 0, 8
	v_cmp_lt_i16_e64 s[22:23], v68, v67
	s_or_b64 s[20:21], s[20:21], s[22:23]
	s_and_b64 s[18:19], s[18:19], s[20:21]
	s_xor_b64 s[20:21], s[18:19], -1
                                        ; implicit-def: $vgpr66
	s_and_saveexec_b64 s[22:23], s[20:21]
	s_xor_b64 s[20:21], exec, s[22:23]
	s_cbranch_execz .LBB73_8
; %bb.7:                                ;   in Loop: Header=BB73_2 Depth=1
	ds_read_u8 v66, v3 offset:1
.LBB73_8:                               ;   in Loop: Header=BB73_2 Depth=1
	s_or_saveexec_b64 s[20:21], s[20:21]
	v_mov_b32_e32 v69, v68
	s_xor_b64 exec, exec, s[20:21]
	s_cbranch_execz .LBB73_10
; %bb.9:                                ;   in Loop: Header=BB73_2 Depth=1
	ds_read_u8 v69, v4 offset:1
	s_waitcnt lgkmcnt(1)
	v_mov_b32_e32 v66, v67
.LBB73_10:                              ;   in Loop: Header=BB73_2 Depth=1
	s_or_b64 exec, exec, s[20:21]
	v_add_u32_e32 v71, 1, v3
	v_cndmask_b32_e64 v67, v67, v68, s[18:19]
	v_add_u32_e32 v68, 1, v4
	v_cndmask_b32_e64 v71, v71, v3, s[18:19]
	v_perm_b32 v70, 0, v2, s25
	v_cndmask_b32_e64 v68, v4, v68, s[18:19]
	v_cndmask_b32_e64 v3, v3, v4, s[18:19]
	v_cmp_ge_i32_e64 s[18:19], v71, v20
	s_waitcnt lgkmcnt(0)
	v_cmp_lt_i16_sdwa s[20:21], sext(v69), sext(v66) src0_sel:BYTE_0 src1_sel:BYTE_0
	v_cndmask_b32_e64 v2, v2, v70, s[16:17]
	v_cmp_lt_i32_e64 s[16:17], v68, v21
	s_or_b64 s[18:19], s[18:19], s[20:21]
	s_and_b64 s[16:17], s[16:17], s[18:19]
	s_barrier
	ds_write_b8 v5, v2
	v_lshrrev_b16_e32 v2, 8, v2
	v_cndmask_b32_e64 v4, v66, v69, s[16:17]
	v_cndmask_b32_e64 v66, v71, v68, s[16:17]
	ds_write_b8 v5, v2 offset:1
	s_waitcnt lgkmcnt(0)
	s_barrier
	ds_read_u8 v2, v3
	ds_read_u8 v3, v66
	v_mov_b32_e32 v66, v44
	s_waitcnt lgkmcnt(0)
	s_barrier
	ds_write_b8 v5, v67
	ds_write_b8 v5, v4 offset:1
	s_waitcnt lgkmcnt(0)
	s_barrier
	s_and_saveexec_b64 s[18:19], s[0:1]
	s_cbranch_execz .LBB73_14
; %bb.11:                               ;   in Loop: Header=BB73_2 Depth=1
	s_mov_b64 s[20:21], 0
	v_mov_b32_e32 v66, v44
	v_mov_b32_e32 v4, v38
.LBB73_12:                              ;   Parent Loop BB73_2 Depth=1
                                        ; =>  This Inner Loop Header: Depth=2
	v_sub_u32_e32 v67, v4, v66
	v_lshrrev_b32_e32 v68, 31, v67
	v_add_u32_e32 v67, v67, v68
	v_ashrrev_i32_e32 v67, 1, v67
	v_add_u32_e32 v67, v67, v66
	v_not_b32_e32 v69, v67
	v_add_u32_e32 v68, v8, v67
	v_add3_u32 v69, v9, v69, v22
	ds_read_i8 v68, v68
	ds_read_i8 v69, v69
	v_add_u32_e32 v70, 1, v67
	s_waitcnt lgkmcnt(0)
	v_cmp_lt_i16_e64 s[16:17], v69, v68
	s_nop 1
	v_cndmask_b32_e64 v4, v4, v67, s[16:17]
	v_cndmask_b32_e64 v66, v70, v66, s[16:17]
	v_cmp_ge_i32_e64 s[16:17], v66, v4
	s_or_b64 s[20:21], s[16:17], s[20:21]
	s_andn2_b64 exec, exec, s[20:21]
	s_cbranch_execnz .LBB73_12
; %bb.13:                               ;   in Loop: Header=BB73_2 Depth=1
	s_or_b64 exec, exec, s[20:21]
.LBB73_14:                              ;   in Loop: Header=BB73_2 Depth=1
	s_or_b64 exec, exec, s[18:19]
	v_add_u32_e32 v4, v66, v8
	v_sub_u32_e32 v66, v34, v66
	ds_read_u8 v67, v4
	ds_read_u8 v68, v66
	v_cmp_le_i32_e64 s[18:19], v22, v4
	v_cmp_gt_i32_e64 s[16:17], v23, v66
	s_waitcnt lgkmcnt(1)
	v_bfe_i32 v67, v67, 0, 8
	s_waitcnt lgkmcnt(0)
	v_bfe_i32 v69, v68, 0, 8
	v_cmp_lt_i16_e64 s[20:21], v69, v67
	s_or_b64 s[18:19], s[18:19], s[20:21]
	s_and_b64 s[16:17], s[16:17], s[18:19]
	s_xor_b64 s[18:19], s[16:17], -1
                                        ; implicit-def: $vgpr68
	s_and_saveexec_b64 s[20:21], s[18:19]
	s_xor_b64 s[18:19], exec, s[20:21]
	s_cbranch_execz .LBB73_16
; %bb.15:                               ;   in Loop: Header=BB73_2 Depth=1
	ds_read_u8 v68, v4 offset:1
.LBB73_16:                              ;   in Loop: Header=BB73_2 Depth=1
	s_or_saveexec_b64 s[18:19], s[18:19]
	v_mov_b32_e32 v70, v69
	s_xor_b64 exec, exec, s[18:19]
	s_cbranch_execz .LBB73_18
; %bb.17:                               ;   in Loop: Header=BB73_2 Depth=1
	ds_read_u8 v70, v66 offset:1
	s_waitcnt lgkmcnt(1)
	v_mov_b32_e32 v68, v67
.LBB73_18:                              ;   in Loop: Header=BB73_2 Depth=1
	s_or_b64 exec, exec, s[18:19]
	v_add_u32_e32 v71, 1, v4
	v_cndmask_b32_e64 v67, v67, v69, s[16:17]
	v_add_u32_e32 v69, 1, v66
	v_cndmask_b32_e64 v71, v71, v4, s[16:17]
	v_cndmask_b32_e64 v69, v66, v69, s[16:17]
	v_cmp_ge_i32_e64 s[18:19], v71, v22
	s_waitcnt lgkmcnt(0)
	v_cmp_lt_i16_sdwa s[20:21], sext(v70), sext(v68) src0_sel:BYTE_0 src1_sel:BYTE_0
	v_cndmask_b32_e64 v4, v4, v66, s[16:17]
	v_cmp_lt_i32_e64 s[16:17], v69, v23
	s_or_b64 s[18:19], s[18:19], s[20:21]
	s_and_b64 s[16:17], s[16:17], s[18:19]
	v_cndmask_b32_e64 v66, v68, v70, s[16:17]
	v_cndmask_b32_e64 v68, v71, v69, s[16:17]
	s_barrier
	ds_write_b8 v5, v2
	ds_write_b8 v5, v3 offset:1
	s_waitcnt lgkmcnt(0)
	s_barrier
	ds_read_u8 v2, v4
	ds_read_u8 v3, v68
	s_waitcnt lgkmcnt(0)
	s_barrier
	ds_write_b8 v5, v67
	ds_write_b8 v5, v66 offset:1
	v_mov_b32_e32 v66, v45
	s_waitcnt lgkmcnt(0)
	s_barrier
	s_and_saveexec_b64 s[18:19], s[2:3]
	s_cbranch_execz .LBB73_22
; %bb.19:                               ;   in Loop: Header=BB73_2 Depth=1
	s_mov_b64 s[20:21], 0
	v_mov_b32_e32 v66, v45
	v_mov_b32_e32 v4, v39
.LBB73_20:                              ;   Parent Loop BB73_2 Depth=1
                                        ; =>  This Inner Loop Header: Depth=2
	v_sub_u32_e32 v67, v4, v66
	v_lshrrev_b32_e32 v68, 31, v67
	v_add_u32_e32 v67, v67, v68
	v_ashrrev_i32_e32 v67, 1, v67
	v_add_u32_e32 v67, v67, v66
	v_not_b32_e32 v69, v67
	v_add_u32_e32 v68, v10, v67
	v_add3_u32 v69, v11, v69, v24
	ds_read_i8 v68, v68
	ds_read_i8 v69, v69
	v_add_u32_e32 v70, 1, v67
	s_waitcnt lgkmcnt(0)
	v_cmp_lt_i16_e64 s[16:17], v69, v68
	s_nop 1
	v_cndmask_b32_e64 v4, v4, v67, s[16:17]
	v_cndmask_b32_e64 v66, v70, v66, s[16:17]
	v_cmp_ge_i32_e64 s[16:17], v66, v4
	s_or_b64 s[20:21], s[16:17], s[20:21]
	s_andn2_b64 exec, exec, s[20:21]
	s_cbranch_execnz .LBB73_20
; %bb.21:                               ;   in Loop: Header=BB73_2 Depth=1
	s_or_b64 exec, exec, s[20:21]
.LBB73_22:                              ;   in Loop: Header=BB73_2 Depth=1
	s_or_b64 exec, exec, s[18:19]
	v_add_u32_e32 v4, v66, v10
	v_sub_u32_e32 v66, v35, v66
	ds_read_u8 v67, v4
	ds_read_u8 v68, v66
	v_cmp_le_i32_e64 s[18:19], v24, v4
	v_cmp_gt_i32_e64 s[16:17], v25, v66
	s_waitcnt lgkmcnt(1)
	v_bfe_i32 v67, v67, 0, 8
	s_waitcnt lgkmcnt(0)
	v_bfe_i32 v69, v68, 0, 8
	v_cmp_lt_i16_e64 s[20:21], v69, v67
	s_or_b64 s[18:19], s[18:19], s[20:21]
	s_and_b64 s[16:17], s[16:17], s[18:19]
	s_xor_b64 s[18:19], s[16:17], -1
                                        ; implicit-def: $vgpr68
	s_and_saveexec_b64 s[20:21], s[18:19]
	s_xor_b64 s[18:19], exec, s[20:21]
	s_cbranch_execz .LBB73_24
; %bb.23:                               ;   in Loop: Header=BB73_2 Depth=1
	ds_read_u8 v68, v4 offset:1
.LBB73_24:                              ;   in Loop: Header=BB73_2 Depth=1
	s_or_saveexec_b64 s[18:19], s[18:19]
	v_mov_b32_e32 v70, v69
	s_xor_b64 exec, exec, s[18:19]
	s_cbranch_execz .LBB73_26
; %bb.25:                               ;   in Loop: Header=BB73_2 Depth=1
	ds_read_u8 v70, v66 offset:1
	s_waitcnt lgkmcnt(1)
	v_mov_b32_e32 v68, v67
.LBB73_26:                              ;   in Loop: Header=BB73_2 Depth=1
	s_or_b64 exec, exec, s[18:19]
	v_add_u32_e32 v71, 1, v4
	v_cndmask_b32_e64 v67, v67, v69, s[16:17]
	v_add_u32_e32 v69, 1, v66
	v_cndmask_b32_e64 v71, v71, v4, s[16:17]
	v_cndmask_b32_e64 v69, v66, v69, s[16:17]
	v_cmp_ge_i32_e64 s[18:19], v71, v24
	s_waitcnt lgkmcnt(0)
	v_cmp_lt_i16_sdwa s[20:21], sext(v70), sext(v68) src0_sel:BYTE_0 src1_sel:BYTE_0
	v_cndmask_b32_e64 v4, v4, v66, s[16:17]
	v_cmp_lt_i32_e64 s[16:17], v69, v25
	s_or_b64 s[18:19], s[18:19], s[20:21]
	s_and_b64 s[16:17], s[16:17], s[18:19]
	v_cndmask_b32_e64 v66, v68, v70, s[16:17]
	v_cndmask_b32_e64 v68, v71, v69, s[16:17]
	s_barrier
	ds_write_b8 v5, v2
	ds_write_b8 v5, v3 offset:1
	s_waitcnt lgkmcnt(0)
	s_barrier
	ds_read_u8 v2, v4
	ds_read_u8 v3, v68
	s_waitcnt lgkmcnt(0)
	s_barrier
	ds_write_b8 v5, v67
	ds_write_b8 v5, v66 offset:1
	v_mov_b32_e32 v66, v46
	s_waitcnt lgkmcnt(0)
	s_barrier
	s_and_saveexec_b64 s[18:19], s[4:5]
	s_cbranch_execz .LBB73_30
; %bb.27:                               ;   in Loop: Header=BB73_2 Depth=1
	s_mov_b64 s[20:21], 0
	v_mov_b32_e32 v66, v46
	v_mov_b32_e32 v4, v40
.LBB73_28:                              ;   Parent Loop BB73_2 Depth=1
                                        ; =>  This Inner Loop Header: Depth=2
	v_sub_u32_e32 v67, v4, v66
	v_lshrrev_b32_e32 v68, 31, v67
	v_add_u32_e32 v67, v67, v68
	v_ashrrev_i32_e32 v67, 1, v67
	v_add_u32_e32 v67, v67, v66
	v_not_b32_e32 v69, v67
	v_add_u32_e32 v68, v12, v67
	v_add3_u32 v69, v13, v69, v26
	ds_read_i8 v68, v68
	ds_read_i8 v69, v69
	v_add_u32_e32 v70, 1, v67
	s_waitcnt lgkmcnt(0)
	v_cmp_lt_i16_e64 s[16:17], v69, v68
	s_nop 1
	v_cndmask_b32_e64 v4, v4, v67, s[16:17]
	v_cndmask_b32_e64 v66, v70, v66, s[16:17]
	v_cmp_ge_i32_e64 s[16:17], v66, v4
	s_or_b64 s[20:21], s[16:17], s[20:21]
	s_andn2_b64 exec, exec, s[20:21]
	s_cbranch_execnz .LBB73_28
; %bb.29:                               ;   in Loop: Header=BB73_2 Depth=1
	s_or_b64 exec, exec, s[20:21]
.LBB73_30:                              ;   in Loop: Header=BB73_2 Depth=1
	s_or_b64 exec, exec, s[18:19]
	v_add_u32_e32 v4, v66, v12
	v_sub_u32_e32 v66, v36, v66
	ds_read_u8 v67, v4
	ds_read_u8 v68, v66
	v_cmp_le_i32_e64 s[18:19], v26, v4
	v_cmp_gt_i32_e64 s[16:17], v27, v66
	s_waitcnt lgkmcnt(1)
	v_bfe_i32 v67, v67, 0, 8
	s_waitcnt lgkmcnt(0)
	v_bfe_i32 v69, v68, 0, 8
	v_cmp_lt_i16_e64 s[20:21], v69, v67
	s_or_b64 s[18:19], s[18:19], s[20:21]
	s_and_b64 s[16:17], s[16:17], s[18:19]
	s_xor_b64 s[18:19], s[16:17], -1
                                        ; implicit-def: $vgpr68
	s_and_saveexec_b64 s[20:21], s[18:19]
	s_xor_b64 s[18:19], exec, s[20:21]
	s_cbranch_execz .LBB73_32
; %bb.31:                               ;   in Loop: Header=BB73_2 Depth=1
	ds_read_u8 v68, v4 offset:1
.LBB73_32:                              ;   in Loop: Header=BB73_2 Depth=1
	s_or_saveexec_b64 s[18:19], s[18:19]
	v_mov_b32_e32 v70, v69
	s_xor_b64 exec, exec, s[18:19]
	s_cbranch_execz .LBB73_34
; %bb.33:                               ;   in Loop: Header=BB73_2 Depth=1
	ds_read_u8 v70, v66 offset:1
	s_waitcnt lgkmcnt(1)
	v_mov_b32_e32 v68, v67
.LBB73_34:                              ;   in Loop: Header=BB73_2 Depth=1
	s_or_b64 exec, exec, s[18:19]
	v_add_u32_e32 v71, 1, v4
	v_cndmask_b32_e64 v67, v67, v69, s[16:17]
	v_add_u32_e32 v69, 1, v66
	v_cndmask_b32_e64 v71, v71, v4, s[16:17]
	v_cndmask_b32_e64 v69, v66, v69, s[16:17]
	v_cmp_ge_i32_e64 s[18:19], v71, v26
	s_waitcnt lgkmcnt(0)
	v_cmp_lt_i16_sdwa s[20:21], sext(v70), sext(v68) src0_sel:BYTE_0 src1_sel:BYTE_0
	v_cndmask_b32_e64 v4, v4, v66, s[16:17]
	v_cmp_lt_i32_e64 s[16:17], v69, v27
	s_or_b64 s[18:19], s[18:19], s[20:21]
	s_and_b64 s[16:17], s[16:17], s[18:19]
	v_cndmask_b32_e64 v66, v68, v70, s[16:17]
	v_cndmask_b32_e64 v68, v71, v69, s[16:17]
	s_barrier
	ds_write_b8 v5, v2
	ds_write_b8 v5, v3 offset:1
	s_waitcnt lgkmcnt(0)
	s_barrier
	ds_read_u8 v2, v4
	ds_read_u8 v3, v68
	s_waitcnt lgkmcnt(0)
	s_barrier
	ds_write_b8 v5, v67
	ds_write_b8 v5, v66 offset:1
	v_mov_b32_e32 v66, v47
	s_waitcnt lgkmcnt(0)
	s_barrier
	s_and_saveexec_b64 s[18:19], s[6:7]
	s_cbranch_execz .LBB73_38
; %bb.35:                               ;   in Loop: Header=BB73_2 Depth=1
	s_mov_b64 s[20:21], 0
	v_mov_b32_e32 v66, v47
	v_mov_b32_e32 v4, v41
.LBB73_36:                              ;   Parent Loop BB73_2 Depth=1
                                        ; =>  This Inner Loop Header: Depth=2
	v_sub_u32_e32 v67, v4, v66
	v_lshrrev_b32_e32 v68, 31, v67
	v_add_u32_e32 v67, v67, v68
	v_ashrrev_i32_e32 v67, 1, v67
	v_add_u32_e32 v67, v67, v66
	v_not_b32_e32 v69, v67
	v_add_u32_e32 v68, v14, v67
	v_add3_u32 v69, v15, v69, v28
	ds_read_i8 v68, v68
	ds_read_i8 v69, v69
	v_add_u32_e32 v70, 1, v67
	s_waitcnt lgkmcnt(0)
	v_cmp_lt_i16_e64 s[16:17], v69, v68
	s_nop 1
	v_cndmask_b32_e64 v4, v4, v67, s[16:17]
	v_cndmask_b32_e64 v66, v70, v66, s[16:17]
	v_cmp_ge_i32_e64 s[16:17], v66, v4
	s_or_b64 s[20:21], s[16:17], s[20:21]
	s_andn2_b64 exec, exec, s[20:21]
	s_cbranch_execnz .LBB73_36
; %bb.37:                               ;   in Loop: Header=BB73_2 Depth=1
	s_or_b64 exec, exec, s[20:21]
.LBB73_38:                              ;   in Loop: Header=BB73_2 Depth=1
	s_or_b64 exec, exec, s[18:19]
	v_add_u32_e32 v4, v66, v14
	v_sub_u32_e32 v66, v61, v66
	ds_read_u8 v67, v4
	ds_read_u8 v68, v66
	v_cmp_le_i32_e64 s[18:19], v28, v4
	v_cmp_gt_i32_e64 s[16:17], v29, v66
	s_waitcnt lgkmcnt(1)
	v_bfe_i32 v67, v67, 0, 8
	s_waitcnt lgkmcnt(0)
	v_bfe_i32 v69, v68, 0, 8
	v_cmp_lt_i16_e64 s[20:21], v69, v67
	s_or_b64 s[18:19], s[18:19], s[20:21]
	s_and_b64 s[16:17], s[16:17], s[18:19]
	s_xor_b64 s[18:19], s[16:17], -1
                                        ; implicit-def: $vgpr68
	s_and_saveexec_b64 s[20:21], s[18:19]
	s_xor_b64 s[18:19], exec, s[20:21]
	s_cbranch_execz .LBB73_40
; %bb.39:                               ;   in Loop: Header=BB73_2 Depth=1
	ds_read_u8 v68, v4 offset:1
.LBB73_40:                              ;   in Loop: Header=BB73_2 Depth=1
	s_or_saveexec_b64 s[18:19], s[18:19]
	v_mov_b32_e32 v70, v69
	s_xor_b64 exec, exec, s[18:19]
	s_cbranch_execz .LBB73_42
; %bb.41:                               ;   in Loop: Header=BB73_2 Depth=1
	ds_read_u8 v70, v66 offset:1
	s_waitcnt lgkmcnt(1)
	v_mov_b32_e32 v68, v67
.LBB73_42:                              ;   in Loop: Header=BB73_2 Depth=1
	s_or_b64 exec, exec, s[18:19]
	v_add_u32_e32 v71, 1, v4
	v_cndmask_b32_e64 v67, v67, v69, s[16:17]
	v_add_u32_e32 v69, 1, v66
	v_cndmask_b32_e64 v71, v71, v4, s[16:17]
	v_cndmask_b32_e64 v69, v66, v69, s[16:17]
	v_cmp_ge_i32_e64 s[18:19], v71, v28
	s_waitcnt lgkmcnt(0)
	v_cmp_lt_i16_sdwa s[20:21], sext(v70), sext(v68) src0_sel:BYTE_0 src1_sel:BYTE_0
	v_cndmask_b32_e64 v4, v4, v66, s[16:17]
	v_cmp_lt_i32_e64 s[16:17], v69, v29
	s_or_b64 s[18:19], s[18:19], s[20:21]
	s_and_b64 s[16:17], s[16:17], s[18:19]
	v_cndmask_b32_e64 v66, v68, v70, s[16:17]
	v_cndmask_b32_e64 v68, v71, v69, s[16:17]
	s_barrier
	ds_write_b8 v5, v2
	ds_write_b8 v5, v3 offset:1
	s_waitcnt lgkmcnt(0)
	s_barrier
	ds_read_u8 v2, v4
	ds_read_u8 v3, v68
	s_waitcnt lgkmcnt(0)
	s_barrier
	ds_write_b8 v5, v67
	ds_write_b8 v5, v66 offset:1
	v_mov_b32_e32 v66, v48
	s_waitcnt lgkmcnt(0)
	s_barrier
	s_and_saveexec_b64 s[18:19], s[8:9]
	s_cbranch_execz .LBB73_46
; %bb.43:                               ;   in Loop: Header=BB73_2 Depth=1
	s_mov_b64 s[20:21], 0
	v_mov_b32_e32 v66, v48
	v_mov_b32_e32 v4, v42
.LBB73_44:                              ;   Parent Loop BB73_2 Depth=1
                                        ; =>  This Inner Loop Header: Depth=2
	v_sub_u32_e32 v67, v4, v66
	v_lshrrev_b32_e32 v68, 31, v67
	v_add_u32_e32 v67, v67, v68
	v_ashrrev_i32_e32 v67, 1, v67
	v_add_u32_e32 v67, v67, v66
	v_not_b32_e32 v69, v67
	v_add_u32_e32 v68, v16, v67
	v_add3_u32 v69, v17, v69, v30
	ds_read_i8 v68, v68
	ds_read_i8 v69, v69
	v_add_u32_e32 v70, 1, v67
	s_waitcnt lgkmcnt(0)
	v_cmp_lt_i16_e64 s[16:17], v69, v68
	s_nop 1
	v_cndmask_b32_e64 v4, v4, v67, s[16:17]
	v_cndmask_b32_e64 v66, v70, v66, s[16:17]
	v_cmp_ge_i32_e64 s[16:17], v66, v4
	s_or_b64 s[20:21], s[16:17], s[20:21]
	s_andn2_b64 exec, exec, s[20:21]
	s_cbranch_execnz .LBB73_44
; %bb.45:                               ;   in Loop: Header=BB73_2 Depth=1
	s_or_b64 exec, exec, s[20:21]
.LBB73_46:                              ;   in Loop: Header=BB73_2 Depth=1
	s_or_b64 exec, exec, s[18:19]
	v_add_u32_e32 v4, v66, v16
	v_sub_u32_e32 v66, v62, v66
	ds_read_u8 v67, v4
	ds_read_u8 v68, v66
	v_cmp_le_i32_e64 s[18:19], v30, v4
	v_cmp_gt_i32_e64 s[16:17], v31, v66
	s_waitcnt lgkmcnt(1)
	v_bfe_i32 v67, v67, 0, 8
	s_waitcnt lgkmcnt(0)
	v_bfe_i32 v69, v68, 0, 8
	v_cmp_lt_i16_e64 s[20:21], v69, v67
	s_or_b64 s[18:19], s[18:19], s[20:21]
	s_and_b64 s[16:17], s[16:17], s[18:19]
	s_xor_b64 s[18:19], s[16:17], -1
                                        ; implicit-def: $vgpr68
	s_and_saveexec_b64 s[20:21], s[18:19]
	s_xor_b64 s[18:19], exec, s[20:21]
	s_cbranch_execz .LBB73_48
; %bb.47:                               ;   in Loop: Header=BB73_2 Depth=1
	ds_read_u8 v68, v4 offset:1
.LBB73_48:                              ;   in Loop: Header=BB73_2 Depth=1
	s_or_saveexec_b64 s[18:19], s[18:19]
	v_mov_b32_e32 v70, v69
	s_xor_b64 exec, exec, s[18:19]
	s_cbranch_execz .LBB73_50
; %bb.49:                               ;   in Loop: Header=BB73_2 Depth=1
	ds_read_u8 v70, v66 offset:1
	s_waitcnt lgkmcnt(1)
	v_mov_b32_e32 v68, v67
.LBB73_50:                              ;   in Loop: Header=BB73_2 Depth=1
	s_or_b64 exec, exec, s[18:19]
	v_add_u32_e32 v71, 1, v4
	v_cndmask_b32_e64 v67, v67, v69, s[16:17]
	v_add_u32_e32 v69, 1, v66
	v_cndmask_b32_e64 v71, v71, v4, s[16:17]
	v_cndmask_b32_e64 v69, v66, v69, s[16:17]
	v_cmp_ge_i32_e64 s[18:19], v71, v30
	s_waitcnt lgkmcnt(0)
	v_cmp_lt_i16_sdwa s[20:21], sext(v70), sext(v68) src0_sel:BYTE_0 src1_sel:BYTE_0
	v_cndmask_b32_e64 v4, v4, v66, s[16:17]
	v_cmp_lt_i32_e64 s[16:17], v69, v31
	s_or_b64 s[18:19], s[18:19], s[20:21]
	s_and_b64 s[16:17], s[16:17], s[18:19]
	v_cndmask_b32_e64 v66, v68, v70, s[16:17]
	v_cndmask_b32_e64 v68, v71, v69, s[16:17]
	s_barrier
	ds_write_b8 v5, v2
	ds_write_b8 v5, v3 offset:1
	s_waitcnt lgkmcnt(0)
	s_barrier
	ds_read_u8 v2, v4
	ds_read_u8 v3, v68
	s_waitcnt lgkmcnt(0)
	s_barrier
	ds_write_b8 v5, v67
	ds_write_b8 v5, v66 offset:1
	v_mov_b32_e32 v66, v50
	s_waitcnt lgkmcnt(0)
	s_barrier
	s_and_saveexec_b64 s[18:19], s[10:11]
	s_cbranch_execz .LBB73_54
; %bb.51:                               ;   in Loop: Header=BB73_2 Depth=1
	s_mov_b64 s[20:21], 0
	v_mov_b32_e32 v66, v50
	v_mov_b32_e32 v4, v51
.LBB73_52:                              ;   Parent Loop BB73_2 Depth=1
                                        ; =>  This Inner Loop Header: Depth=2
	v_sub_u32_e32 v67, v4, v66
	v_lshrrev_b32_e32 v68, 31, v67
	v_add_u32_e32 v67, v67, v68
	v_ashrrev_i32_e32 v67, 1, v67
	v_add_u32_e32 v67, v67, v66
	v_not_b32_e32 v69, v67
	v_add_u32_e32 v68, v18, v67
	v_add3_u32 v69, v19, v69, v32
	ds_read_i8 v68, v68
	ds_read_i8 v69, v69
	v_add_u32_e32 v70, 1, v67
	s_waitcnt lgkmcnt(0)
	v_cmp_lt_i16_e64 s[16:17], v69, v68
	s_nop 1
	v_cndmask_b32_e64 v4, v4, v67, s[16:17]
	v_cndmask_b32_e64 v66, v70, v66, s[16:17]
	v_cmp_ge_i32_e64 s[16:17], v66, v4
	s_or_b64 s[20:21], s[16:17], s[20:21]
	s_andn2_b64 exec, exec, s[20:21]
	s_cbranch_execnz .LBB73_52
; %bb.53:                               ;   in Loop: Header=BB73_2 Depth=1
	s_or_b64 exec, exec, s[20:21]
.LBB73_54:                              ;   in Loop: Header=BB73_2 Depth=1
	s_or_b64 exec, exec, s[18:19]
	v_add_u32_e32 v4, v66, v18
	v_sub_u32_e32 v66, v63, v66
	ds_read_u8 v67, v4
	ds_read_u8 v68, v66
	v_cmp_le_i32_e64 s[18:19], v32, v4
	v_cmp_gt_i32_e64 s[16:17], v49, v66
	s_waitcnt lgkmcnt(1)
	v_bfe_i32 v67, v67, 0, 8
	s_waitcnt lgkmcnt(0)
	v_bfe_i32 v69, v68, 0, 8
	v_cmp_lt_i16_e64 s[20:21], v69, v67
	s_or_b64 s[18:19], s[18:19], s[20:21]
	s_and_b64 s[16:17], s[16:17], s[18:19]
	s_xor_b64 s[18:19], s[16:17], -1
                                        ; implicit-def: $vgpr68
	s_and_saveexec_b64 s[20:21], s[18:19]
	s_xor_b64 s[18:19], exec, s[20:21]
	s_cbranch_execz .LBB73_56
; %bb.55:                               ;   in Loop: Header=BB73_2 Depth=1
	ds_read_u8 v68, v4 offset:1
.LBB73_56:                              ;   in Loop: Header=BB73_2 Depth=1
	s_or_saveexec_b64 s[18:19], s[18:19]
	v_mov_b32_e32 v70, v69
	s_xor_b64 exec, exec, s[18:19]
	s_cbranch_execz .LBB73_58
; %bb.57:                               ;   in Loop: Header=BB73_2 Depth=1
	ds_read_u8 v70, v66 offset:1
	s_waitcnt lgkmcnt(1)
	v_mov_b32_e32 v68, v67
.LBB73_58:                              ;   in Loop: Header=BB73_2 Depth=1
	s_or_b64 exec, exec, s[18:19]
	v_add_u32_e32 v71, 1, v4
	v_cndmask_b32_e64 v67, v67, v69, s[16:17]
	v_add_u32_e32 v69, 1, v66
	v_cndmask_b32_e64 v71, v71, v4, s[16:17]
	v_cndmask_b32_e64 v69, v66, v69, s[16:17]
	v_cmp_ge_i32_e64 s[18:19], v71, v32
	s_waitcnt lgkmcnt(0)
	v_cmp_lt_i16_sdwa s[20:21], sext(v70), sext(v68) src0_sel:BYTE_0 src1_sel:BYTE_0
	v_cndmask_b32_e64 v4, v4, v66, s[16:17]
	v_cmp_lt_i32_e64 s[16:17], v69, v49
	s_or_b64 s[18:19], s[18:19], s[20:21]
	s_and_b64 s[16:17], s[16:17], s[18:19]
	v_cndmask_b32_e64 v66, v68, v70, s[16:17]
	v_cndmask_b32_e64 v68, v71, v69, s[16:17]
	s_barrier
	ds_write_b8 v5, v2
	ds_write_b8 v5, v3 offset:1
	s_waitcnt lgkmcnt(0)
	s_barrier
	ds_read_u8 v2, v4
	ds_read_u8 v3, v68
	s_waitcnt lgkmcnt(0)
	s_barrier
	ds_write_b8 v5, v67
	ds_write_b8 v5, v66 offset:1
	v_mov_b32_e32 v66, v57
	s_waitcnt lgkmcnt(0)
	s_barrier
	s_and_saveexec_b64 s[18:19], s[12:13]
	s_cbranch_execz .LBB73_62
; %bb.59:                               ;   in Loop: Header=BB73_2 Depth=1
	s_mov_b64 s[20:21], 0
	v_mov_b32_e32 v66, v57
	v_mov_b32_e32 v4, v58
.LBB73_60:                              ;   Parent Loop BB73_2 Depth=1
                                        ; =>  This Inner Loop Header: Depth=2
	v_sub_u32_e32 v67, v4, v66
	v_lshrrev_b32_e32 v68, 31, v67
	v_add_u32_e32 v67, v67, v68
	v_ashrrev_i32_e32 v67, 1, v67
	v_add_u32_e32 v67, v67, v66
	v_not_b32_e32 v69, v67
	v_add_u32_e32 v68, v53, v67
	v_add3_u32 v69, v54, v69, v55
	ds_read_i8 v68, v68
	ds_read_i8 v69, v69
	v_add_u32_e32 v70, 1, v67
	s_waitcnt lgkmcnt(0)
	v_cmp_lt_i16_e64 s[16:17], v69, v68
	s_nop 1
	v_cndmask_b32_e64 v4, v4, v67, s[16:17]
	v_cndmask_b32_e64 v66, v70, v66, s[16:17]
	v_cmp_ge_i32_e64 s[16:17], v66, v4
	s_or_b64 s[20:21], s[16:17], s[20:21]
	s_andn2_b64 exec, exec, s[20:21]
	s_cbranch_execnz .LBB73_60
; %bb.61:                               ;   in Loop: Header=BB73_2 Depth=1
	s_or_b64 exec, exec, s[20:21]
.LBB73_62:                              ;   in Loop: Header=BB73_2 Depth=1
	s_or_b64 exec, exec, s[18:19]
	v_add_u32_e32 v4, v66, v53
	v_sub_u32_e32 v66, v64, v66
	ds_read_u8 v67, v4
	ds_read_u8 v68, v66
	v_cmp_le_i32_e64 s[18:19], v55, v4
	v_cmp_gt_i32_e64 s[16:17], v56, v66
	s_waitcnt lgkmcnt(1)
	v_bfe_i32 v67, v67, 0, 8
	s_waitcnt lgkmcnt(0)
	v_bfe_i32 v69, v68, 0, 8
	v_cmp_lt_i16_e64 s[20:21], v69, v67
	s_or_b64 s[18:19], s[18:19], s[20:21]
	s_and_b64 s[16:17], s[16:17], s[18:19]
	s_xor_b64 s[18:19], s[16:17], -1
                                        ; implicit-def: $vgpr68
	s_and_saveexec_b64 s[20:21], s[18:19]
	s_xor_b64 s[18:19], exec, s[20:21]
	s_cbranch_execz .LBB73_64
; %bb.63:                               ;   in Loop: Header=BB73_2 Depth=1
	ds_read_u8 v68, v4 offset:1
.LBB73_64:                              ;   in Loop: Header=BB73_2 Depth=1
	s_or_saveexec_b64 s[18:19], s[18:19]
	v_mov_b32_e32 v70, v69
	s_xor_b64 exec, exec, s[18:19]
	s_cbranch_execz .LBB73_66
; %bb.65:                               ;   in Loop: Header=BB73_2 Depth=1
	ds_read_u8 v70, v66 offset:1
	s_waitcnt lgkmcnt(1)
	v_mov_b32_e32 v68, v67
.LBB73_66:                              ;   in Loop: Header=BB73_2 Depth=1
	s_or_b64 exec, exec, s[18:19]
	v_add_u32_e32 v71, 1, v4
	v_cndmask_b32_e64 v69, v67, v69, s[16:17]
	v_add_u32_e32 v67, 1, v66
	v_cndmask_b32_e64 v71, v71, v4, s[16:17]
	v_cndmask_b32_e64 v67, v66, v67, s[16:17]
	v_cmp_ge_i32_e64 s[18:19], v71, v55
	s_waitcnt lgkmcnt(0)
	v_cmp_lt_i16_sdwa s[20:21], sext(v70), sext(v68) src0_sel:BYTE_0 src1_sel:BYTE_0
	v_cndmask_b32_e64 v4, v4, v66, s[16:17]
	v_cmp_lt_i32_e64 s[16:17], v67, v56
	s_or_b64 s[18:19], s[18:19], s[20:21]
	s_and_b64 s[16:17], s[16:17], s[18:19]
	v_cndmask_b32_e64 v67, v71, v67, s[16:17]
	s_barrier
	ds_write_b8 v5, v2
	ds_write_b8 v5, v3 offset:1
	s_waitcnt lgkmcnt(0)
	s_barrier
	ds_read_u8 v66, v4
	ds_read_u8 v67, v67
	v_mov_b32_e32 v2, v59
	v_cndmask_b32_e64 v68, v68, v70, s[16:17]
	s_waitcnt lgkmcnt(0)
	s_barrier
	ds_write_b8 v5, v69
	ds_write_b8 v5, v68 offset:1
	s_waitcnt lgkmcnt(0)
	s_barrier
	s_and_saveexec_b64 s[18:19], s[14:15]
	s_cbranch_execz .LBB73_70
; %bb.67:                               ;   in Loop: Header=BB73_2 Depth=1
	s_mov_b64 s[20:21], 0
	v_mov_b32_e32 v2, v59
	v_mov_b32_e32 v3, v60
.LBB73_68:                              ;   Parent Loop BB73_2 Depth=1
                                        ; =>  This Inner Loop Header: Depth=2
	v_sub_u32_e32 v4, v3, v2
	v_lshrrev_b32_e32 v68, 31, v4
	v_add_u32_e32 v4, v4, v68
	v_ashrrev_i32_e32 v4, 1, v4
	v_add_u32_e32 v4, v4, v2
	v_not_b32_e32 v68, v4
	v_add3_u32 v68, v5, v68, v52
	ds_read_i8 v69, v4
	ds_read_i8 v68, v68
	v_add_u32_e32 v70, 1, v4
	s_waitcnt lgkmcnt(0)
	v_cmp_lt_i16_e64 s[16:17], v68, v69
	s_nop 1
	v_cndmask_b32_e64 v3, v3, v4, s[16:17]
	v_cndmask_b32_e64 v2, v70, v2, s[16:17]
	v_cmp_ge_i32_e64 s[16:17], v2, v3
	s_or_b64 s[20:21], s[16:17], s[20:21]
	s_andn2_b64 exec, exec, s[20:21]
	s_cbranch_execnz .LBB73_68
; %bb.69:                               ;   in Loop: Header=BB73_2 Depth=1
	s_or_b64 exec, exec, s[20:21]
.LBB73_70:                              ;   in Loop: Header=BB73_2 Depth=1
	s_or_b64 exec, exec, s[18:19]
	v_sub_u32_e32 v4, v65, v2
	ds_read_u8 v3, v2
	ds_read_u8 v69, v4
	v_cmp_le_i32_e64 s[18:19], v52, v2
	v_cmp_gt_i32_e64 s[16:17], s29, v4
                                        ; implicit-def: $vgpr70
	s_waitcnt lgkmcnt(1)
	v_bfe_i32 v68, v3, 0, 8
	s_waitcnt lgkmcnt(0)
	v_bfe_i32 v69, v69, 0, 8
	v_cmp_lt_i16_e64 s[20:21], v69, v68
	s_or_b64 s[18:19], s[18:19], s[20:21]
	s_and_b64 s[16:17], s[16:17], s[18:19]
	s_xor_b64 s[18:19], s[16:17], -1
                                        ; implicit-def: $vgpr3
	s_and_saveexec_b64 s[20:21], s[18:19]
	s_xor_b64 s[18:19], exec, s[20:21]
	s_cbranch_execz .LBB73_72
; %bb.71:                               ;   in Loop: Header=BB73_2 Depth=1
	ds_read_u8 v3, v2 offset:1
	v_add_u32_e32 v70, 1, v2
.LBB73_72:                              ;   in Loop: Header=BB73_2 Depth=1
	s_or_saveexec_b64 s[18:19], s[18:19]
	v_mov_b32_e32 v71, v69
	s_xor_b64 exec, exec, s[18:19]
	s_cbranch_execz .LBB73_1
; %bb.73:                               ;   in Loop: Header=BB73_2 Depth=1
	ds_read_u8 v71, v4 offset:1
	v_mov_b32_e32 v70, v2
	v_add_u32_e32 v72, 1, v4
	s_waitcnt lgkmcnt(1)
	v_mov_b64_e32 v[2:3], v[4:5]
	v_mov_b32_e32 v4, v72
	v_mov_b32_e32 v3, v68
	s_branch .LBB73_1
.LBB73_74:
	s_add_u32 s0, s26, s28
	s_addc_u32 s1, s27, 0
	v_add_u16_e32 v2, v67, v4
	v_lshl_add_u64 v[0:1], s[0:1], 0, v[0:1]
	v_add_u16_e32 v3, v71, v66
	global_store_byte v[0:1], v2, off
	global_store_byte v[0:1], v3, off offset:512
	s_endpgm
	.section	.rodata,"a",@progbits
	.p2align	6, 0x0
	.amdhsa_kernel _Z17sort_pairs_kernelIaLj512ELj2EN10test_utils4lessELj10EEvPKT_PS2_T2_
		.amdhsa_group_segment_fixed_size 1025
		.amdhsa_private_segment_fixed_size 0
		.amdhsa_kernarg_size 20
		.amdhsa_user_sgpr_count 2
		.amdhsa_user_sgpr_dispatch_ptr 0
		.amdhsa_user_sgpr_queue_ptr 0
		.amdhsa_user_sgpr_kernarg_segment_ptr 1
		.amdhsa_user_sgpr_dispatch_id 0
		.amdhsa_user_sgpr_kernarg_preload_length 0
		.amdhsa_user_sgpr_kernarg_preload_offset 0
		.amdhsa_user_sgpr_private_segment_size 0
		.amdhsa_uses_dynamic_stack 0
		.amdhsa_enable_private_segment 0
		.amdhsa_system_sgpr_workgroup_id_x 1
		.amdhsa_system_sgpr_workgroup_id_y 0
		.amdhsa_system_sgpr_workgroup_id_z 0
		.amdhsa_system_sgpr_workgroup_info 0
		.amdhsa_system_vgpr_workitem_id 0
		.amdhsa_next_free_vgpr 73
		.amdhsa_next_free_sgpr 30
		.amdhsa_accum_offset 76
		.amdhsa_reserve_vcc 1
		.amdhsa_float_round_mode_32 0
		.amdhsa_float_round_mode_16_64 0
		.amdhsa_float_denorm_mode_32 3
		.amdhsa_float_denorm_mode_16_64 3
		.amdhsa_dx10_clamp 1
		.amdhsa_ieee_mode 1
		.amdhsa_fp16_overflow 0
		.amdhsa_tg_split 0
		.amdhsa_exception_fp_ieee_invalid_op 0
		.amdhsa_exception_fp_denorm_src 0
		.amdhsa_exception_fp_ieee_div_zero 0
		.amdhsa_exception_fp_ieee_overflow 0
		.amdhsa_exception_fp_ieee_underflow 0
		.amdhsa_exception_fp_ieee_inexact 0
		.amdhsa_exception_int_div_zero 0
	.end_amdhsa_kernel
	.section	.text._Z17sort_pairs_kernelIaLj512ELj2EN10test_utils4lessELj10EEvPKT_PS2_T2_,"axG",@progbits,_Z17sort_pairs_kernelIaLj512ELj2EN10test_utils4lessELj10EEvPKT_PS2_T2_,comdat
.Lfunc_end73:
	.size	_Z17sort_pairs_kernelIaLj512ELj2EN10test_utils4lessELj10EEvPKT_PS2_T2_, .Lfunc_end73-_Z17sort_pairs_kernelIaLj512ELj2EN10test_utils4lessELj10EEvPKT_PS2_T2_
                                        ; -- End function
	.section	.AMDGPU.csdata,"",@progbits
; Kernel info:
; codeLenInByte = 4804
; NumSgprs: 36
; NumVgprs: 73
; NumAgprs: 0
; TotalNumVgprs: 73
; ScratchSize: 0
; MemoryBound: 0
; FloatMode: 240
; IeeeMode: 1
; LDSByteSize: 1025 bytes/workgroup (compile time only)
; SGPRBlocks: 4
; VGPRBlocks: 9
; NumSGPRsForWavesPerEU: 36
; NumVGPRsForWavesPerEU: 73
; AccumOffset: 76
; Occupancy: 6
; WaveLimiterHint : 1
; COMPUTE_PGM_RSRC2:SCRATCH_EN: 0
; COMPUTE_PGM_RSRC2:USER_SGPR: 2
; COMPUTE_PGM_RSRC2:TRAP_HANDLER: 0
; COMPUTE_PGM_RSRC2:TGID_X_EN: 1
; COMPUTE_PGM_RSRC2:TGID_Y_EN: 0
; COMPUTE_PGM_RSRC2:TGID_Z_EN: 0
; COMPUTE_PGM_RSRC2:TIDIG_COMP_CNT: 0
; COMPUTE_PGM_RSRC3_GFX90A:ACCUM_OFFSET: 18
; COMPUTE_PGM_RSRC3_GFX90A:TG_SPLIT: 0
	.section	.text._Z16sort_keys_kernelIaLj512ELj3EN10test_utils4lessELj10EEvPKT_PS2_T2_,"axG",@progbits,_Z16sort_keys_kernelIaLj512ELj3EN10test_utils4lessELj10EEvPKT_PS2_T2_,comdat
	.protected	_Z16sort_keys_kernelIaLj512ELj3EN10test_utils4lessELj10EEvPKT_PS2_T2_ ; -- Begin function _Z16sort_keys_kernelIaLj512ELj3EN10test_utils4lessELj10EEvPKT_PS2_T2_
	.globl	_Z16sort_keys_kernelIaLj512ELj3EN10test_utils4lessELj10EEvPKT_PS2_T2_
	.p2align	8
	.type	_Z16sort_keys_kernelIaLj512ELj3EN10test_utils4lessELj10EEvPKT_PS2_T2_,@function
_Z16sort_keys_kernelIaLj512ELj3EN10test_utils4lessELj10EEvPKT_PS2_T2_: ; @_Z16sort_keys_kernelIaLj512ELj3EN10test_utils4lessELj10EEvPKT_PS2_T2_
; %bb.0:
	s_load_dwordx4 s[20:23], s[0:1], 0x0
	s_mul_i32 s24, s2, 0x600
	v_and_b32_e32 v3, 0x1fe, v0
	v_and_b32_e32 v5, 0x1fc, v0
	;; [unrolled: 1-line block ×3, first 2 shown]
	s_waitcnt lgkmcnt(0)
	s_add_u32 s0, s20, s24
	s_addc_u32 s1, s21, 0
	global_load_ubyte v32, v0, s[0:1]
	global_load_ubyte v33, v0, s[0:1] offset:512
	global_load_ubyte v34, v0, s[0:1] offset:1024
	v_mul_u32_u24_e32 v9, 3, v3
	v_and_b32_e32 v4, 1, v0
	v_and_b32_e32 v6, 0x1f8, v0
	v_mul_u32_u24_e32 v10, 3, v5
	v_mul_u32_u24_e32 v35, 3, v8
	v_min_u32_e32 v13, 0x5fd, v9
	v_min_u32_e32 v14, 0x5fa, v9
	v_cmp_eq_u32_e32 vcc, 1, v4
	v_mul_u32_u24_e32 v11, 3, v6
	v_min_u32_e32 v15, 0x5fa, v10
	v_min_u32_e32 v16, 0x5f4, v10
	;; [unrolled: 1-line block ×3, first 2 shown]
	v_add_u32_e32 v13, 3, v13
	v_add_u32_e32 v14, 6, v14
	v_and_b32_e32 v21, 3, v0
	v_and_b32_e32 v7, 0x1f0, v0
	v_and_b32_e32 v36, 31, v0
	v_cndmask_b32_e64 v3, 0, 3, vcc
	v_min_u32_e32 v17, 0x5f4, v11
	v_min_u32_e32 v18, 0x5e8, v11
	v_add_u32_e32 v15, 6, v15
	v_add_u32_e32 v16, 12, v16
	v_sub_u32_e32 v28, v14, v13
	v_and_b32_e32 v22, 7, v0
	v_mul_u32_u24_e32 v4, 3, v21
	v_mul_u32_u24_e32 v12, 3, v7
	;; [unrolled: 1-line block ×3, first 2 shown]
	v_add_u32_e32 v17, 12, v17
	v_add_u32_e32 v18, 24, v18
	v_sub_u32_e32 v29, v16, v15
	v_sub_u32_e32 v38, v3, v28
	v_cmp_ge_i32_e32 vcc, v3, v28
	v_mul_u32_u24_e32 v5, 3, v22
	v_sub_u32_e32 v30, v18, v17
	v_sub_u32_e32 v39, v4, v29
	v_cndmask_b32_e32 v28, 0, v38, vcc
	v_cmp_ge_i32_e32 vcc, v4, v29
	v_min_u32_e32 v19, 0x5e8, v12
	v_min_u32_e32 v20, 0x5d0, v12
	v_sub_u32_e32 v40, v5, v30
	v_cndmask_b32_e32 v29, 0, v39, vcc
	v_cmp_ge_i32_e32 vcc, v5, v30
	v_and_b32_e32 v23, 15, v0
	v_add_u32_e32 v19, 24, v19
	v_add_u32_e32 v20, 48, v20
	v_cndmask_b32_e32 v30, 0, v40, vcc
	v_mul_u32_u24_e32 v6, 3, v23
	v_sub_u32_e32 v31, v20, v19
	v_sub_u32_e32 v41, v6, v31
	v_cmp_ge_i32_e32 vcc, v6, v31
	v_and_b32_e32 v43, 63, v0
	v_and_b32_e32 v50, 0x7f, v0
	v_cndmask_b32_e32 v31, 0, v41, vcc
	v_and_b32_e32 v58, 0xff, v0
	v_min_u32_e32 v8, 0x600, v9
	v_min_u32_e32 v9, 0x600, v10
	;; [unrolled: 1-line block ×5, first 2 shown]
	v_mul_u32_u24_e32 v2, 3, v0
	v_sub_u32_e32 v24, v13, v8
	v_sub_u32_e32 v25, v15, v9
	;; [unrolled: 1-line block ×4, first 2 shown]
	v_mov_b32_e32 v54, 0x300
	v_min_i32_e32 v24, v3, v24
	v_min_i32_e32 v25, v4, v25
	;; [unrolled: 1-line block ×5, first 2 shown]
	s_movk_i32 s25, 0x600
	s_mov_b32 s26, 0
	v_mov_b32_e32 v1, 0
	v_mad_u32_u24 v21, v21, 3, v15
	v_mad_u32_u24 v22, v22, 3, v17
	;; [unrolled: 1-line block ×3, first 2 shown]
	v_cmp_lt_i32_e32 vcc, v28, v24
	v_cmp_lt_i32_e64 s[0:1], v29, v25
	s_waitcnt vmcnt(1)
	v_lshlrev_b16_e32 v33, 8, v33
	v_or_b32_e32 v32, v32, v33
	v_and_b32_e32 v32, 0xffff, v32
	v_min_u32_e32 v33, 0x5a0, v35
	s_waitcnt vmcnt(0)
	v_lshl_or_b32 v63, v34, 16, v32
	v_add_u32_e32 v32, 48, v37
	v_add_u32_e32 v33, 0x60, v33
	v_sub_u32_e32 v34, v33, v32
	v_sub_u32_e32 v37, v7, v34
	v_cmp_ge_i32_e64 s[6:7], v7, v34
	v_sub_u32_e32 v35, v32, v12
	v_min_i32_e32 v35, v7, v35
	v_cndmask_b32_e64 v34, 0, v37, s[6:7]
	v_and_b32_e32 v37, 0x1c0, v0
	v_mul_u32_u24_e32 v40, 3, v37
	v_min_u32_e32 v38, 0x600, v40
	v_min_u32_e32 v39, 0x5a0, v40
	v_min_u32_e32 v40, 0x540, v40
	v_add_u32_e32 v39, 0x60, v39
	v_add_u32_e32 v40, 0xc0, v40
	v_mul_u32_u24_e32 v37, 3, v43
	v_sub_u32_e32 v41, v40, v39
	v_sub_u32_e32 v44, v37, v41
	v_cmp_ge_i32_e64 s[8:9], v37, v41
	v_sub_u32_e32 v42, v39, v38
	v_min_i32_e32 v42, v37, v42
	v_cndmask_b32_e64 v41, 0, v44, s[8:9]
	v_and_b32_e32 v44, 0x180, v0
	v_mul_u32_u24_e32 v47, 3, v44
	v_min_u32_e32 v45, 0x600, v47
	v_min_u32_e32 v46, 0x540, v47
	v_min_u32_e32 v47, 0x480, v47
	v_add_u32_e32 v46, 0xc0, v46
	v_add_u32_e32 v47, 0x180, v47
	v_mul_u32_u24_e32 v44, 3, v50
	;; [unrolled: 14-line block ×3, first 2 shown]
	v_sub_u32_e32 v56, v55, v53
	v_sub_u32_e32 v57, v51, v56
	;; [unrolled: 1-line block ×3, first 2 shown]
	v_cmp_ge_i32_e64 s[12:13], v51, v56
	v_cmp_lt_i32_e64 s[2:3], v30, v26
	v_cmp_lt_i32_e64 s[4:5], v31, v27
	v_cndmask_b32_e64 v56, 0, v57, s[12:13]
	v_min_i32_e32 v57, v51, v59
	v_sub_u32_e64 v59, v2, v54 clamp
	v_cmp_lt_i32_e64 s[6:7], v34, v35
	v_mad_u32_u24 v36, v36, 3, v32
	v_cmp_lt_i32_e64 s[8:9], v41, v42
	v_mad_u32_u24 v43, v43, 3, v39
	;; [unrolled: 2-line block ×4, first 2 shown]
	v_cmp_lt_i32_e64 s[14:15], v59, v60
	s_mov_b32 s27, 0x7060405
	s_mov_b32 s28, 0x7000604
	;; [unrolled: 1-line block ×3, first 2 shown]
	v_add_u32_e32 v61, v13, v3
	v_mad_u32_u24 v62, v0, 3, v54
	s_branch .LBB74_2
.LBB74_1:                               ;   in Loop: Header=BB74_2 Depth=1
	s_or_b64 exec, exec, s[20:21]
	v_cndmask_b32_e64 v66, v66, v67, s[18:19]
	v_cmp_ge_i32_e64 s[18:19], v70, v54
	s_waitcnt lgkmcnt(0)
	v_cmp_lt_i16_sdwa s[20:21], sext(v71), sext(v65) src0_sel:BYTE_0 src1_sel:BYTE_0
	v_cndmask_b32_e64 v64, v63, v64, s[16:17]
	v_cmp_gt_i32_e64 s[16:17], s25, v68
	s_or_b64 s[18:19], s[18:19], s[20:21]
	s_and_b64 s[16:17], s[16:17], s[18:19]
	v_cndmask_b32_e64 v65, v65, v71, s[16:17]
	v_lshlrev_b16_e32 v63, 8, v66
	v_and_b32_e32 v67, 0xff, v65
	v_or_b32_sdwa v63, v64, v63 dst_sel:DWORD dst_unused:UNUSED_PAD src0_sel:BYTE_0 src1_sel:DWORD
	v_lshlrev_b32_e32 v67, 16, v67
	s_add_i32 s26, s26, 1
	s_cmp_eq_u32 s26, 10
	v_or_b32_sdwa v63, v63, v67 dst_sel:DWORD dst_unused:UNUSED_PAD src0_sel:WORD_0 src1_sel:DWORD
	s_cbranch_scc1 .LBB74_110
.LBB74_2:                               ; =>This Loop Header: Depth=1
                                        ;     Child Loop BB74_4 Depth 2
                                        ;     Child Loop BB74_16 Depth 2
	;; [unrolled: 1-line block ×9, first 2 shown]
	v_lshrrev_b32_e32 v65, 8, v63
	v_perm_b32 v64, v63, v63, s27
	v_cmp_lt_i16_sdwa s[16:17], sext(v65), sext(v63) src0_sel:BYTE_0 src1_sel:BYTE_0
	v_min_i16_sdwa v67, sext(v65), sext(v63) dst_sel:DWORD dst_unused:UNUSED_PAD src0_sel:BYTE_0 src1_sel:BYTE_0
	s_nop 0
	v_cndmask_b32_e64 v64, v63, v64, s[16:17]
	v_lshrrev_b32_e32 v66, 16, v64
	v_max_i16_sdwa v63, sext(v65), sext(v63) dst_sel:DWORD dst_unused:UNUSED_PAD src0_sel:BYTE_0 src1_sel:BYTE_0
	v_perm_b32 v65, v64, v63, s28
	v_cmp_lt_i16_sdwa s[16:17], sext(v66), v63 src0_sel:BYTE_0 src1_sel:DWORD
	v_min_i16_sdwa v63, sext(v66), v63 dst_sel:DWORD dst_unused:UNUSED_PAD src0_sel:BYTE_0 src1_sel:DWORD
	s_barrier
	v_cndmask_b32_e64 v64, v64, v65, s[16:17]
	v_lshlrev_b16_e32 v65, 8, v67
	v_or_b32_sdwa v63, v63, v65 dst_sel:DWORD dst_unused:UNUSED_PAD src0_sel:BYTE_0 src1_sel:DWORD
	v_and_b32_e32 v63, 0xffff, v63
	v_and_or_b32 v63, v64, s29, v63
	v_cmp_lt_i16_sdwa s[16:17], sext(v66), v67 src0_sel:BYTE_0 src1_sel:DWORD
	s_nop 1
	v_cndmask_b32_e64 v63, v64, v63, s[16:17]
	v_lshrrev_b32_e32 v64, 8, v63
	ds_write_b8 v2, v63
	ds_write_b8 v2, v64 offset:1
	ds_write_b8_d16_hi v2, v63 offset:2
	v_mov_b32_e32 v63, v28
	s_waitcnt lgkmcnt(0)
	s_barrier
	s_and_saveexec_b64 s[18:19], vcc
	s_cbranch_execz .LBB74_6
; %bb.3:                                ;   in Loop: Header=BB74_2 Depth=1
	s_mov_b64 s[20:21], 0
	v_mov_b32_e32 v63, v28
	v_mov_b32_e32 v64, v24
.LBB74_4:                               ;   Parent Loop BB74_2 Depth=1
                                        ; =>  This Inner Loop Header: Depth=2
	v_sub_u32_e32 v65, v64, v63
	v_lshrrev_b32_e32 v66, 31, v65
	v_add_u32_e32 v65, v65, v66
	v_ashrrev_i32_e32 v65, 1, v65
	v_add_u32_e32 v65, v65, v63
	v_not_b32_e32 v67, v65
	v_add_u32_e32 v66, v8, v65
	v_add3_u32 v67, v3, v67, v13
	ds_read_i8 v66, v66
	ds_read_i8 v67, v67
	v_add_u32_e32 v68, 1, v65
	s_waitcnt lgkmcnt(0)
	v_cmp_lt_i16_e64 s[16:17], v67, v66
	s_nop 1
	v_cndmask_b32_e64 v64, v64, v65, s[16:17]
	v_cndmask_b32_e64 v63, v68, v63, s[16:17]
	v_cmp_ge_i32_e64 s[16:17], v63, v64
	s_or_b64 s[20:21], s[16:17], s[20:21]
	s_andn2_b64 exec, exec, s[20:21]
	s_cbranch_execnz .LBB74_4
; %bb.5:                                ;   in Loop: Header=BB74_2 Depth=1
	s_or_b64 exec, exec, s[20:21]
.LBB74_6:                               ;   in Loop: Header=BB74_2 Depth=1
	s_or_b64 exec, exec, s[18:19]
	v_add_u32_e32 v67, v63, v8
	v_sub_u32_e32 v68, v61, v63
	ds_read_u8 v63, v67
	ds_read_u8 v64, v68
	v_cmp_le_i32_e64 s[18:19], v13, v67
	v_cmp_gt_i32_e64 s[16:17], v14, v68
                                        ; implicit-def: $vgpr65
	s_waitcnt lgkmcnt(1)
	v_bfe_i32 v63, v63, 0, 8
	s_waitcnt lgkmcnt(0)
	v_bfe_i32 v64, v64, 0, 8
	v_cmp_lt_i16_e64 s[20:21], v64, v63
	s_or_b64 s[18:19], s[18:19], s[20:21]
	s_and_b64 s[16:17], s[16:17], s[18:19]
	s_xor_b64 s[18:19], s[16:17], -1
	s_and_saveexec_b64 s[20:21], s[18:19]
	s_xor_b64 s[18:19], exec, s[20:21]
	s_cbranch_execz .LBB74_8
; %bb.7:                                ;   in Loop: Header=BB74_2 Depth=1
	ds_read_u8 v65, v67 offset:1
.LBB74_8:                               ;   in Loop: Header=BB74_2 Depth=1
	s_or_saveexec_b64 s[18:19], s[18:19]
	v_mov_b32_e32 v66, v64
	s_xor_b64 exec, exec, s[18:19]
	s_cbranch_execz .LBB74_10
; %bb.9:                                ;   in Loop: Header=BB74_2 Depth=1
	ds_read_u8 v66, v68 offset:1
	s_waitcnt lgkmcnt(1)
	v_mov_b32_e32 v65, v63
.LBB74_10:                              ;   in Loop: Header=BB74_2 Depth=1
	s_or_b64 exec, exec, s[18:19]
	v_add_u32_e32 v70, 1, v67
	v_add_u32_e32 v69, 1, v68
	v_cndmask_b32_e64 v67, v70, v67, s[16:17]
	v_cndmask_b32_e64 v68, v68, v69, s[16:17]
	v_cmp_ge_i32_e64 s[20:21], v67, v13
	s_waitcnt lgkmcnt(0)
	v_cmp_lt_i16_sdwa s[30:31], sext(v66), sext(v65) src0_sel:BYTE_0 src1_sel:BYTE_0
	v_cmp_lt_i32_e64 s[18:19], v68, v14
	s_or_b64 s[20:21], s[20:21], s[30:31]
	s_and_b64 s[18:19], s[18:19], s[20:21]
	s_xor_b64 s[20:21], s[18:19], -1
                                        ; implicit-def: $vgpr69
	s_and_saveexec_b64 s[30:31], s[20:21]
	s_xor_b64 s[20:21], exec, s[30:31]
	s_cbranch_execz .LBB74_12
; %bb.11:                               ;   in Loop: Header=BB74_2 Depth=1
	ds_read_u8 v69, v67 offset:1
.LBB74_12:                              ;   in Loop: Header=BB74_2 Depth=1
	s_or_saveexec_b64 s[20:21], s[20:21]
	v_mov_b32_e32 v70, v66
	s_xor_b64 exec, exec, s[20:21]
	s_cbranch_execz .LBB74_14
; %bb.13:                               ;   in Loop: Header=BB74_2 Depth=1
	ds_read_u8 v70, v68 offset:1
	s_waitcnt lgkmcnt(1)
	v_mov_b32_e32 v69, v65
.LBB74_14:                              ;   in Loop: Header=BB74_2 Depth=1
	s_or_b64 exec, exec, s[20:21]
	v_add_u32_e32 v71, 1, v67
	v_cndmask_b32_e64 v65, v65, v66, s[18:19]
	v_add_u32_e32 v66, 1, v68
	v_cndmask_b32_e64 v67, v71, v67, s[18:19]
	v_cndmask_b32_e64 v66, v68, v66, s[18:19]
	v_cmp_ge_i32_e64 s[18:19], v67, v13
	s_waitcnt lgkmcnt(0)
	v_cmp_lt_i16_sdwa s[20:21], sext(v70), sext(v69) src0_sel:BYTE_0 src1_sel:BYTE_0
	v_cndmask_b32_e64 v63, v63, v64, s[16:17]
	v_cmp_lt_i32_e64 s[16:17], v66, v14
	s_or_b64 s[18:19], s[18:19], s[20:21]
	s_and_b64 s[16:17], s[16:17], s[18:19]
	v_cndmask_b32_e64 v64, v69, v70, s[16:17]
	s_barrier
	ds_write_b8 v2, v63
	ds_write_b8 v2, v65 offset:1
	ds_write_b8 v2, v64 offset:2
	v_mov_b32_e32 v63, v29
	s_waitcnt lgkmcnt(0)
	s_barrier
	s_and_saveexec_b64 s[18:19], s[0:1]
	s_cbranch_execz .LBB74_18
; %bb.15:                               ;   in Loop: Header=BB74_2 Depth=1
	s_mov_b64 s[20:21], 0
	v_mov_b32_e32 v63, v29
	v_mov_b32_e32 v64, v25
.LBB74_16:                              ;   Parent Loop BB74_2 Depth=1
                                        ; =>  This Inner Loop Header: Depth=2
	v_sub_u32_e32 v65, v64, v63
	v_lshrrev_b32_e32 v66, 31, v65
	v_add_u32_e32 v65, v65, v66
	v_ashrrev_i32_e32 v65, 1, v65
	v_add_u32_e32 v65, v65, v63
	v_not_b32_e32 v67, v65
	v_add_u32_e32 v66, v9, v65
	v_add3_u32 v67, v4, v67, v15
	ds_read_i8 v66, v66
	ds_read_i8 v67, v67
	v_add_u32_e32 v68, 1, v65
	s_waitcnt lgkmcnt(0)
	v_cmp_lt_i16_e64 s[16:17], v67, v66
	s_nop 1
	v_cndmask_b32_e64 v64, v64, v65, s[16:17]
	v_cndmask_b32_e64 v63, v68, v63, s[16:17]
	v_cmp_ge_i32_e64 s[16:17], v63, v64
	s_or_b64 s[20:21], s[16:17], s[20:21]
	s_andn2_b64 exec, exec, s[20:21]
	s_cbranch_execnz .LBB74_16
; %bb.17:                               ;   in Loop: Header=BB74_2 Depth=1
	s_or_b64 exec, exec, s[20:21]
.LBB74_18:                              ;   in Loop: Header=BB74_2 Depth=1
	s_or_b64 exec, exec, s[18:19]
	v_add_u32_e32 v67, v63, v9
	v_sub_u32_e32 v68, v21, v63
	ds_read_u8 v63, v67
	ds_read_u8 v64, v68
	v_cmp_le_i32_e64 s[18:19], v15, v67
	v_cmp_gt_i32_e64 s[16:17], v16, v68
                                        ; implicit-def: $vgpr65
	s_waitcnt lgkmcnt(1)
	v_bfe_i32 v63, v63, 0, 8
	s_waitcnt lgkmcnt(0)
	v_bfe_i32 v64, v64, 0, 8
	v_cmp_lt_i16_e64 s[20:21], v64, v63
	s_or_b64 s[18:19], s[18:19], s[20:21]
	s_and_b64 s[16:17], s[16:17], s[18:19]
	s_xor_b64 s[18:19], s[16:17], -1
	s_and_saveexec_b64 s[20:21], s[18:19]
	s_xor_b64 s[18:19], exec, s[20:21]
	s_cbranch_execz .LBB74_20
; %bb.19:                               ;   in Loop: Header=BB74_2 Depth=1
	ds_read_u8 v65, v67 offset:1
.LBB74_20:                              ;   in Loop: Header=BB74_2 Depth=1
	s_or_saveexec_b64 s[18:19], s[18:19]
	v_mov_b32_e32 v66, v64
	s_xor_b64 exec, exec, s[18:19]
	s_cbranch_execz .LBB74_22
; %bb.21:                               ;   in Loop: Header=BB74_2 Depth=1
	ds_read_u8 v66, v68 offset:1
	s_waitcnt lgkmcnt(1)
	v_mov_b32_e32 v65, v63
.LBB74_22:                              ;   in Loop: Header=BB74_2 Depth=1
	s_or_b64 exec, exec, s[18:19]
	v_add_u32_e32 v70, 1, v67
	v_add_u32_e32 v69, 1, v68
	v_cndmask_b32_e64 v67, v70, v67, s[16:17]
	v_cndmask_b32_e64 v68, v68, v69, s[16:17]
	v_cmp_ge_i32_e64 s[20:21], v67, v15
	s_waitcnt lgkmcnt(0)
	v_cmp_lt_i16_sdwa s[30:31], sext(v66), sext(v65) src0_sel:BYTE_0 src1_sel:BYTE_0
	v_cmp_lt_i32_e64 s[18:19], v68, v16
	s_or_b64 s[20:21], s[20:21], s[30:31]
	s_and_b64 s[18:19], s[18:19], s[20:21]
	s_xor_b64 s[20:21], s[18:19], -1
                                        ; implicit-def: $vgpr69
	s_and_saveexec_b64 s[30:31], s[20:21]
	s_xor_b64 s[20:21], exec, s[30:31]
	s_cbranch_execz .LBB74_24
; %bb.23:                               ;   in Loop: Header=BB74_2 Depth=1
	ds_read_u8 v69, v67 offset:1
.LBB74_24:                              ;   in Loop: Header=BB74_2 Depth=1
	s_or_saveexec_b64 s[20:21], s[20:21]
	v_mov_b32_e32 v70, v66
	s_xor_b64 exec, exec, s[20:21]
	s_cbranch_execz .LBB74_26
; %bb.25:                               ;   in Loop: Header=BB74_2 Depth=1
	ds_read_u8 v70, v68 offset:1
	s_waitcnt lgkmcnt(1)
	v_mov_b32_e32 v69, v65
.LBB74_26:                              ;   in Loop: Header=BB74_2 Depth=1
	s_or_b64 exec, exec, s[20:21]
	v_add_u32_e32 v71, 1, v67
	v_cndmask_b32_e64 v65, v65, v66, s[18:19]
	v_add_u32_e32 v66, 1, v68
	v_cndmask_b32_e64 v67, v71, v67, s[18:19]
	v_cndmask_b32_e64 v66, v68, v66, s[18:19]
	v_cmp_ge_i32_e64 s[18:19], v67, v15
	s_waitcnt lgkmcnt(0)
	v_cmp_lt_i16_sdwa s[20:21], sext(v70), sext(v69) src0_sel:BYTE_0 src1_sel:BYTE_0
	v_cndmask_b32_e64 v63, v63, v64, s[16:17]
	v_cmp_lt_i32_e64 s[16:17], v66, v16
	s_or_b64 s[18:19], s[18:19], s[20:21]
	s_and_b64 s[16:17], s[16:17], s[18:19]
	v_cndmask_b32_e64 v64, v69, v70, s[16:17]
	s_barrier
	ds_write_b8 v2, v63
	ds_write_b8 v2, v65 offset:1
	ds_write_b8 v2, v64 offset:2
	v_mov_b32_e32 v63, v30
	s_waitcnt lgkmcnt(0)
	s_barrier
	s_and_saveexec_b64 s[18:19], s[2:3]
	s_cbranch_execz .LBB74_30
; %bb.27:                               ;   in Loop: Header=BB74_2 Depth=1
	s_mov_b64 s[20:21], 0
	v_mov_b32_e32 v63, v30
	v_mov_b32_e32 v64, v26
.LBB74_28:                              ;   Parent Loop BB74_2 Depth=1
                                        ; =>  This Inner Loop Header: Depth=2
	v_sub_u32_e32 v65, v64, v63
	v_lshrrev_b32_e32 v66, 31, v65
	v_add_u32_e32 v65, v65, v66
	v_ashrrev_i32_e32 v65, 1, v65
	v_add_u32_e32 v65, v65, v63
	v_not_b32_e32 v67, v65
	v_add_u32_e32 v66, v10, v65
	v_add3_u32 v67, v5, v67, v17
	ds_read_i8 v66, v66
	ds_read_i8 v67, v67
	v_add_u32_e32 v68, 1, v65
	s_waitcnt lgkmcnt(0)
	v_cmp_lt_i16_e64 s[16:17], v67, v66
	s_nop 1
	v_cndmask_b32_e64 v64, v64, v65, s[16:17]
	v_cndmask_b32_e64 v63, v68, v63, s[16:17]
	v_cmp_ge_i32_e64 s[16:17], v63, v64
	s_or_b64 s[20:21], s[16:17], s[20:21]
	s_andn2_b64 exec, exec, s[20:21]
	s_cbranch_execnz .LBB74_28
; %bb.29:                               ;   in Loop: Header=BB74_2 Depth=1
	s_or_b64 exec, exec, s[20:21]
.LBB74_30:                              ;   in Loop: Header=BB74_2 Depth=1
	s_or_b64 exec, exec, s[18:19]
	v_add_u32_e32 v67, v63, v10
	v_sub_u32_e32 v68, v22, v63
	ds_read_u8 v63, v67
	ds_read_u8 v64, v68
	v_cmp_le_i32_e64 s[18:19], v17, v67
	v_cmp_gt_i32_e64 s[16:17], v18, v68
                                        ; implicit-def: $vgpr65
	s_waitcnt lgkmcnt(1)
	v_bfe_i32 v63, v63, 0, 8
	s_waitcnt lgkmcnt(0)
	v_bfe_i32 v64, v64, 0, 8
	v_cmp_lt_i16_e64 s[20:21], v64, v63
	s_or_b64 s[18:19], s[18:19], s[20:21]
	s_and_b64 s[16:17], s[16:17], s[18:19]
	s_xor_b64 s[18:19], s[16:17], -1
	s_and_saveexec_b64 s[20:21], s[18:19]
	s_xor_b64 s[18:19], exec, s[20:21]
	s_cbranch_execz .LBB74_32
; %bb.31:                               ;   in Loop: Header=BB74_2 Depth=1
	ds_read_u8 v65, v67 offset:1
.LBB74_32:                              ;   in Loop: Header=BB74_2 Depth=1
	s_or_saveexec_b64 s[18:19], s[18:19]
	v_mov_b32_e32 v66, v64
	s_xor_b64 exec, exec, s[18:19]
	s_cbranch_execz .LBB74_34
; %bb.33:                               ;   in Loop: Header=BB74_2 Depth=1
	ds_read_u8 v66, v68 offset:1
	s_waitcnt lgkmcnt(1)
	v_mov_b32_e32 v65, v63
.LBB74_34:                              ;   in Loop: Header=BB74_2 Depth=1
	s_or_b64 exec, exec, s[18:19]
	v_add_u32_e32 v70, 1, v67
	v_add_u32_e32 v69, 1, v68
	v_cndmask_b32_e64 v67, v70, v67, s[16:17]
	v_cndmask_b32_e64 v68, v68, v69, s[16:17]
	v_cmp_ge_i32_e64 s[20:21], v67, v17
	s_waitcnt lgkmcnt(0)
	v_cmp_lt_i16_sdwa s[30:31], sext(v66), sext(v65) src0_sel:BYTE_0 src1_sel:BYTE_0
	v_cmp_lt_i32_e64 s[18:19], v68, v18
	s_or_b64 s[20:21], s[20:21], s[30:31]
	s_and_b64 s[18:19], s[18:19], s[20:21]
	s_xor_b64 s[20:21], s[18:19], -1
                                        ; implicit-def: $vgpr69
	s_and_saveexec_b64 s[30:31], s[20:21]
	s_xor_b64 s[20:21], exec, s[30:31]
	s_cbranch_execz .LBB74_36
; %bb.35:                               ;   in Loop: Header=BB74_2 Depth=1
	ds_read_u8 v69, v67 offset:1
.LBB74_36:                              ;   in Loop: Header=BB74_2 Depth=1
	s_or_saveexec_b64 s[20:21], s[20:21]
	v_mov_b32_e32 v70, v66
	s_xor_b64 exec, exec, s[20:21]
	s_cbranch_execz .LBB74_38
; %bb.37:                               ;   in Loop: Header=BB74_2 Depth=1
	ds_read_u8 v70, v68 offset:1
	s_waitcnt lgkmcnt(1)
	v_mov_b32_e32 v69, v65
.LBB74_38:                              ;   in Loop: Header=BB74_2 Depth=1
	s_or_b64 exec, exec, s[20:21]
	v_add_u32_e32 v71, 1, v67
	v_cndmask_b32_e64 v65, v65, v66, s[18:19]
	v_add_u32_e32 v66, 1, v68
	v_cndmask_b32_e64 v67, v71, v67, s[18:19]
	v_cndmask_b32_e64 v66, v68, v66, s[18:19]
	v_cmp_ge_i32_e64 s[18:19], v67, v17
	s_waitcnt lgkmcnt(0)
	v_cmp_lt_i16_sdwa s[20:21], sext(v70), sext(v69) src0_sel:BYTE_0 src1_sel:BYTE_0
	v_cndmask_b32_e64 v63, v63, v64, s[16:17]
	v_cmp_lt_i32_e64 s[16:17], v66, v18
	s_or_b64 s[18:19], s[18:19], s[20:21]
	s_and_b64 s[16:17], s[16:17], s[18:19]
	v_cndmask_b32_e64 v64, v69, v70, s[16:17]
	s_barrier
	ds_write_b8 v2, v63
	ds_write_b8 v2, v65 offset:1
	ds_write_b8 v2, v64 offset:2
	v_mov_b32_e32 v63, v31
	s_waitcnt lgkmcnt(0)
	s_barrier
	s_and_saveexec_b64 s[18:19], s[4:5]
	s_cbranch_execz .LBB74_42
; %bb.39:                               ;   in Loop: Header=BB74_2 Depth=1
	s_mov_b64 s[20:21], 0
	v_mov_b32_e32 v63, v31
	v_mov_b32_e32 v64, v27
.LBB74_40:                              ;   Parent Loop BB74_2 Depth=1
                                        ; =>  This Inner Loop Header: Depth=2
	v_sub_u32_e32 v65, v64, v63
	v_lshrrev_b32_e32 v66, 31, v65
	v_add_u32_e32 v65, v65, v66
	v_ashrrev_i32_e32 v65, 1, v65
	v_add_u32_e32 v65, v65, v63
	v_not_b32_e32 v67, v65
	v_add_u32_e32 v66, v11, v65
	v_add3_u32 v67, v6, v67, v19
	ds_read_i8 v66, v66
	ds_read_i8 v67, v67
	v_add_u32_e32 v68, 1, v65
	s_waitcnt lgkmcnt(0)
	v_cmp_lt_i16_e64 s[16:17], v67, v66
	s_nop 1
	v_cndmask_b32_e64 v64, v64, v65, s[16:17]
	v_cndmask_b32_e64 v63, v68, v63, s[16:17]
	v_cmp_ge_i32_e64 s[16:17], v63, v64
	s_or_b64 s[20:21], s[16:17], s[20:21]
	s_andn2_b64 exec, exec, s[20:21]
	s_cbranch_execnz .LBB74_40
; %bb.41:                               ;   in Loop: Header=BB74_2 Depth=1
	s_or_b64 exec, exec, s[20:21]
.LBB74_42:                              ;   in Loop: Header=BB74_2 Depth=1
	s_or_b64 exec, exec, s[18:19]
	v_add_u32_e32 v67, v63, v11
	v_sub_u32_e32 v68, v23, v63
	ds_read_u8 v63, v67
	ds_read_u8 v64, v68
	v_cmp_le_i32_e64 s[18:19], v19, v67
	v_cmp_gt_i32_e64 s[16:17], v20, v68
                                        ; implicit-def: $vgpr65
	s_waitcnt lgkmcnt(1)
	v_bfe_i32 v63, v63, 0, 8
	s_waitcnt lgkmcnt(0)
	v_bfe_i32 v64, v64, 0, 8
	v_cmp_lt_i16_e64 s[20:21], v64, v63
	s_or_b64 s[18:19], s[18:19], s[20:21]
	s_and_b64 s[16:17], s[16:17], s[18:19]
	s_xor_b64 s[18:19], s[16:17], -1
	s_and_saveexec_b64 s[20:21], s[18:19]
	s_xor_b64 s[18:19], exec, s[20:21]
	s_cbranch_execz .LBB74_44
; %bb.43:                               ;   in Loop: Header=BB74_2 Depth=1
	ds_read_u8 v65, v67 offset:1
.LBB74_44:                              ;   in Loop: Header=BB74_2 Depth=1
	s_or_saveexec_b64 s[18:19], s[18:19]
	v_mov_b32_e32 v66, v64
	s_xor_b64 exec, exec, s[18:19]
	s_cbranch_execz .LBB74_46
; %bb.45:                               ;   in Loop: Header=BB74_2 Depth=1
	ds_read_u8 v66, v68 offset:1
	s_waitcnt lgkmcnt(1)
	v_mov_b32_e32 v65, v63
.LBB74_46:                              ;   in Loop: Header=BB74_2 Depth=1
	s_or_b64 exec, exec, s[18:19]
	v_add_u32_e32 v70, 1, v67
	v_add_u32_e32 v69, 1, v68
	v_cndmask_b32_e64 v67, v70, v67, s[16:17]
	v_cndmask_b32_e64 v68, v68, v69, s[16:17]
	v_cmp_ge_i32_e64 s[20:21], v67, v19
	s_waitcnt lgkmcnt(0)
	v_cmp_lt_i16_sdwa s[30:31], sext(v66), sext(v65) src0_sel:BYTE_0 src1_sel:BYTE_0
	v_cmp_lt_i32_e64 s[18:19], v68, v20
	s_or_b64 s[20:21], s[20:21], s[30:31]
	s_and_b64 s[18:19], s[18:19], s[20:21]
	s_xor_b64 s[20:21], s[18:19], -1
                                        ; implicit-def: $vgpr69
	s_and_saveexec_b64 s[30:31], s[20:21]
	s_xor_b64 s[20:21], exec, s[30:31]
	s_cbranch_execz .LBB74_48
; %bb.47:                               ;   in Loop: Header=BB74_2 Depth=1
	ds_read_u8 v69, v67 offset:1
.LBB74_48:                              ;   in Loop: Header=BB74_2 Depth=1
	s_or_saveexec_b64 s[20:21], s[20:21]
	v_mov_b32_e32 v70, v66
	s_xor_b64 exec, exec, s[20:21]
	s_cbranch_execz .LBB74_50
; %bb.49:                               ;   in Loop: Header=BB74_2 Depth=1
	ds_read_u8 v70, v68 offset:1
	s_waitcnt lgkmcnt(1)
	v_mov_b32_e32 v69, v65
.LBB74_50:                              ;   in Loop: Header=BB74_2 Depth=1
	s_or_b64 exec, exec, s[20:21]
	v_add_u32_e32 v71, 1, v67
	v_cndmask_b32_e64 v65, v65, v66, s[18:19]
	v_add_u32_e32 v66, 1, v68
	v_cndmask_b32_e64 v67, v71, v67, s[18:19]
	v_cndmask_b32_e64 v66, v68, v66, s[18:19]
	v_cmp_ge_i32_e64 s[18:19], v67, v19
	s_waitcnt lgkmcnt(0)
	v_cmp_lt_i16_sdwa s[20:21], sext(v70), sext(v69) src0_sel:BYTE_0 src1_sel:BYTE_0
	v_cndmask_b32_e64 v63, v63, v64, s[16:17]
	v_cmp_lt_i32_e64 s[16:17], v66, v20
	s_or_b64 s[18:19], s[18:19], s[20:21]
	s_and_b64 s[16:17], s[16:17], s[18:19]
	v_cndmask_b32_e64 v64, v69, v70, s[16:17]
	s_barrier
	ds_write_b8 v2, v63
	ds_write_b8 v2, v65 offset:1
	ds_write_b8 v2, v64 offset:2
	v_mov_b32_e32 v63, v34
	s_waitcnt lgkmcnt(0)
	s_barrier
	s_and_saveexec_b64 s[18:19], s[6:7]
	s_cbranch_execz .LBB74_54
; %bb.51:                               ;   in Loop: Header=BB74_2 Depth=1
	s_mov_b64 s[20:21], 0
	v_mov_b32_e32 v63, v34
	v_mov_b32_e32 v64, v35
.LBB74_52:                              ;   Parent Loop BB74_2 Depth=1
                                        ; =>  This Inner Loop Header: Depth=2
	v_sub_u32_e32 v65, v64, v63
	v_lshrrev_b32_e32 v66, 31, v65
	v_add_u32_e32 v65, v65, v66
	v_ashrrev_i32_e32 v65, 1, v65
	v_add_u32_e32 v65, v65, v63
	v_not_b32_e32 v67, v65
	v_add_u32_e32 v66, v12, v65
	v_add3_u32 v67, v7, v67, v32
	ds_read_i8 v66, v66
	ds_read_i8 v67, v67
	v_add_u32_e32 v68, 1, v65
	s_waitcnt lgkmcnt(0)
	v_cmp_lt_i16_e64 s[16:17], v67, v66
	s_nop 1
	v_cndmask_b32_e64 v64, v64, v65, s[16:17]
	v_cndmask_b32_e64 v63, v68, v63, s[16:17]
	v_cmp_ge_i32_e64 s[16:17], v63, v64
	s_or_b64 s[20:21], s[16:17], s[20:21]
	s_andn2_b64 exec, exec, s[20:21]
	s_cbranch_execnz .LBB74_52
; %bb.53:                               ;   in Loop: Header=BB74_2 Depth=1
	s_or_b64 exec, exec, s[20:21]
.LBB74_54:                              ;   in Loop: Header=BB74_2 Depth=1
	s_or_b64 exec, exec, s[18:19]
	v_add_u32_e32 v67, v63, v12
	v_sub_u32_e32 v68, v36, v63
	ds_read_u8 v63, v67
	ds_read_u8 v64, v68
	v_cmp_le_i32_e64 s[18:19], v32, v67
	v_cmp_gt_i32_e64 s[16:17], v33, v68
                                        ; implicit-def: $vgpr65
	s_waitcnt lgkmcnt(1)
	v_bfe_i32 v63, v63, 0, 8
	s_waitcnt lgkmcnt(0)
	v_bfe_i32 v64, v64, 0, 8
	v_cmp_lt_i16_e64 s[20:21], v64, v63
	s_or_b64 s[18:19], s[18:19], s[20:21]
	s_and_b64 s[16:17], s[16:17], s[18:19]
	s_xor_b64 s[18:19], s[16:17], -1
	s_and_saveexec_b64 s[20:21], s[18:19]
	s_xor_b64 s[18:19], exec, s[20:21]
	s_cbranch_execz .LBB74_56
; %bb.55:                               ;   in Loop: Header=BB74_2 Depth=1
	ds_read_u8 v65, v67 offset:1
.LBB74_56:                              ;   in Loop: Header=BB74_2 Depth=1
	s_or_saveexec_b64 s[18:19], s[18:19]
	v_mov_b32_e32 v66, v64
	s_xor_b64 exec, exec, s[18:19]
	s_cbranch_execz .LBB74_58
; %bb.57:                               ;   in Loop: Header=BB74_2 Depth=1
	ds_read_u8 v66, v68 offset:1
	s_waitcnt lgkmcnt(1)
	v_mov_b32_e32 v65, v63
.LBB74_58:                              ;   in Loop: Header=BB74_2 Depth=1
	s_or_b64 exec, exec, s[18:19]
	v_add_u32_e32 v70, 1, v67
	v_add_u32_e32 v69, 1, v68
	v_cndmask_b32_e64 v67, v70, v67, s[16:17]
	v_cndmask_b32_e64 v68, v68, v69, s[16:17]
	v_cmp_ge_i32_e64 s[20:21], v67, v32
	s_waitcnt lgkmcnt(0)
	v_cmp_lt_i16_sdwa s[30:31], sext(v66), sext(v65) src0_sel:BYTE_0 src1_sel:BYTE_0
	v_cmp_lt_i32_e64 s[18:19], v68, v33
	s_or_b64 s[20:21], s[20:21], s[30:31]
	s_and_b64 s[18:19], s[18:19], s[20:21]
	s_xor_b64 s[20:21], s[18:19], -1
                                        ; implicit-def: $vgpr69
	s_and_saveexec_b64 s[30:31], s[20:21]
	s_xor_b64 s[20:21], exec, s[30:31]
	s_cbranch_execz .LBB74_60
; %bb.59:                               ;   in Loop: Header=BB74_2 Depth=1
	ds_read_u8 v69, v67 offset:1
.LBB74_60:                              ;   in Loop: Header=BB74_2 Depth=1
	s_or_saveexec_b64 s[20:21], s[20:21]
	v_mov_b32_e32 v70, v66
	s_xor_b64 exec, exec, s[20:21]
	s_cbranch_execz .LBB74_62
; %bb.61:                               ;   in Loop: Header=BB74_2 Depth=1
	ds_read_u8 v70, v68 offset:1
	s_waitcnt lgkmcnt(1)
	v_mov_b32_e32 v69, v65
.LBB74_62:                              ;   in Loop: Header=BB74_2 Depth=1
	s_or_b64 exec, exec, s[20:21]
	v_add_u32_e32 v71, 1, v67
	v_cndmask_b32_e64 v65, v65, v66, s[18:19]
	v_add_u32_e32 v66, 1, v68
	v_cndmask_b32_e64 v67, v71, v67, s[18:19]
	v_cndmask_b32_e64 v66, v68, v66, s[18:19]
	v_cmp_ge_i32_e64 s[18:19], v67, v32
	s_waitcnt lgkmcnt(0)
	v_cmp_lt_i16_sdwa s[20:21], sext(v70), sext(v69) src0_sel:BYTE_0 src1_sel:BYTE_0
	v_cndmask_b32_e64 v63, v63, v64, s[16:17]
	v_cmp_lt_i32_e64 s[16:17], v66, v33
	s_or_b64 s[18:19], s[18:19], s[20:21]
	s_and_b64 s[16:17], s[16:17], s[18:19]
	v_cndmask_b32_e64 v64, v69, v70, s[16:17]
	s_barrier
	ds_write_b8 v2, v63
	ds_write_b8 v2, v65 offset:1
	ds_write_b8 v2, v64 offset:2
	v_mov_b32_e32 v63, v41
	s_waitcnt lgkmcnt(0)
	s_barrier
	s_and_saveexec_b64 s[18:19], s[8:9]
	s_cbranch_execz .LBB74_66
; %bb.63:                               ;   in Loop: Header=BB74_2 Depth=1
	s_mov_b64 s[20:21], 0
	v_mov_b32_e32 v63, v41
	v_mov_b32_e32 v64, v42
.LBB74_64:                              ;   Parent Loop BB74_2 Depth=1
                                        ; =>  This Inner Loop Header: Depth=2
	v_sub_u32_e32 v65, v64, v63
	v_lshrrev_b32_e32 v66, 31, v65
	v_add_u32_e32 v65, v65, v66
	v_ashrrev_i32_e32 v65, 1, v65
	v_add_u32_e32 v65, v65, v63
	v_not_b32_e32 v67, v65
	v_add_u32_e32 v66, v38, v65
	v_add3_u32 v67, v37, v67, v39
	ds_read_i8 v66, v66
	ds_read_i8 v67, v67
	v_add_u32_e32 v68, 1, v65
	s_waitcnt lgkmcnt(0)
	v_cmp_lt_i16_e64 s[16:17], v67, v66
	s_nop 1
	v_cndmask_b32_e64 v64, v64, v65, s[16:17]
	v_cndmask_b32_e64 v63, v68, v63, s[16:17]
	v_cmp_ge_i32_e64 s[16:17], v63, v64
	s_or_b64 s[20:21], s[16:17], s[20:21]
	s_andn2_b64 exec, exec, s[20:21]
	s_cbranch_execnz .LBB74_64
; %bb.65:                               ;   in Loop: Header=BB74_2 Depth=1
	s_or_b64 exec, exec, s[20:21]
.LBB74_66:                              ;   in Loop: Header=BB74_2 Depth=1
	s_or_b64 exec, exec, s[18:19]
	v_add_u32_e32 v67, v63, v38
	v_sub_u32_e32 v68, v43, v63
	ds_read_u8 v63, v67
	ds_read_u8 v64, v68
	v_cmp_le_i32_e64 s[18:19], v39, v67
	v_cmp_gt_i32_e64 s[16:17], v40, v68
                                        ; implicit-def: $vgpr65
	s_waitcnt lgkmcnt(1)
	v_bfe_i32 v63, v63, 0, 8
	s_waitcnt lgkmcnt(0)
	v_bfe_i32 v64, v64, 0, 8
	v_cmp_lt_i16_e64 s[20:21], v64, v63
	s_or_b64 s[18:19], s[18:19], s[20:21]
	s_and_b64 s[16:17], s[16:17], s[18:19]
	s_xor_b64 s[18:19], s[16:17], -1
	s_and_saveexec_b64 s[20:21], s[18:19]
	s_xor_b64 s[18:19], exec, s[20:21]
	s_cbranch_execz .LBB74_68
; %bb.67:                               ;   in Loop: Header=BB74_2 Depth=1
	ds_read_u8 v65, v67 offset:1
.LBB74_68:                              ;   in Loop: Header=BB74_2 Depth=1
	s_or_saveexec_b64 s[18:19], s[18:19]
	v_mov_b32_e32 v66, v64
	s_xor_b64 exec, exec, s[18:19]
	s_cbranch_execz .LBB74_70
; %bb.69:                               ;   in Loop: Header=BB74_2 Depth=1
	ds_read_u8 v66, v68 offset:1
	s_waitcnt lgkmcnt(1)
	v_mov_b32_e32 v65, v63
.LBB74_70:                              ;   in Loop: Header=BB74_2 Depth=1
	s_or_b64 exec, exec, s[18:19]
	v_add_u32_e32 v70, 1, v67
	v_add_u32_e32 v69, 1, v68
	v_cndmask_b32_e64 v67, v70, v67, s[16:17]
	v_cndmask_b32_e64 v68, v68, v69, s[16:17]
	v_cmp_ge_i32_e64 s[20:21], v67, v39
	s_waitcnt lgkmcnt(0)
	v_cmp_lt_i16_sdwa s[30:31], sext(v66), sext(v65) src0_sel:BYTE_0 src1_sel:BYTE_0
	v_cmp_lt_i32_e64 s[18:19], v68, v40
	s_or_b64 s[20:21], s[20:21], s[30:31]
	s_and_b64 s[18:19], s[18:19], s[20:21]
	s_xor_b64 s[20:21], s[18:19], -1
                                        ; implicit-def: $vgpr69
	s_and_saveexec_b64 s[30:31], s[20:21]
	s_xor_b64 s[20:21], exec, s[30:31]
	s_cbranch_execz .LBB74_72
; %bb.71:                               ;   in Loop: Header=BB74_2 Depth=1
	ds_read_u8 v69, v67 offset:1
.LBB74_72:                              ;   in Loop: Header=BB74_2 Depth=1
	s_or_saveexec_b64 s[20:21], s[20:21]
	v_mov_b32_e32 v70, v66
	s_xor_b64 exec, exec, s[20:21]
	s_cbranch_execz .LBB74_74
; %bb.73:                               ;   in Loop: Header=BB74_2 Depth=1
	ds_read_u8 v70, v68 offset:1
	s_waitcnt lgkmcnt(1)
	v_mov_b32_e32 v69, v65
.LBB74_74:                              ;   in Loop: Header=BB74_2 Depth=1
	s_or_b64 exec, exec, s[20:21]
	v_add_u32_e32 v71, 1, v67
	v_cndmask_b32_e64 v65, v65, v66, s[18:19]
	v_add_u32_e32 v66, 1, v68
	v_cndmask_b32_e64 v67, v71, v67, s[18:19]
	v_cndmask_b32_e64 v66, v68, v66, s[18:19]
	v_cmp_ge_i32_e64 s[18:19], v67, v39
	s_waitcnt lgkmcnt(0)
	v_cmp_lt_i16_sdwa s[20:21], sext(v70), sext(v69) src0_sel:BYTE_0 src1_sel:BYTE_0
	v_cndmask_b32_e64 v63, v63, v64, s[16:17]
	v_cmp_lt_i32_e64 s[16:17], v66, v40
	s_or_b64 s[18:19], s[18:19], s[20:21]
	s_and_b64 s[16:17], s[16:17], s[18:19]
	v_cndmask_b32_e64 v64, v69, v70, s[16:17]
	s_barrier
	ds_write_b8 v2, v63
	ds_write_b8 v2, v65 offset:1
	ds_write_b8 v2, v64 offset:2
	v_mov_b32_e32 v63, v48
	s_waitcnt lgkmcnt(0)
	s_barrier
	s_and_saveexec_b64 s[18:19], s[10:11]
	s_cbranch_execz .LBB74_78
; %bb.75:                               ;   in Loop: Header=BB74_2 Depth=1
	s_mov_b64 s[20:21], 0
	v_mov_b32_e32 v63, v48
	v_mov_b32_e32 v64, v49
.LBB74_76:                              ;   Parent Loop BB74_2 Depth=1
                                        ; =>  This Inner Loop Header: Depth=2
	v_sub_u32_e32 v65, v64, v63
	v_lshrrev_b32_e32 v66, 31, v65
	v_add_u32_e32 v65, v65, v66
	v_ashrrev_i32_e32 v65, 1, v65
	v_add_u32_e32 v65, v65, v63
	v_not_b32_e32 v67, v65
	v_add_u32_e32 v66, v45, v65
	v_add3_u32 v67, v44, v67, v46
	ds_read_i8 v66, v66
	ds_read_i8 v67, v67
	v_add_u32_e32 v68, 1, v65
	s_waitcnt lgkmcnt(0)
	v_cmp_lt_i16_e64 s[16:17], v67, v66
	s_nop 1
	v_cndmask_b32_e64 v64, v64, v65, s[16:17]
	v_cndmask_b32_e64 v63, v68, v63, s[16:17]
	v_cmp_ge_i32_e64 s[16:17], v63, v64
	s_or_b64 s[20:21], s[16:17], s[20:21]
	s_andn2_b64 exec, exec, s[20:21]
	s_cbranch_execnz .LBB74_76
; %bb.77:                               ;   in Loop: Header=BB74_2 Depth=1
	s_or_b64 exec, exec, s[20:21]
.LBB74_78:                              ;   in Loop: Header=BB74_2 Depth=1
	s_or_b64 exec, exec, s[18:19]
	v_add_u32_e32 v67, v63, v45
	v_sub_u32_e32 v68, v50, v63
	ds_read_u8 v63, v67
	ds_read_u8 v64, v68
	v_cmp_le_i32_e64 s[18:19], v46, v67
	v_cmp_gt_i32_e64 s[16:17], v47, v68
                                        ; implicit-def: $vgpr65
	s_waitcnt lgkmcnt(1)
	v_bfe_i32 v63, v63, 0, 8
	s_waitcnt lgkmcnt(0)
	v_bfe_i32 v64, v64, 0, 8
	v_cmp_lt_i16_e64 s[20:21], v64, v63
	s_or_b64 s[18:19], s[18:19], s[20:21]
	s_and_b64 s[16:17], s[16:17], s[18:19]
	s_xor_b64 s[18:19], s[16:17], -1
	s_and_saveexec_b64 s[20:21], s[18:19]
	s_xor_b64 s[18:19], exec, s[20:21]
	s_cbranch_execz .LBB74_80
; %bb.79:                               ;   in Loop: Header=BB74_2 Depth=1
	ds_read_u8 v65, v67 offset:1
.LBB74_80:                              ;   in Loop: Header=BB74_2 Depth=1
	s_or_saveexec_b64 s[18:19], s[18:19]
	v_mov_b32_e32 v66, v64
	s_xor_b64 exec, exec, s[18:19]
	s_cbranch_execz .LBB74_82
; %bb.81:                               ;   in Loop: Header=BB74_2 Depth=1
	ds_read_u8 v66, v68 offset:1
	s_waitcnt lgkmcnt(1)
	v_mov_b32_e32 v65, v63
.LBB74_82:                              ;   in Loop: Header=BB74_2 Depth=1
	s_or_b64 exec, exec, s[18:19]
	v_add_u32_e32 v70, 1, v67
	v_add_u32_e32 v69, 1, v68
	v_cndmask_b32_e64 v67, v70, v67, s[16:17]
	v_cndmask_b32_e64 v68, v68, v69, s[16:17]
	v_cmp_ge_i32_e64 s[20:21], v67, v46
	s_waitcnt lgkmcnt(0)
	v_cmp_lt_i16_sdwa s[30:31], sext(v66), sext(v65) src0_sel:BYTE_0 src1_sel:BYTE_0
	v_cmp_lt_i32_e64 s[18:19], v68, v47
	s_or_b64 s[20:21], s[20:21], s[30:31]
	s_and_b64 s[18:19], s[18:19], s[20:21]
	s_xor_b64 s[20:21], s[18:19], -1
                                        ; implicit-def: $vgpr69
	s_and_saveexec_b64 s[30:31], s[20:21]
	s_xor_b64 s[20:21], exec, s[30:31]
	s_cbranch_execz .LBB74_84
; %bb.83:                               ;   in Loop: Header=BB74_2 Depth=1
	ds_read_u8 v69, v67 offset:1
.LBB74_84:                              ;   in Loop: Header=BB74_2 Depth=1
	s_or_saveexec_b64 s[20:21], s[20:21]
	v_mov_b32_e32 v70, v66
	s_xor_b64 exec, exec, s[20:21]
	s_cbranch_execz .LBB74_86
; %bb.85:                               ;   in Loop: Header=BB74_2 Depth=1
	ds_read_u8 v70, v68 offset:1
	s_waitcnt lgkmcnt(1)
	v_mov_b32_e32 v69, v65
.LBB74_86:                              ;   in Loop: Header=BB74_2 Depth=1
	s_or_b64 exec, exec, s[20:21]
	v_add_u32_e32 v71, 1, v67
	v_cndmask_b32_e64 v65, v65, v66, s[18:19]
	v_add_u32_e32 v66, 1, v68
	v_cndmask_b32_e64 v67, v71, v67, s[18:19]
	v_cndmask_b32_e64 v66, v68, v66, s[18:19]
	v_cmp_ge_i32_e64 s[18:19], v67, v46
	s_waitcnt lgkmcnt(0)
	v_cmp_lt_i16_sdwa s[20:21], sext(v70), sext(v69) src0_sel:BYTE_0 src1_sel:BYTE_0
	v_cndmask_b32_e64 v63, v63, v64, s[16:17]
	v_cmp_lt_i32_e64 s[16:17], v66, v47
	s_or_b64 s[18:19], s[18:19], s[20:21]
	s_and_b64 s[16:17], s[16:17], s[18:19]
	v_cndmask_b32_e64 v64, v69, v70, s[16:17]
	s_barrier
	ds_write_b8 v2, v63
	ds_write_b8 v2, v65 offset:1
	ds_write_b8 v2, v64 offset:2
	v_mov_b32_e32 v63, v56
	s_waitcnt lgkmcnt(0)
	s_barrier
	s_and_saveexec_b64 s[18:19], s[12:13]
	s_cbranch_execz .LBB74_90
; %bb.87:                               ;   in Loop: Header=BB74_2 Depth=1
	s_mov_b64 s[20:21], 0
	v_mov_b32_e32 v63, v56
	v_mov_b32_e32 v64, v57
.LBB74_88:                              ;   Parent Loop BB74_2 Depth=1
                                        ; =>  This Inner Loop Header: Depth=2
	v_sub_u32_e32 v65, v64, v63
	v_lshrrev_b32_e32 v66, 31, v65
	v_add_u32_e32 v65, v65, v66
	v_ashrrev_i32_e32 v65, 1, v65
	v_add_u32_e32 v65, v65, v63
	v_not_b32_e32 v67, v65
	v_add_u32_e32 v66, v52, v65
	v_add3_u32 v67, v51, v67, v53
	ds_read_i8 v66, v66
	ds_read_i8 v67, v67
	v_add_u32_e32 v68, 1, v65
	s_waitcnt lgkmcnt(0)
	v_cmp_lt_i16_e64 s[16:17], v67, v66
	s_nop 1
	v_cndmask_b32_e64 v64, v64, v65, s[16:17]
	v_cndmask_b32_e64 v63, v68, v63, s[16:17]
	v_cmp_ge_i32_e64 s[16:17], v63, v64
	s_or_b64 s[20:21], s[16:17], s[20:21]
	s_andn2_b64 exec, exec, s[20:21]
	s_cbranch_execnz .LBB74_88
; %bb.89:                               ;   in Loop: Header=BB74_2 Depth=1
	s_or_b64 exec, exec, s[20:21]
.LBB74_90:                              ;   in Loop: Header=BB74_2 Depth=1
	s_or_b64 exec, exec, s[18:19]
	v_add_u32_e32 v67, v63, v52
	v_sub_u32_e32 v68, v58, v63
	ds_read_u8 v63, v67
	ds_read_u8 v64, v68
	v_cmp_le_i32_e64 s[18:19], v53, v67
	v_cmp_gt_i32_e64 s[16:17], v55, v68
                                        ; implicit-def: $vgpr65
	s_waitcnt lgkmcnt(1)
	v_bfe_i32 v63, v63, 0, 8
	s_waitcnt lgkmcnt(0)
	v_bfe_i32 v64, v64, 0, 8
	v_cmp_lt_i16_e64 s[20:21], v64, v63
	s_or_b64 s[18:19], s[18:19], s[20:21]
	s_and_b64 s[16:17], s[16:17], s[18:19]
	s_xor_b64 s[18:19], s[16:17], -1
	s_and_saveexec_b64 s[20:21], s[18:19]
	s_xor_b64 s[18:19], exec, s[20:21]
	s_cbranch_execz .LBB74_92
; %bb.91:                               ;   in Loop: Header=BB74_2 Depth=1
	ds_read_u8 v65, v67 offset:1
.LBB74_92:                              ;   in Loop: Header=BB74_2 Depth=1
	s_or_saveexec_b64 s[18:19], s[18:19]
	v_mov_b32_e32 v66, v64
	s_xor_b64 exec, exec, s[18:19]
	s_cbranch_execz .LBB74_94
; %bb.93:                               ;   in Loop: Header=BB74_2 Depth=1
	ds_read_u8 v66, v68 offset:1
	s_waitcnt lgkmcnt(1)
	v_mov_b32_e32 v65, v63
.LBB74_94:                              ;   in Loop: Header=BB74_2 Depth=1
	s_or_b64 exec, exec, s[18:19]
	v_add_u32_e32 v70, 1, v67
	v_add_u32_e32 v69, 1, v68
	v_cndmask_b32_e64 v67, v70, v67, s[16:17]
	v_cndmask_b32_e64 v68, v68, v69, s[16:17]
	v_cmp_ge_i32_e64 s[20:21], v67, v53
	s_waitcnt lgkmcnt(0)
	v_cmp_lt_i16_sdwa s[30:31], sext(v66), sext(v65) src0_sel:BYTE_0 src1_sel:BYTE_0
	v_cmp_lt_i32_e64 s[18:19], v68, v55
	s_or_b64 s[20:21], s[20:21], s[30:31]
	s_and_b64 s[18:19], s[18:19], s[20:21]
	s_xor_b64 s[20:21], s[18:19], -1
                                        ; implicit-def: $vgpr69
	s_and_saveexec_b64 s[30:31], s[20:21]
	s_xor_b64 s[20:21], exec, s[30:31]
	s_cbranch_execz .LBB74_96
; %bb.95:                               ;   in Loop: Header=BB74_2 Depth=1
	ds_read_u8 v69, v67 offset:1
.LBB74_96:                              ;   in Loop: Header=BB74_2 Depth=1
	s_or_saveexec_b64 s[20:21], s[20:21]
	v_mov_b32_e32 v70, v66
	s_xor_b64 exec, exec, s[20:21]
	s_cbranch_execz .LBB74_98
; %bb.97:                               ;   in Loop: Header=BB74_2 Depth=1
	ds_read_u8 v70, v68 offset:1
	s_waitcnt lgkmcnt(1)
	v_mov_b32_e32 v69, v65
.LBB74_98:                              ;   in Loop: Header=BB74_2 Depth=1
	s_or_b64 exec, exec, s[20:21]
	v_add_u32_e32 v71, 1, v67
	v_cndmask_b32_e64 v65, v65, v66, s[18:19]
	v_add_u32_e32 v66, 1, v68
	v_cndmask_b32_e64 v67, v71, v67, s[18:19]
	v_cndmask_b32_e64 v66, v68, v66, s[18:19]
	v_cmp_ge_i32_e64 s[18:19], v67, v53
	s_waitcnt lgkmcnt(0)
	v_cmp_lt_i16_sdwa s[20:21], sext(v70), sext(v69) src0_sel:BYTE_0 src1_sel:BYTE_0
	v_cndmask_b32_e64 v63, v63, v64, s[16:17]
	v_cmp_lt_i32_e64 s[16:17], v66, v55
	s_or_b64 s[18:19], s[18:19], s[20:21]
	s_and_b64 s[16:17], s[16:17], s[18:19]
	v_cndmask_b32_e64 v64, v69, v70, s[16:17]
	s_barrier
	ds_write_b8 v2, v63
	ds_write_b8 v2, v65 offset:1
	ds_write_b8 v2, v64 offset:2
	v_mov_b32_e32 v65, v59
	s_waitcnt lgkmcnt(0)
	s_barrier
	s_and_saveexec_b64 s[18:19], s[14:15]
	s_cbranch_execz .LBB74_102
; %bb.99:                               ;   in Loop: Header=BB74_2 Depth=1
	s_mov_b64 s[20:21], 0
	v_mov_b32_e32 v65, v59
	v_mov_b32_e32 v63, v60
.LBB74_100:                             ;   Parent Loop BB74_2 Depth=1
                                        ; =>  This Inner Loop Header: Depth=2
	v_sub_u32_e32 v64, v63, v65
	v_lshrrev_b32_e32 v66, 31, v64
	v_add_u32_e32 v64, v64, v66
	v_ashrrev_i32_e32 v64, 1, v64
	v_add_u32_e32 v64, v64, v65
	v_not_b32_e32 v66, v64
	v_add3_u32 v66, v2, v66, v54
	ds_read_i8 v67, v64
	ds_read_i8 v66, v66
	v_add_u32_e32 v68, 1, v64
	s_waitcnt lgkmcnt(0)
	v_cmp_lt_i16_e64 s[16:17], v66, v67
	s_nop 1
	v_cndmask_b32_e64 v63, v63, v64, s[16:17]
	v_cndmask_b32_e64 v65, v68, v65, s[16:17]
	v_cmp_ge_i32_e64 s[16:17], v65, v63
	s_or_b64 s[20:21], s[16:17], s[20:21]
	s_andn2_b64 exec, exec, s[20:21]
	s_cbranch_execnz .LBB74_100
; %bb.101:                              ;   in Loop: Header=BB74_2 Depth=1
	s_or_b64 exec, exec, s[20:21]
.LBB74_102:                             ;   in Loop: Header=BB74_2 Depth=1
	s_or_b64 exec, exec, s[18:19]
	v_sub_u32_e32 v68, v62, v65
	ds_read_u8 v63, v65
	ds_read_u8 v64, v68
	v_cmp_le_i32_e64 s[18:19], v54, v65
	v_cmp_gt_i32_e64 s[16:17], s25, v68
                                        ; implicit-def: $vgpr66
	s_waitcnt lgkmcnt(1)
	v_bfe_i32 v63, v63, 0, 8
	s_waitcnt lgkmcnt(0)
	v_bfe_i32 v64, v64, 0, 8
	v_cmp_lt_i16_e64 s[20:21], v64, v63
	s_or_b64 s[18:19], s[18:19], s[20:21]
	s_and_b64 s[16:17], s[16:17], s[18:19]
	s_xor_b64 s[18:19], s[16:17], -1
	s_and_saveexec_b64 s[20:21], s[18:19]
	s_xor_b64 s[18:19], exec, s[20:21]
	s_cbranch_execz .LBB74_104
; %bb.103:                              ;   in Loop: Header=BB74_2 Depth=1
	ds_read_u8 v66, v65 offset:1
.LBB74_104:                             ;   in Loop: Header=BB74_2 Depth=1
	s_or_saveexec_b64 s[18:19], s[18:19]
	v_mov_b32_e32 v67, v64
	s_xor_b64 exec, exec, s[18:19]
	s_cbranch_execz .LBB74_106
; %bb.105:                              ;   in Loop: Header=BB74_2 Depth=1
	ds_read_u8 v67, v68 offset:1
	s_waitcnt lgkmcnt(1)
	v_mov_b32_e32 v66, v63
.LBB74_106:                             ;   in Loop: Header=BB74_2 Depth=1
	s_or_b64 exec, exec, s[18:19]
	v_add_u32_e32 v69, 1, v68
	v_add_u32_e32 v70, 1, v65
	v_cndmask_b32_e64 v68, v68, v69, s[16:17]
	v_cndmask_b32_e64 v69, v70, v65, s[16:17]
	v_cmp_ge_i32_e64 s[20:21], v69, v54
	s_waitcnt lgkmcnt(0)
	v_cmp_lt_i16_sdwa s[30:31], sext(v67), sext(v66) src0_sel:BYTE_0 src1_sel:BYTE_0
	v_cmp_gt_i32_e64 s[18:19], s25, v68
	s_or_b64 s[20:21], s[20:21], s[30:31]
	s_and_b64 s[18:19], s[18:19], s[20:21]
	s_xor_b64 s[20:21], s[18:19], -1
                                        ; implicit-def: $vgpr65
                                        ; implicit-def: $vgpr70
	s_and_saveexec_b64 s[30:31], s[20:21]
	s_xor_b64 s[20:21], exec, s[30:31]
	s_cbranch_execz .LBB74_108
; %bb.107:                              ;   in Loop: Header=BB74_2 Depth=1
	ds_read_u8 v65, v69 offset:1
	v_add_u32_e32 v70, 1, v69
                                        ; implicit-def: $vgpr69
.LBB74_108:                             ;   in Loop: Header=BB74_2 Depth=1
	s_or_saveexec_b64 s[20:21], s[20:21]
	v_mov_b32_e32 v71, v67
	s_xor_b64 exec, exec, s[20:21]
	s_cbranch_execz .LBB74_1
; %bb.109:                              ;   in Loop: Header=BB74_2 Depth=1
	ds_read_u8 v71, v68 offset:1
	v_add_u32_e32 v68, 1, v68
	v_mov_b32_e32 v70, v69
	s_waitcnt lgkmcnt(1)
	v_mov_b32_e32 v65, v66
	s_branch .LBB74_1
.LBB74_110:
	s_add_u32 s0, s22, s24
	s_addc_u32 s1, s23, 0
	v_lshl_add_u64 v[0:1], s[0:1], 0, v[0:1]
	global_store_byte v[0:1], v64, off
	global_store_byte v[0:1], v66, off offset:512
	global_store_byte v[0:1], v65, off offset:1024
	s_endpgm
	.section	.rodata,"a",@progbits
	.p2align	6, 0x0
	.amdhsa_kernel _Z16sort_keys_kernelIaLj512ELj3EN10test_utils4lessELj10EEvPKT_PS2_T2_
		.amdhsa_group_segment_fixed_size 1537
		.amdhsa_private_segment_fixed_size 0
		.amdhsa_kernarg_size 20
		.amdhsa_user_sgpr_count 2
		.amdhsa_user_sgpr_dispatch_ptr 0
		.amdhsa_user_sgpr_queue_ptr 0
		.amdhsa_user_sgpr_kernarg_segment_ptr 1
		.amdhsa_user_sgpr_dispatch_id 0
		.amdhsa_user_sgpr_kernarg_preload_length 0
		.amdhsa_user_sgpr_kernarg_preload_offset 0
		.amdhsa_user_sgpr_private_segment_size 0
		.amdhsa_uses_dynamic_stack 0
		.amdhsa_enable_private_segment 0
		.amdhsa_system_sgpr_workgroup_id_x 1
		.amdhsa_system_sgpr_workgroup_id_y 0
		.amdhsa_system_sgpr_workgroup_id_z 0
		.amdhsa_system_sgpr_workgroup_info 0
		.amdhsa_system_vgpr_workitem_id 0
		.amdhsa_next_free_vgpr 72
		.amdhsa_next_free_sgpr 32
		.amdhsa_accum_offset 72
		.amdhsa_reserve_vcc 1
		.amdhsa_float_round_mode_32 0
		.amdhsa_float_round_mode_16_64 0
		.amdhsa_float_denorm_mode_32 3
		.amdhsa_float_denorm_mode_16_64 3
		.amdhsa_dx10_clamp 1
		.amdhsa_ieee_mode 1
		.amdhsa_fp16_overflow 0
		.amdhsa_tg_split 0
		.amdhsa_exception_fp_ieee_invalid_op 0
		.amdhsa_exception_fp_denorm_src 0
		.amdhsa_exception_fp_ieee_div_zero 0
		.amdhsa_exception_fp_ieee_overflow 0
		.amdhsa_exception_fp_ieee_underflow 0
		.amdhsa_exception_fp_ieee_inexact 0
		.amdhsa_exception_int_div_zero 0
	.end_amdhsa_kernel
	.section	.text._Z16sort_keys_kernelIaLj512ELj3EN10test_utils4lessELj10EEvPKT_PS2_T2_,"axG",@progbits,_Z16sort_keys_kernelIaLj512ELj3EN10test_utils4lessELj10EEvPKT_PS2_T2_,comdat
.Lfunc_end74:
	.size	_Z16sort_keys_kernelIaLj512ELj3EN10test_utils4lessELj10EEvPKT_PS2_T2_, .Lfunc_end74-_Z16sort_keys_kernelIaLj512ELj3EN10test_utils4lessELj10EEvPKT_PS2_T2_
                                        ; -- End function
	.section	.AMDGPU.csdata,"",@progbits
; Kernel info:
; codeLenInByte = 5860
; NumSgprs: 38
; NumVgprs: 72
; NumAgprs: 0
; TotalNumVgprs: 72
; ScratchSize: 0
; MemoryBound: 0
; FloatMode: 240
; IeeeMode: 1
; LDSByteSize: 1537 bytes/workgroup (compile time only)
; SGPRBlocks: 4
; VGPRBlocks: 8
; NumSGPRsForWavesPerEU: 38
; NumVGPRsForWavesPerEU: 72
; AccumOffset: 72
; Occupancy: 7
; WaveLimiterHint : 1
; COMPUTE_PGM_RSRC2:SCRATCH_EN: 0
; COMPUTE_PGM_RSRC2:USER_SGPR: 2
; COMPUTE_PGM_RSRC2:TRAP_HANDLER: 0
; COMPUTE_PGM_RSRC2:TGID_X_EN: 1
; COMPUTE_PGM_RSRC2:TGID_Y_EN: 0
; COMPUTE_PGM_RSRC2:TGID_Z_EN: 0
; COMPUTE_PGM_RSRC2:TIDIG_COMP_CNT: 0
; COMPUTE_PGM_RSRC3_GFX90A:ACCUM_OFFSET: 17
; COMPUTE_PGM_RSRC3_GFX90A:TG_SPLIT: 0
	.section	.text._Z17sort_pairs_kernelIaLj512ELj3EN10test_utils4lessELj10EEvPKT_PS2_T2_,"axG",@progbits,_Z17sort_pairs_kernelIaLj512ELj3EN10test_utils4lessELj10EEvPKT_PS2_T2_,comdat
	.protected	_Z17sort_pairs_kernelIaLj512ELj3EN10test_utils4lessELj10EEvPKT_PS2_T2_ ; -- Begin function _Z17sort_pairs_kernelIaLj512ELj3EN10test_utils4lessELj10EEvPKT_PS2_T2_
	.globl	_Z17sort_pairs_kernelIaLj512ELj3EN10test_utils4lessELj10EEvPKT_PS2_T2_
	.p2align	8
	.type	_Z17sort_pairs_kernelIaLj512ELj3EN10test_utils4lessELj10EEvPKT_PS2_T2_,@function
_Z17sort_pairs_kernelIaLj512ELj3EN10test_utils4lessELj10EEvPKT_PS2_T2_: ; @_Z17sort_pairs_kernelIaLj512ELj3EN10test_utils4lessELj10EEvPKT_PS2_T2_
; %bb.0:
	s_load_dwordx4 s[28:31], s[0:1], 0x0
	s_mul_i32 s33, s2, 0x600
	v_and_b32_e32 v3, 0x1fe, v0
	v_and_b32_e32 v5, 0x1fc, v0
	;; [unrolled: 1-line block ×3, first 2 shown]
	s_waitcnt lgkmcnt(0)
	s_add_u32 s0, s28, s33
	s_addc_u32 s1, s29, 0
	global_load_ubyte v29, v0, s[0:1] offset:512
	global_load_ubyte v30, v0, s[0:1] offset:1024
	global_load_ubyte v31, v0, s[0:1]
	v_and_b32_e32 v7, 0x1f0, v0
	v_mul_u32_u24_e32 v8, 3, v3
	v_and_b32_e32 v4, 1, v0
	v_mul_u32_u24_e32 v9, 3, v5
	v_mul_u32_u24_e32 v10, 3, v6
	;; [unrolled: 1-line block ×3, first 2 shown]
	v_min_u32_e32 v12, 0x5fd, v8
	v_min_u32_e32 v13, 0x5fa, v8
	v_cmp_eq_u32_e32 vcc, 1, v4
	v_min_u32_e32 v7, 0x600, v8
	v_min_u32_e32 v8, 0x600, v9
	v_min_u32_e32 v14, 0x5fa, v9
	v_min_u32_e32 v15, 0x5f4, v9
	v_min_u32_e32 v9, 0x600, v10
	v_min_u32_e32 v16, 0x5f4, v10
	v_min_u32_e32 v17, 0x5e8, v10
	v_min_u32_e32 v10, 0x600, v11
	v_min_u32_e32 v18, 0x5e8, v11
	v_min_u32_e32 v21, 0x5d0, v11
	v_add_u32_e32 v11, 3, v12
	v_add_u32_e32 v12, 6, v13
	v_and_b32_e32 v19, 3, v0
	v_cndmask_b32_e64 v3, 0, 3, vcc
	v_add_u32_e32 v13, 6, v14
	v_add_u32_e32 v14, 12, v15
	v_sub_u32_e32 v25, v12, v11
	v_mul_u32_u24_e32 v4, 3, v19
	v_sub_u32_e32 v26, v14, v13
	v_sub_u32_e32 v33, v3, v25
	v_cmp_ge_i32_e32 vcc, v3, v25
	v_sub_u32_e32 v34, v4, v26
	v_and_b32_e32 v20, 7, v0
	v_cndmask_b32_e32 v25, 0, v33, vcc
	v_cmp_ge_i32_e32 vcc, v4, v26
	v_add_u32_e32 v15, 12, v16
	v_add_u32_e32 v16, 24, v17
	v_cndmask_b32_e32 v26, 0, v34, vcc
	v_and_b32_e32 v32, 15, v0
	v_mul_u32_u24_e32 v5, 3, v20
	v_add_u32_e32 v17, 24, v18
	v_add_u32_e32 v18, 48, v21
	v_sub_u32_e32 v27, v16, v15
	v_mul_u32_u24_e32 v6, 3, v32
	v_sub_u32_e32 v28, v18, v17
	v_sub_u32_e32 v35, v5, v27
	v_cmp_ge_i32_e32 vcc, v5, v27
	v_sub_u32_e32 v36, v6, v28
	v_and_b32_e32 v43, 63, v0
	v_cndmask_b32_e32 v27, 0, v35, vcc
	v_cmp_ge_i32_e32 vcc, v6, v28
	v_and_b32_e32 v50, 0x7f, v0
	v_and_b32_e32 v57, 0xff, v0
	v_cndmask_b32_e32 v28, 0, v36, vcc
	v_and_b32_e32 v36, 31, v0
	v_mul_u32_u24_e32 v2, 3, v0
	v_sub_u32_e32 v21, v11, v7
	v_sub_u32_e32 v22, v13, v8
	;; [unrolled: 1-line block ×4, first 2 shown]
	v_min_i32_e32 v21, v3, v21
	v_min_i32_e32 v22, v4, v22
	;; [unrolled: 1-line block ×5, first 2 shown]
	s_movk_i32 s28, 0x600
	s_mov_b32 s29, 0
	v_mov_b32_e32 v1, 0
	v_mad_u32_u24 v19, v19, 3, v13
	v_mad_u32_u24 v20, v20, 3, v15
	v_cmp_lt_i32_e32 vcc, v25, v21
	v_cmp_lt_i32_e64 s[0:1], v26, v22
	v_cmp_lt_i32_e64 s[2:3], v27, v23
	;; [unrolled: 1-line block ×3, first 2 shown]
	s_mov_b32 s34, 0x7060405
	s_mov_b32 s35, 0x7000604
	;; [unrolled: 1-line block ×4, first 2 shown]
	s_waitcnt vmcnt(2)
	v_lshlrev_b16_e32 v29, 8, v29
	s_waitcnt vmcnt(1)
	v_lshlrev_b32_e32 v33, 16, v30
	s_waitcnt vmcnt(0)
	v_add_u16_e32 v34, 1, v31
	v_add_u16_e32 v30, 1, v30
	v_or_b32_e32 v31, v31, v29
	v_or_b32_sdwa v29, v29, v34 dst_sel:DWORD dst_unused:UNUSED_PAD src0_sel:DWORD src1_sel:BYTE_0
	v_and_b32_e32 v30, 0xff, v30
	v_add_u16_e32 v29, 0x100, v29
	v_lshlrev_b32_e32 v30, 16, v30
	v_or_b32_e32 v63, v29, v30
	v_and_b32_e32 v30, 0x1e0, v0
	v_or_b32_sdwa v64, v31, v33 dst_sel:DWORD dst_unused:UNUSED_PAD src0_sel:WORD_0 src1_sel:DWORD
	v_mul_u32_u24_e32 v33, 3, v30
	v_mad_u32_u24 v29, v32, 3, v17
	v_min_u32_e32 v31, 0x600, v33
	v_min_u32_e32 v32, 0x5d0, v33
	v_min_u32_e32 v33, 0x5a0, v33
	v_add_u32_e32 v32, 48, v32
	v_add_u32_e32 v33, 0x60, v33
	v_mul_u32_u24_e32 v30, 3, v36
	v_sub_u32_e32 v34, v33, v32
	v_sub_u32_e32 v37, v30, v34
	v_cmp_ge_i32_e64 s[6:7], v30, v34
	v_sub_u32_e32 v35, v32, v31
	v_min_i32_e32 v35, v30, v35
	v_cndmask_b32_e64 v34, 0, v37, s[6:7]
	v_and_b32_e32 v37, 0x1c0, v0
	v_mul_u32_u24_e32 v40, 3, v37
	v_min_u32_e32 v38, 0x600, v40
	v_min_u32_e32 v39, 0x5a0, v40
	v_min_u32_e32 v40, 0x540, v40
	v_add_u32_e32 v39, 0x60, v39
	v_add_u32_e32 v40, 0xc0, v40
	v_mul_u32_u24_e32 v37, 3, v43
	v_sub_u32_e32 v41, v40, v39
	v_sub_u32_e32 v44, v37, v41
	v_cmp_ge_i32_e64 s[8:9], v37, v41
	v_sub_u32_e32 v42, v39, v38
	v_min_i32_e32 v42, v37, v42
	v_cndmask_b32_e64 v41, 0, v44, s[8:9]
	v_and_b32_e32 v44, 0x180, v0
	v_mul_u32_u24_e32 v47, 3, v44
	v_min_u32_e32 v45, 0x600, v47
	v_min_u32_e32 v46, 0x540, v47
	v_min_u32_e32 v47, 0x480, v47
	v_add_u32_e32 v46, 0xc0, v46
	v_add_u32_e32 v47, 0x180, v47
	v_mul_u32_u24_e32 v44, 3, v50
	v_sub_u32_e32 v48, v47, v46
	v_sub_u32_e32 v51, v44, v48
	v_cmp_ge_i32_e64 s[10:11], v44, v48
	v_sub_u32_e32 v49, v46, v45
	v_min_i32_e32 v49, v44, v49
	v_cndmask_b32_e64 v48, 0, v51, s[10:11]
	v_and_b32_e32 v51, 0x100, v0
	v_mul_u32_u24_e32 v54, 3, v51
	v_min_u32_e32 v52, 0x600, v54
	v_min_u32_e32 v53, 0x480, v54
	;; [unrolled: 1-line block ×3, first 2 shown]
	v_add_u32_e32 v53, 0x180, v53
	v_add_u32_e32 v54, 0x300, v54
	v_mul_u32_u24_e32 v51, 3, v57
	v_sub_u32_e32 v55, v54, v53
	v_sub_u32_e32 v56, v51, v55
	;; [unrolled: 1-line block ×3, first 2 shown]
	v_cmp_ge_i32_e64 s[12:13], v51, v55
	v_cmp_lt_i32_e64 s[6:7], v34, v35
	v_mad_u32_u24 v36, v36, 3, v32
	v_cndmask_b32_e64 v55, 0, v56, s[12:13]
	v_min_i32_e32 v56, v51, v58
	v_mov_b32_e32 v58, 0x300
	v_sub_u32_e64 v59, v2, v58 clamp
	v_cmp_lt_i32_e64 s[8:9], v41, v42
	v_mad_u32_u24 v43, v43, 3, v39
	v_cmp_lt_i32_e64 s[10:11], v48, v49
	v_mad_u32_u24 v50, v50, 3, v46
	;; [unrolled: 2-line block ×3, first 2 shown]
	v_cmp_lt_i32_e64 s[14:15], v59, v60
	v_add_u32_e32 v61, v11, v3
	v_mad_u32_u24 v62, v0, 3, v58
	s_branch .LBB75_2
.LBB75_1:                               ;   in Loop: Header=BB75_2 Depth=1
	s_or_b64 exec, exec, s[20:21]
	v_cndmask_b32_e64 v68, v68, v69, s[16:17]
	v_cndmask_b32_e64 v69, v70, v71, s[18:19]
	v_cmp_ge_i32_e64 s[18:19], v73, v58
	s_waitcnt lgkmcnt(0)
	v_cmp_lt_i16_sdwa s[20:21], sext(v77), sext(v74) src0_sel:BYTE_0 src1_sel:BYTE_0
	v_cndmask_b32_e64 v67, v66, v67, s[16:17]
	v_cmp_gt_i32_e64 s[16:17], s28, v72
	s_or_b64 s[18:19], s[18:19], s[20:21]
	s_and_b64 s[16:17], s[16:17], s[18:19]
	v_lshlrev_b16_e32 v70, 8, v69
	v_or_b32_sdwa v71, v68, v70 dst_sel:DWORD dst_unused:UNUSED_PAD src0_sel:BYTE_0 src1_sel:DWORD
	v_cndmask_b32_e64 v72, v73, v72, s[16:17]
	s_barrier
	ds_write_b8 v2, v64
	ds_write_b8 v2, v65 offset:1
	ds_write_b8 v2, v63 offset:2
	s_waitcnt lgkmcnt(0)
	s_barrier
	ds_read_u8 v65, v76
	ds_read_u8 v70, v67
	;; [unrolled: 1-line block ×3, first 2 shown]
	v_cndmask_b32_e64 v66, v74, v77, s[16:17]
	v_and_b32_e32 v74, 0xff, v66
	v_lshlrev_b32_e32 v63, 16, v74
	v_or_b32_sdwa v64, v71, v63 dst_sel:DWORD dst_unused:UNUSED_PAD src0_sel:WORD_0 src1_sel:DWORD
	s_waitcnt lgkmcnt(2)
	v_lshlrev_b16_e32 v63, 8, v65
	s_waitcnt lgkmcnt(1)
	v_or_b32_e32 v63, v70, v63
	s_waitcnt lgkmcnt(0)
	v_lshlrev_b32_e32 v71, 16, v67
	s_add_i32 s29, s29, 1
	s_cmp_eq_u32 s29, 10
	v_or_b32_sdwa v63, v63, v71 dst_sel:DWORD dst_unused:UNUSED_PAD src0_sel:WORD_0 src1_sel:DWORD
	s_cbranch_scc1 .LBB75_110
.LBB75_2:                               ; =>This Loop Header: Depth=1
                                        ;     Child Loop BB75_4 Depth 2
                                        ;     Child Loop BB75_16 Depth 2
	;; [unrolled: 1-line block ×9, first 2 shown]
	v_lshrrev_b32_e32 v66, 8, v64
	v_perm_b32 v65, v64, v64, s34
	v_cmp_lt_i16_sdwa s[18:19], sext(v66), sext(v64) src0_sel:BYTE_0 src1_sel:BYTE_0
	s_barrier
	s_nop 0
	v_cndmask_b32_e64 v65, v64, v65, s[18:19]
	v_lshrrev_b32_e32 v67, 16, v65
	v_max_i16_sdwa v64, sext(v66), sext(v64) dst_sel:DWORD dst_unused:UNUSED_PAD src0_sel:BYTE_0 src1_sel:BYTE_0
	v_perm_b32 v66, v65, v64, s35
	v_cmp_lt_i16_sdwa s[16:17], sext(v67), v64 src0_sel:BYTE_0 src1_sel:DWORD
	v_min_i16_sdwa v64, sext(v67), v64 dst_sel:DWORD dst_unused:UNUSED_PAD src0_sel:BYTE_0 src1_sel:DWORD
	s_nop 0
	v_cndmask_b32_e64 v65, v65, v66, s[16:17]
	v_lshlrev_b16_e32 v66, 8, v65
	v_or_b32_sdwa v66, v64, v66 dst_sel:DWORD dst_unused:UNUSED_PAD src0_sel:BYTE_0 src1_sel:DWORD
	v_and_b32_e32 v66, 0xffff, v66
	v_and_or_b32 v66, v65, s36, v66
	v_cmp_lt_i16_sdwa s[20:21], v64, sext(v65) src0_sel:DWORD src1_sel:BYTE_0
	s_nop 1
	v_cndmask_b32_e64 v64, v65, v66, s[20:21]
	v_lshrrev_b32_e32 v65, 8, v64
	ds_write_b8 v2, v64
	ds_write_b8 v2, v65 offset:1
	ds_write_b8_d16_hi v2, v64 offset:2
	v_mov_b32_e32 v65, v25
	s_waitcnt lgkmcnt(0)
	s_barrier
	s_and_saveexec_b64 s[24:25], vcc
	s_cbranch_execz .LBB75_6
; %bb.3:                                ;   in Loop: Header=BB75_2 Depth=1
	s_mov_b64 s[26:27], 0
	v_mov_b32_e32 v65, v25
	v_mov_b32_e32 v64, v21
.LBB75_4:                               ;   Parent Loop BB75_2 Depth=1
                                        ; =>  This Inner Loop Header: Depth=2
	v_sub_u32_e32 v66, v64, v65
	v_lshrrev_b32_e32 v67, 31, v66
	v_add_u32_e32 v66, v66, v67
	v_ashrrev_i32_e32 v66, 1, v66
	v_add_u32_e32 v66, v66, v65
	v_not_b32_e32 v68, v66
	v_add_u32_e32 v67, v7, v66
	v_add3_u32 v68, v3, v68, v11
	ds_read_i8 v67, v67
	ds_read_i8 v68, v68
	v_add_u32_e32 v69, 1, v66
	s_waitcnt lgkmcnt(0)
	v_cmp_lt_i16_e64 s[22:23], v68, v67
	s_nop 1
	v_cndmask_b32_e64 v64, v64, v66, s[22:23]
	v_cndmask_b32_e64 v65, v69, v65, s[22:23]
	v_cmp_ge_i32_e64 s[22:23], v65, v64
	s_or_b64 s[26:27], s[22:23], s[26:27]
	s_andn2_b64 exec, exec, s[26:27]
	s_cbranch_execnz .LBB75_4
; %bb.5:                                ;   in Loop: Header=BB75_2 Depth=1
	s_or_b64 exec, exec, s[26:27]
.LBB75_6:                               ;   in Loop: Header=BB75_2 Depth=1
	s_or_b64 exec, exec, s[24:25]
	v_add_u32_e32 v64, v65, v7
	v_sub_u32_e32 v65, v61, v65
	ds_read_u8 v66, v64
	ds_read_u8 v67, v65
	v_cmp_le_i32_e64 s[24:25], v11, v64
	v_cmp_gt_i32_e64 s[22:23], v12, v65
                                        ; implicit-def: $vgpr68
	s_waitcnt lgkmcnt(1)
	v_bfe_i32 v66, v66, 0, 8
	s_waitcnt lgkmcnt(0)
	v_bfe_i32 v67, v67, 0, 8
	v_cmp_lt_i16_e64 s[26:27], v67, v66
	s_or_b64 s[24:25], s[24:25], s[26:27]
	s_and_b64 s[22:23], s[22:23], s[24:25]
	s_xor_b64 s[24:25], s[22:23], -1
	s_and_saveexec_b64 s[26:27], s[24:25]
	s_xor_b64 s[24:25], exec, s[26:27]
	s_cbranch_execz .LBB75_8
; %bb.7:                                ;   in Loop: Header=BB75_2 Depth=1
	ds_read_u8 v68, v64 offset:1
.LBB75_8:                               ;   in Loop: Header=BB75_2 Depth=1
	s_or_saveexec_b64 s[24:25], s[24:25]
	v_mov_b32_e32 v69, v67
	s_xor_b64 exec, exec, s[24:25]
	s_cbranch_execz .LBB75_10
; %bb.9:                                ;   in Loop: Header=BB75_2 Depth=1
	ds_read_u8 v69, v65 offset:1
	s_waitcnt lgkmcnt(1)
	v_mov_b32_e32 v68, v66
.LBB75_10:                              ;   in Loop: Header=BB75_2 Depth=1
	s_or_b64 exec, exec, s[24:25]
	v_add_u32_e32 v72, 1, v64
	v_add_u32_e32 v70, 1, v65
	v_cndmask_b32_e64 v72, v72, v64, s[22:23]
	v_cndmask_b32_e64 v71, v65, v70, s[22:23]
	v_cmp_ge_i32_e64 s[26:27], v72, v11
	s_waitcnt lgkmcnt(0)
	v_cmp_lt_i16_sdwa s[38:39], sext(v69), sext(v68) src0_sel:BYTE_0 src1_sel:BYTE_0
	v_cmp_lt_i32_e64 s[24:25], v71, v12
	s_or_b64 s[26:27], s[26:27], s[38:39]
	s_and_b64 s[24:25], s[24:25], s[26:27]
	s_xor_b64 s[26:27], s[24:25], -1
                                        ; implicit-def: $vgpr70
	s_and_saveexec_b64 s[38:39], s[26:27]
	s_xor_b64 s[26:27], exec, s[38:39]
	s_cbranch_execz .LBB75_12
; %bb.11:                               ;   in Loop: Header=BB75_2 Depth=1
	ds_read_u8 v70, v72 offset:1
.LBB75_12:                              ;   in Loop: Header=BB75_2 Depth=1
	s_or_saveexec_b64 s[26:27], s[26:27]
	v_mov_b32_e32 v73, v69
	s_xor_b64 exec, exec, s[26:27]
	s_cbranch_execz .LBB75_14
; %bb.13:                               ;   in Loop: Header=BB75_2 Depth=1
	ds_read_u8 v73, v71 offset:1
	s_waitcnt lgkmcnt(1)
	v_mov_b32_e32 v70, v68
.LBB75_14:                              ;   in Loop: Header=BB75_2 Depth=1
	s_or_b64 exec, exec, s[26:27]
	v_perm_b32 v74, v63, v63, s34
	v_cndmask_b32_e64 v63, v63, v74, s[18:19]
	v_cndmask_b32_e64 v64, v64, v65, s[22:23]
	v_lshrrev_b32_e32 v65, 16, v63
	v_cndmask_b32_e64 v66, v66, v67, s[22:23]
	v_lshlrev_b16_e32 v65, 8, v65
	v_lshrrev_b16_e32 v67, 8, v63
	v_or_b32_sdwa v65, v63, v65 dst_sel:DWORD dst_unused:UNUSED_PAD src0_sel:BYTE_0 src1_sel:DWORD
	v_lshlrev_b32_e32 v67, 16, v67
	v_or_b32_sdwa v65, v65, v67 dst_sel:DWORD dst_unused:UNUSED_PAD src0_sel:WORD_0 src1_sel:DWORD
	v_cndmask_b32_e64 v63, v63, v65, s[16:17]
	v_add_u32_e32 v75, 1, v72
	v_perm_b32 v65, 0, v63, s37
	v_cndmask_b32_e64 v68, v68, v69, s[24:25]
	v_add_u32_e32 v69, 1, v71
	v_cndmask_b32_e64 v75, v75, v72, s[24:25]
	v_and_or_b32 v65, v63, s36, v65
	v_cndmask_b32_e64 v69, v71, v69, s[24:25]
	v_cndmask_b32_e64 v63, v63, v65, s[20:21]
	v_cmp_ge_i32_e64 s[18:19], v75, v11
	s_waitcnt lgkmcnt(0)
	v_cmp_lt_i16_sdwa s[20:21], sext(v73), sext(v70) src0_sel:BYTE_0 src1_sel:BYTE_0
	v_cmp_lt_i32_e64 s[16:17], v69, v12
	s_or_b64 s[18:19], s[18:19], s[20:21]
	s_and_b64 s[16:17], s[16:17], s[18:19]
	v_cndmask_b32_e64 v65, v75, v69, s[16:17]
	v_lshrrev_b32_e32 v69, 8, v63
	v_cndmask_b32_e64 v71, v72, v71, s[24:25]
	s_barrier
	ds_write_b8 v2, v63
	ds_write_b8 v2, v69 offset:1
	ds_write_b8_d16_hi v2, v63 offset:2
	s_waitcnt lgkmcnt(0)
	s_barrier
	ds_read_u8 v63, v65
	ds_read_u8 v64, v64
	;; [unrolled: 1-line block ×3, first 2 shown]
	v_cndmask_b32_e64 v67, v70, v73, s[16:17]
	s_waitcnt lgkmcnt(0)
	s_barrier
	ds_write_b8 v2, v66
	ds_write_b8 v2, v68 offset:1
	ds_write_b8 v2, v67 offset:2
	v_mov_b32_e32 v67, v26
	s_waitcnt lgkmcnt(0)
	s_barrier
	s_and_saveexec_b64 s[18:19], s[0:1]
	s_cbranch_execz .LBB75_18
; %bb.15:                               ;   in Loop: Header=BB75_2 Depth=1
	s_mov_b64 s[20:21], 0
	v_mov_b32_e32 v67, v26
	v_mov_b32_e32 v66, v22
.LBB75_16:                              ;   Parent Loop BB75_2 Depth=1
                                        ; =>  This Inner Loop Header: Depth=2
	v_sub_u32_e32 v68, v66, v67
	v_lshrrev_b32_e32 v69, 31, v68
	v_add_u32_e32 v68, v68, v69
	v_ashrrev_i32_e32 v68, 1, v68
	v_add_u32_e32 v68, v68, v67
	v_not_b32_e32 v70, v68
	v_add_u32_e32 v69, v8, v68
	v_add3_u32 v70, v4, v70, v13
	ds_read_i8 v69, v69
	ds_read_i8 v70, v70
	v_add_u32_e32 v71, 1, v68
	s_waitcnt lgkmcnt(0)
	v_cmp_lt_i16_e64 s[16:17], v70, v69
	s_nop 1
	v_cndmask_b32_e64 v66, v66, v68, s[16:17]
	v_cndmask_b32_e64 v67, v71, v67, s[16:17]
	v_cmp_ge_i32_e64 s[16:17], v67, v66
	s_or_b64 s[20:21], s[16:17], s[20:21]
	s_andn2_b64 exec, exec, s[20:21]
	s_cbranch_execnz .LBB75_16
; %bb.17:                               ;   in Loop: Header=BB75_2 Depth=1
	s_or_b64 exec, exec, s[20:21]
.LBB75_18:                              ;   in Loop: Header=BB75_2 Depth=1
	s_or_b64 exec, exec, s[18:19]
	v_add_u32_e32 v66, v67, v8
	v_sub_u32_e32 v67, v19, v67
	ds_read_u8 v68, v66
	ds_read_u8 v69, v67
	v_cmp_le_i32_e64 s[18:19], v13, v66
	v_cmp_gt_i32_e64 s[16:17], v14, v67
                                        ; implicit-def: $vgpr70
	s_waitcnt lgkmcnt(1)
	v_bfe_i32 v68, v68, 0, 8
	s_waitcnt lgkmcnt(0)
	v_bfe_i32 v69, v69, 0, 8
	v_cmp_lt_i16_e64 s[20:21], v69, v68
	s_or_b64 s[18:19], s[18:19], s[20:21]
	s_and_b64 s[16:17], s[16:17], s[18:19]
	s_xor_b64 s[18:19], s[16:17], -1
	s_and_saveexec_b64 s[20:21], s[18:19]
	s_xor_b64 s[18:19], exec, s[20:21]
	s_cbranch_execz .LBB75_20
; %bb.19:                               ;   in Loop: Header=BB75_2 Depth=1
	ds_read_u8 v70, v66 offset:1
.LBB75_20:                              ;   in Loop: Header=BB75_2 Depth=1
	s_or_saveexec_b64 s[18:19], s[18:19]
	v_mov_b32_e32 v71, v69
	s_xor_b64 exec, exec, s[18:19]
	s_cbranch_execz .LBB75_22
; %bb.21:                               ;   in Loop: Header=BB75_2 Depth=1
	ds_read_u8 v71, v67 offset:1
	s_waitcnt lgkmcnt(1)
	v_mov_b32_e32 v70, v68
.LBB75_22:                              ;   in Loop: Header=BB75_2 Depth=1
	s_or_b64 exec, exec, s[18:19]
	v_add_u32_e32 v73, 1, v66
	v_add_u32_e32 v72, 1, v67
	v_cndmask_b32_e64 v73, v73, v66, s[16:17]
	v_cndmask_b32_e64 v72, v67, v72, s[16:17]
	v_cmp_ge_i32_e64 s[20:21], v73, v13
	s_waitcnt lgkmcnt(0)
	v_cmp_lt_i16_sdwa s[22:23], sext(v71), sext(v70) src0_sel:BYTE_0 src1_sel:BYTE_0
	v_cmp_lt_i32_e64 s[18:19], v72, v14
	s_or_b64 s[20:21], s[20:21], s[22:23]
	s_and_b64 s[18:19], s[18:19], s[20:21]
	s_xor_b64 s[20:21], s[18:19], -1
                                        ; implicit-def: $vgpr74
	s_and_saveexec_b64 s[22:23], s[20:21]
	s_xor_b64 s[20:21], exec, s[22:23]
	s_cbranch_execz .LBB75_24
; %bb.23:                               ;   in Loop: Header=BB75_2 Depth=1
	ds_read_u8 v74, v73 offset:1
.LBB75_24:                              ;   in Loop: Header=BB75_2 Depth=1
	s_or_saveexec_b64 s[20:21], s[20:21]
	v_mov_b32_e32 v75, v71
	s_xor_b64 exec, exec, s[20:21]
	s_cbranch_execz .LBB75_26
; %bb.25:                               ;   in Loop: Header=BB75_2 Depth=1
	ds_read_u8 v75, v72 offset:1
	s_waitcnt lgkmcnt(1)
	v_mov_b32_e32 v74, v70
.LBB75_26:                              ;   in Loop: Header=BB75_2 Depth=1
	s_or_b64 exec, exec, s[20:21]
	v_add_u32_e32 v76, 1, v73
	v_cndmask_b32_e64 v70, v70, v71, s[18:19]
	v_add_u32_e32 v71, 1, v72
	v_cndmask_b32_e64 v76, v76, v73, s[18:19]
	v_cndmask_b32_e64 v71, v72, v71, s[18:19]
	;; [unrolled: 1-line block ×3, first 2 shown]
	v_cmp_ge_i32_e64 s[18:19], v76, v13
	s_waitcnt lgkmcnt(0)
	v_cmp_lt_i16_sdwa s[20:21], sext(v75), sext(v74) src0_sel:BYTE_0 src1_sel:BYTE_0
	v_cndmask_b32_e64 v68, v68, v69, s[16:17]
	v_cndmask_b32_e64 v66, v66, v67, s[16:17]
	v_cmp_lt_i32_e64 s[16:17], v71, v14
	s_or_b64 s[18:19], s[18:19], s[20:21]
	s_and_b64 s[16:17], s[16:17], s[18:19]
	v_cndmask_b32_e64 v69, v76, v71, s[16:17]
	s_barrier
	ds_write_b8 v2, v64
	ds_write_b8 v2, v65 offset:1
	ds_write_b8 v2, v63 offset:2
	s_waitcnt lgkmcnt(0)
	s_barrier
	ds_read_u8 v63, v69
	ds_read_u8 v64, v66
	;; [unrolled: 1-line block ×3, first 2 shown]
	v_cndmask_b32_e64 v67, v74, v75, s[16:17]
	s_waitcnt lgkmcnt(0)
	s_barrier
	ds_write_b8 v2, v68
	ds_write_b8 v2, v70 offset:1
	ds_write_b8 v2, v67 offset:2
	v_mov_b32_e32 v67, v27
	s_waitcnt lgkmcnt(0)
	s_barrier
	s_and_saveexec_b64 s[18:19], s[2:3]
	s_cbranch_execz .LBB75_30
; %bb.27:                               ;   in Loop: Header=BB75_2 Depth=1
	s_mov_b64 s[20:21], 0
	v_mov_b32_e32 v67, v27
	v_mov_b32_e32 v66, v23
.LBB75_28:                              ;   Parent Loop BB75_2 Depth=1
                                        ; =>  This Inner Loop Header: Depth=2
	v_sub_u32_e32 v68, v66, v67
	v_lshrrev_b32_e32 v69, 31, v68
	v_add_u32_e32 v68, v68, v69
	v_ashrrev_i32_e32 v68, 1, v68
	v_add_u32_e32 v68, v68, v67
	v_not_b32_e32 v70, v68
	v_add_u32_e32 v69, v9, v68
	v_add3_u32 v70, v5, v70, v15
	ds_read_i8 v69, v69
	ds_read_i8 v70, v70
	v_add_u32_e32 v71, 1, v68
	s_waitcnt lgkmcnt(0)
	v_cmp_lt_i16_e64 s[16:17], v70, v69
	s_nop 1
	v_cndmask_b32_e64 v66, v66, v68, s[16:17]
	v_cndmask_b32_e64 v67, v71, v67, s[16:17]
	v_cmp_ge_i32_e64 s[16:17], v67, v66
	s_or_b64 s[20:21], s[16:17], s[20:21]
	s_andn2_b64 exec, exec, s[20:21]
	s_cbranch_execnz .LBB75_28
; %bb.29:                               ;   in Loop: Header=BB75_2 Depth=1
	s_or_b64 exec, exec, s[20:21]
.LBB75_30:                              ;   in Loop: Header=BB75_2 Depth=1
	s_or_b64 exec, exec, s[18:19]
	v_add_u32_e32 v66, v67, v9
	v_sub_u32_e32 v67, v20, v67
	ds_read_u8 v68, v66
	ds_read_u8 v69, v67
	v_cmp_le_i32_e64 s[18:19], v15, v66
	v_cmp_gt_i32_e64 s[16:17], v16, v67
                                        ; implicit-def: $vgpr70
	s_waitcnt lgkmcnt(1)
	v_bfe_i32 v68, v68, 0, 8
	s_waitcnt lgkmcnt(0)
	v_bfe_i32 v69, v69, 0, 8
	v_cmp_lt_i16_e64 s[20:21], v69, v68
	s_or_b64 s[18:19], s[18:19], s[20:21]
	s_and_b64 s[16:17], s[16:17], s[18:19]
	s_xor_b64 s[18:19], s[16:17], -1
	s_and_saveexec_b64 s[20:21], s[18:19]
	s_xor_b64 s[18:19], exec, s[20:21]
	s_cbranch_execz .LBB75_32
; %bb.31:                               ;   in Loop: Header=BB75_2 Depth=1
	ds_read_u8 v70, v66 offset:1
.LBB75_32:                              ;   in Loop: Header=BB75_2 Depth=1
	s_or_saveexec_b64 s[18:19], s[18:19]
	v_mov_b32_e32 v71, v69
	s_xor_b64 exec, exec, s[18:19]
	s_cbranch_execz .LBB75_34
; %bb.33:                               ;   in Loop: Header=BB75_2 Depth=1
	ds_read_u8 v71, v67 offset:1
	s_waitcnt lgkmcnt(1)
	v_mov_b32_e32 v70, v68
.LBB75_34:                              ;   in Loop: Header=BB75_2 Depth=1
	s_or_b64 exec, exec, s[18:19]
	v_add_u32_e32 v73, 1, v66
	v_add_u32_e32 v72, 1, v67
	v_cndmask_b32_e64 v73, v73, v66, s[16:17]
	v_cndmask_b32_e64 v72, v67, v72, s[16:17]
	v_cmp_ge_i32_e64 s[20:21], v73, v15
	s_waitcnt lgkmcnt(0)
	v_cmp_lt_i16_sdwa s[22:23], sext(v71), sext(v70) src0_sel:BYTE_0 src1_sel:BYTE_0
	v_cmp_lt_i32_e64 s[18:19], v72, v16
	s_or_b64 s[20:21], s[20:21], s[22:23]
	s_and_b64 s[18:19], s[18:19], s[20:21]
	s_xor_b64 s[20:21], s[18:19], -1
                                        ; implicit-def: $vgpr74
	s_and_saveexec_b64 s[22:23], s[20:21]
	s_xor_b64 s[20:21], exec, s[22:23]
	s_cbranch_execz .LBB75_36
; %bb.35:                               ;   in Loop: Header=BB75_2 Depth=1
	ds_read_u8 v74, v73 offset:1
.LBB75_36:                              ;   in Loop: Header=BB75_2 Depth=1
	s_or_saveexec_b64 s[20:21], s[20:21]
	v_mov_b32_e32 v75, v71
	s_xor_b64 exec, exec, s[20:21]
	s_cbranch_execz .LBB75_38
; %bb.37:                               ;   in Loop: Header=BB75_2 Depth=1
	ds_read_u8 v75, v72 offset:1
	s_waitcnt lgkmcnt(1)
	v_mov_b32_e32 v74, v70
.LBB75_38:                              ;   in Loop: Header=BB75_2 Depth=1
	s_or_b64 exec, exec, s[20:21]
	v_add_u32_e32 v76, 1, v73
	v_cndmask_b32_e64 v70, v70, v71, s[18:19]
	v_add_u32_e32 v71, 1, v72
	v_cndmask_b32_e64 v76, v76, v73, s[18:19]
	v_cndmask_b32_e64 v71, v72, v71, s[18:19]
	;; [unrolled: 1-line block ×3, first 2 shown]
	v_cmp_ge_i32_e64 s[18:19], v76, v15
	s_waitcnt lgkmcnt(0)
	v_cmp_lt_i16_sdwa s[20:21], sext(v75), sext(v74) src0_sel:BYTE_0 src1_sel:BYTE_0
	v_cndmask_b32_e64 v68, v68, v69, s[16:17]
	v_cndmask_b32_e64 v66, v66, v67, s[16:17]
	v_cmp_lt_i32_e64 s[16:17], v71, v16
	s_or_b64 s[18:19], s[18:19], s[20:21]
	s_and_b64 s[16:17], s[16:17], s[18:19]
	v_cndmask_b32_e64 v69, v76, v71, s[16:17]
	s_barrier
	ds_write_b8 v2, v64
	ds_write_b8 v2, v65 offset:1
	ds_write_b8 v2, v63 offset:2
	s_waitcnt lgkmcnt(0)
	s_barrier
	ds_read_u8 v63, v69
	ds_read_u8 v64, v66
	ds_read_u8 v65, v72
	v_cndmask_b32_e64 v67, v74, v75, s[16:17]
	s_waitcnt lgkmcnt(0)
	s_barrier
	ds_write_b8 v2, v68
	ds_write_b8 v2, v70 offset:1
	ds_write_b8 v2, v67 offset:2
	v_mov_b32_e32 v67, v28
	s_waitcnt lgkmcnt(0)
	s_barrier
	s_and_saveexec_b64 s[18:19], s[4:5]
	s_cbranch_execz .LBB75_42
; %bb.39:                               ;   in Loop: Header=BB75_2 Depth=1
	s_mov_b64 s[20:21], 0
	v_mov_b32_e32 v67, v28
	v_mov_b32_e32 v66, v24
.LBB75_40:                              ;   Parent Loop BB75_2 Depth=1
                                        ; =>  This Inner Loop Header: Depth=2
	v_sub_u32_e32 v68, v66, v67
	v_lshrrev_b32_e32 v69, 31, v68
	v_add_u32_e32 v68, v68, v69
	v_ashrrev_i32_e32 v68, 1, v68
	v_add_u32_e32 v68, v68, v67
	v_not_b32_e32 v70, v68
	v_add_u32_e32 v69, v10, v68
	v_add3_u32 v70, v6, v70, v17
	ds_read_i8 v69, v69
	ds_read_i8 v70, v70
	v_add_u32_e32 v71, 1, v68
	s_waitcnt lgkmcnt(0)
	v_cmp_lt_i16_e64 s[16:17], v70, v69
	s_nop 1
	v_cndmask_b32_e64 v66, v66, v68, s[16:17]
	v_cndmask_b32_e64 v67, v71, v67, s[16:17]
	v_cmp_ge_i32_e64 s[16:17], v67, v66
	s_or_b64 s[20:21], s[16:17], s[20:21]
	s_andn2_b64 exec, exec, s[20:21]
	s_cbranch_execnz .LBB75_40
; %bb.41:                               ;   in Loop: Header=BB75_2 Depth=1
	s_or_b64 exec, exec, s[20:21]
.LBB75_42:                              ;   in Loop: Header=BB75_2 Depth=1
	s_or_b64 exec, exec, s[18:19]
	v_add_u32_e32 v66, v67, v10
	v_sub_u32_e32 v67, v29, v67
	ds_read_u8 v68, v66
	ds_read_u8 v69, v67
	v_cmp_le_i32_e64 s[18:19], v17, v66
	v_cmp_gt_i32_e64 s[16:17], v18, v67
                                        ; implicit-def: $vgpr70
	s_waitcnt lgkmcnt(1)
	v_bfe_i32 v68, v68, 0, 8
	s_waitcnt lgkmcnt(0)
	v_bfe_i32 v69, v69, 0, 8
	v_cmp_lt_i16_e64 s[20:21], v69, v68
	s_or_b64 s[18:19], s[18:19], s[20:21]
	s_and_b64 s[16:17], s[16:17], s[18:19]
	s_xor_b64 s[18:19], s[16:17], -1
	s_and_saveexec_b64 s[20:21], s[18:19]
	s_xor_b64 s[18:19], exec, s[20:21]
	s_cbranch_execz .LBB75_44
; %bb.43:                               ;   in Loop: Header=BB75_2 Depth=1
	ds_read_u8 v70, v66 offset:1
.LBB75_44:                              ;   in Loop: Header=BB75_2 Depth=1
	s_or_saveexec_b64 s[18:19], s[18:19]
	v_mov_b32_e32 v71, v69
	s_xor_b64 exec, exec, s[18:19]
	s_cbranch_execz .LBB75_46
; %bb.45:                               ;   in Loop: Header=BB75_2 Depth=1
	ds_read_u8 v71, v67 offset:1
	s_waitcnt lgkmcnt(1)
	v_mov_b32_e32 v70, v68
.LBB75_46:                              ;   in Loop: Header=BB75_2 Depth=1
	s_or_b64 exec, exec, s[18:19]
	v_add_u32_e32 v73, 1, v66
	v_add_u32_e32 v72, 1, v67
	v_cndmask_b32_e64 v73, v73, v66, s[16:17]
	v_cndmask_b32_e64 v72, v67, v72, s[16:17]
	v_cmp_ge_i32_e64 s[20:21], v73, v17
	s_waitcnt lgkmcnt(0)
	v_cmp_lt_i16_sdwa s[22:23], sext(v71), sext(v70) src0_sel:BYTE_0 src1_sel:BYTE_0
	v_cmp_lt_i32_e64 s[18:19], v72, v18
	s_or_b64 s[20:21], s[20:21], s[22:23]
	s_and_b64 s[18:19], s[18:19], s[20:21]
	s_xor_b64 s[20:21], s[18:19], -1
                                        ; implicit-def: $vgpr74
	s_and_saveexec_b64 s[22:23], s[20:21]
	s_xor_b64 s[20:21], exec, s[22:23]
	s_cbranch_execz .LBB75_48
; %bb.47:                               ;   in Loop: Header=BB75_2 Depth=1
	ds_read_u8 v74, v73 offset:1
.LBB75_48:                              ;   in Loop: Header=BB75_2 Depth=1
	s_or_saveexec_b64 s[20:21], s[20:21]
	v_mov_b32_e32 v75, v71
	s_xor_b64 exec, exec, s[20:21]
	s_cbranch_execz .LBB75_50
; %bb.49:                               ;   in Loop: Header=BB75_2 Depth=1
	ds_read_u8 v75, v72 offset:1
	s_waitcnt lgkmcnt(1)
	v_mov_b32_e32 v74, v70
.LBB75_50:                              ;   in Loop: Header=BB75_2 Depth=1
	s_or_b64 exec, exec, s[20:21]
	v_add_u32_e32 v76, 1, v73
	v_cndmask_b32_e64 v70, v70, v71, s[18:19]
	v_add_u32_e32 v71, 1, v72
	v_cndmask_b32_e64 v76, v76, v73, s[18:19]
	v_cndmask_b32_e64 v71, v72, v71, s[18:19]
	;; [unrolled: 1-line block ×3, first 2 shown]
	v_cmp_ge_i32_e64 s[18:19], v76, v17
	s_waitcnt lgkmcnt(0)
	v_cmp_lt_i16_sdwa s[20:21], sext(v75), sext(v74) src0_sel:BYTE_0 src1_sel:BYTE_0
	v_cndmask_b32_e64 v68, v68, v69, s[16:17]
	v_cndmask_b32_e64 v66, v66, v67, s[16:17]
	v_cmp_lt_i32_e64 s[16:17], v71, v18
	s_or_b64 s[18:19], s[18:19], s[20:21]
	s_and_b64 s[16:17], s[16:17], s[18:19]
	v_cndmask_b32_e64 v69, v76, v71, s[16:17]
	s_barrier
	ds_write_b8 v2, v64
	ds_write_b8 v2, v65 offset:1
	ds_write_b8 v2, v63 offset:2
	s_waitcnt lgkmcnt(0)
	s_barrier
	ds_read_u8 v63, v69
	ds_read_u8 v64, v66
	;; [unrolled: 1-line block ×3, first 2 shown]
	v_cndmask_b32_e64 v67, v74, v75, s[16:17]
	s_waitcnt lgkmcnt(0)
	s_barrier
	ds_write_b8 v2, v68
	ds_write_b8 v2, v70 offset:1
	ds_write_b8 v2, v67 offset:2
	v_mov_b32_e32 v67, v34
	s_waitcnt lgkmcnt(0)
	s_barrier
	s_and_saveexec_b64 s[18:19], s[6:7]
	s_cbranch_execz .LBB75_54
; %bb.51:                               ;   in Loop: Header=BB75_2 Depth=1
	s_mov_b64 s[20:21], 0
	v_mov_b32_e32 v67, v34
	v_mov_b32_e32 v66, v35
.LBB75_52:                              ;   Parent Loop BB75_2 Depth=1
                                        ; =>  This Inner Loop Header: Depth=2
	v_sub_u32_e32 v68, v66, v67
	v_lshrrev_b32_e32 v69, 31, v68
	v_add_u32_e32 v68, v68, v69
	v_ashrrev_i32_e32 v68, 1, v68
	v_add_u32_e32 v68, v68, v67
	v_not_b32_e32 v70, v68
	v_add_u32_e32 v69, v31, v68
	v_add3_u32 v70, v30, v70, v32
	ds_read_i8 v69, v69
	ds_read_i8 v70, v70
	v_add_u32_e32 v71, 1, v68
	s_waitcnt lgkmcnt(0)
	v_cmp_lt_i16_e64 s[16:17], v70, v69
	s_nop 1
	v_cndmask_b32_e64 v66, v66, v68, s[16:17]
	v_cndmask_b32_e64 v67, v71, v67, s[16:17]
	v_cmp_ge_i32_e64 s[16:17], v67, v66
	s_or_b64 s[20:21], s[16:17], s[20:21]
	s_andn2_b64 exec, exec, s[20:21]
	s_cbranch_execnz .LBB75_52
; %bb.53:                               ;   in Loop: Header=BB75_2 Depth=1
	s_or_b64 exec, exec, s[20:21]
.LBB75_54:                              ;   in Loop: Header=BB75_2 Depth=1
	s_or_b64 exec, exec, s[18:19]
	v_add_u32_e32 v66, v67, v31
	v_sub_u32_e32 v67, v36, v67
	ds_read_u8 v68, v66
	ds_read_u8 v69, v67
	v_cmp_le_i32_e64 s[18:19], v32, v66
	v_cmp_gt_i32_e64 s[16:17], v33, v67
                                        ; implicit-def: $vgpr70
	s_waitcnt lgkmcnt(1)
	v_bfe_i32 v68, v68, 0, 8
	s_waitcnt lgkmcnt(0)
	v_bfe_i32 v69, v69, 0, 8
	v_cmp_lt_i16_e64 s[20:21], v69, v68
	s_or_b64 s[18:19], s[18:19], s[20:21]
	s_and_b64 s[16:17], s[16:17], s[18:19]
	s_xor_b64 s[18:19], s[16:17], -1
	s_and_saveexec_b64 s[20:21], s[18:19]
	s_xor_b64 s[18:19], exec, s[20:21]
	s_cbranch_execz .LBB75_56
; %bb.55:                               ;   in Loop: Header=BB75_2 Depth=1
	ds_read_u8 v70, v66 offset:1
.LBB75_56:                              ;   in Loop: Header=BB75_2 Depth=1
	s_or_saveexec_b64 s[18:19], s[18:19]
	v_mov_b32_e32 v71, v69
	s_xor_b64 exec, exec, s[18:19]
	s_cbranch_execz .LBB75_58
; %bb.57:                               ;   in Loop: Header=BB75_2 Depth=1
	ds_read_u8 v71, v67 offset:1
	s_waitcnt lgkmcnt(1)
	v_mov_b32_e32 v70, v68
.LBB75_58:                              ;   in Loop: Header=BB75_2 Depth=1
	s_or_b64 exec, exec, s[18:19]
	v_add_u32_e32 v73, 1, v66
	v_add_u32_e32 v72, 1, v67
	v_cndmask_b32_e64 v73, v73, v66, s[16:17]
	v_cndmask_b32_e64 v72, v67, v72, s[16:17]
	v_cmp_ge_i32_e64 s[20:21], v73, v32
	s_waitcnt lgkmcnt(0)
	v_cmp_lt_i16_sdwa s[22:23], sext(v71), sext(v70) src0_sel:BYTE_0 src1_sel:BYTE_0
	v_cmp_lt_i32_e64 s[18:19], v72, v33
	s_or_b64 s[20:21], s[20:21], s[22:23]
	s_and_b64 s[18:19], s[18:19], s[20:21]
	s_xor_b64 s[20:21], s[18:19], -1
                                        ; implicit-def: $vgpr74
	s_and_saveexec_b64 s[22:23], s[20:21]
	s_xor_b64 s[20:21], exec, s[22:23]
	s_cbranch_execz .LBB75_60
; %bb.59:                               ;   in Loop: Header=BB75_2 Depth=1
	ds_read_u8 v74, v73 offset:1
.LBB75_60:                              ;   in Loop: Header=BB75_2 Depth=1
	s_or_saveexec_b64 s[20:21], s[20:21]
	v_mov_b32_e32 v75, v71
	s_xor_b64 exec, exec, s[20:21]
	s_cbranch_execz .LBB75_62
; %bb.61:                               ;   in Loop: Header=BB75_2 Depth=1
	ds_read_u8 v75, v72 offset:1
	s_waitcnt lgkmcnt(1)
	v_mov_b32_e32 v74, v70
.LBB75_62:                              ;   in Loop: Header=BB75_2 Depth=1
	s_or_b64 exec, exec, s[20:21]
	v_add_u32_e32 v76, 1, v73
	v_cndmask_b32_e64 v70, v70, v71, s[18:19]
	v_add_u32_e32 v71, 1, v72
	v_cndmask_b32_e64 v76, v76, v73, s[18:19]
	v_cndmask_b32_e64 v71, v72, v71, s[18:19]
	;; [unrolled: 1-line block ×3, first 2 shown]
	v_cmp_ge_i32_e64 s[18:19], v76, v32
	s_waitcnt lgkmcnt(0)
	v_cmp_lt_i16_sdwa s[20:21], sext(v75), sext(v74) src0_sel:BYTE_0 src1_sel:BYTE_0
	v_cndmask_b32_e64 v68, v68, v69, s[16:17]
	v_cndmask_b32_e64 v66, v66, v67, s[16:17]
	v_cmp_lt_i32_e64 s[16:17], v71, v33
	s_or_b64 s[18:19], s[18:19], s[20:21]
	s_and_b64 s[16:17], s[16:17], s[18:19]
	v_cndmask_b32_e64 v69, v76, v71, s[16:17]
	s_barrier
	ds_write_b8 v2, v64
	ds_write_b8 v2, v65 offset:1
	ds_write_b8 v2, v63 offset:2
	s_waitcnt lgkmcnt(0)
	s_barrier
	ds_read_u8 v63, v69
	ds_read_u8 v64, v66
	;; [unrolled: 1-line block ×3, first 2 shown]
	v_cndmask_b32_e64 v67, v74, v75, s[16:17]
	s_waitcnt lgkmcnt(0)
	s_barrier
	ds_write_b8 v2, v68
	ds_write_b8 v2, v70 offset:1
	ds_write_b8 v2, v67 offset:2
	v_mov_b32_e32 v67, v41
	s_waitcnt lgkmcnt(0)
	s_barrier
	s_and_saveexec_b64 s[18:19], s[8:9]
	s_cbranch_execz .LBB75_66
; %bb.63:                               ;   in Loop: Header=BB75_2 Depth=1
	s_mov_b64 s[20:21], 0
	v_mov_b32_e32 v67, v41
	v_mov_b32_e32 v66, v42
.LBB75_64:                              ;   Parent Loop BB75_2 Depth=1
                                        ; =>  This Inner Loop Header: Depth=2
	v_sub_u32_e32 v68, v66, v67
	v_lshrrev_b32_e32 v69, 31, v68
	v_add_u32_e32 v68, v68, v69
	v_ashrrev_i32_e32 v68, 1, v68
	v_add_u32_e32 v68, v68, v67
	v_not_b32_e32 v70, v68
	v_add_u32_e32 v69, v38, v68
	v_add3_u32 v70, v37, v70, v39
	ds_read_i8 v69, v69
	ds_read_i8 v70, v70
	v_add_u32_e32 v71, 1, v68
	s_waitcnt lgkmcnt(0)
	v_cmp_lt_i16_e64 s[16:17], v70, v69
	s_nop 1
	v_cndmask_b32_e64 v66, v66, v68, s[16:17]
	v_cndmask_b32_e64 v67, v71, v67, s[16:17]
	v_cmp_ge_i32_e64 s[16:17], v67, v66
	s_or_b64 s[20:21], s[16:17], s[20:21]
	s_andn2_b64 exec, exec, s[20:21]
	s_cbranch_execnz .LBB75_64
; %bb.65:                               ;   in Loop: Header=BB75_2 Depth=1
	s_or_b64 exec, exec, s[20:21]
.LBB75_66:                              ;   in Loop: Header=BB75_2 Depth=1
	s_or_b64 exec, exec, s[18:19]
	v_add_u32_e32 v66, v67, v38
	v_sub_u32_e32 v67, v43, v67
	ds_read_u8 v68, v66
	ds_read_u8 v69, v67
	v_cmp_le_i32_e64 s[18:19], v39, v66
	v_cmp_gt_i32_e64 s[16:17], v40, v67
                                        ; implicit-def: $vgpr70
	s_waitcnt lgkmcnt(1)
	v_bfe_i32 v68, v68, 0, 8
	s_waitcnt lgkmcnt(0)
	v_bfe_i32 v69, v69, 0, 8
	v_cmp_lt_i16_e64 s[20:21], v69, v68
	s_or_b64 s[18:19], s[18:19], s[20:21]
	s_and_b64 s[16:17], s[16:17], s[18:19]
	s_xor_b64 s[18:19], s[16:17], -1
	s_and_saveexec_b64 s[20:21], s[18:19]
	s_xor_b64 s[18:19], exec, s[20:21]
	s_cbranch_execz .LBB75_68
; %bb.67:                               ;   in Loop: Header=BB75_2 Depth=1
	ds_read_u8 v70, v66 offset:1
.LBB75_68:                              ;   in Loop: Header=BB75_2 Depth=1
	s_or_saveexec_b64 s[18:19], s[18:19]
	v_mov_b32_e32 v71, v69
	s_xor_b64 exec, exec, s[18:19]
	s_cbranch_execz .LBB75_70
; %bb.69:                               ;   in Loop: Header=BB75_2 Depth=1
	ds_read_u8 v71, v67 offset:1
	s_waitcnt lgkmcnt(1)
	v_mov_b32_e32 v70, v68
.LBB75_70:                              ;   in Loop: Header=BB75_2 Depth=1
	s_or_b64 exec, exec, s[18:19]
	v_add_u32_e32 v73, 1, v66
	v_add_u32_e32 v72, 1, v67
	v_cndmask_b32_e64 v73, v73, v66, s[16:17]
	v_cndmask_b32_e64 v72, v67, v72, s[16:17]
	v_cmp_ge_i32_e64 s[20:21], v73, v39
	s_waitcnt lgkmcnt(0)
	v_cmp_lt_i16_sdwa s[22:23], sext(v71), sext(v70) src0_sel:BYTE_0 src1_sel:BYTE_0
	v_cmp_lt_i32_e64 s[18:19], v72, v40
	s_or_b64 s[20:21], s[20:21], s[22:23]
	s_and_b64 s[18:19], s[18:19], s[20:21]
	s_xor_b64 s[20:21], s[18:19], -1
                                        ; implicit-def: $vgpr74
	s_and_saveexec_b64 s[22:23], s[20:21]
	s_xor_b64 s[20:21], exec, s[22:23]
	s_cbranch_execz .LBB75_72
; %bb.71:                               ;   in Loop: Header=BB75_2 Depth=1
	ds_read_u8 v74, v73 offset:1
.LBB75_72:                              ;   in Loop: Header=BB75_2 Depth=1
	s_or_saveexec_b64 s[20:21], s[20:21]
	v_mov_b32_e32 v75, v71
	s_xor_b64 exec, exec, s[20:21]
	s_cbranch_execz .LBB75_74
; %bb.73:                               ;   in Loop: Header=BB75_2 Depth=1
	ds_read_u8 v75, v72 offset:1
	s_waitcnt lgkmcnt(1)
	v_mov_b32_e32 v74, v70
.LBB75_74:                              ;   in Loop: Header=BB75_2 Depth=1
	s_or_b64 exec, exec, s[20:21]
	v_add_u32_e32 v76, 1, v73
	v_cndmask_b32_e64 v70, v70, v71, s[18:19]
	v_add_u32_e32 v71, 1, v72
	v_cndmask_b32_e64 v76, v76, v73, s[18:19]
	v_cndmask_b32_e64 v71, v72, v71, s[18:19]
	;; [unrolled: 1-line block ×3, first 2 shown]
	v_cmp_ge_i32_e64 s[18:19], v76, v39
	s_waitcnt lgkmcnt(0)
	v_cmp_lt_i16_sdwa s[20:21], sext(v75), sext(v74) src0_sel:BYTE_0 src1_sel:BYTE_0
	v_cndmask_b32_e64 v68, v68, v69, s[16:17]
	v_cndmask_b32_e64 v66, v66, v67, s[16:17]
	v_cmp_lt_i32_e64 s[16:17], v71, v40
	s_or_b64 s[18:19], s[18:19], s[20:21]
	s_and_b64 s[16:17], s[16:17], s[18:19]
	v_cndmask_b32_e64 v69, v76, v71, s[16:17]
	s_barrier
	ds_write_b8 v2, v64
	ds_write_b8 v2, v65 offset:1
	ds_write_b8 v2, v63 offset:2
	s_waitcnt lgkmcnt(0)
	s_barrier
	ds_read_u8 v63, v69
	ds_read_u8 v64, v66
	;; [unrolled: 1-line block ×3, first 2 shown]
	v_cndmask_b32_e64 v67, v74, v75, s[16:17]
	s_waitcnt lgkmcnt(0)
	s_barrier
	ds_write_b8 v2, v68
	ds_write_b8 v2, v70 offset:1
	ds_write_b8 v2, v67 offset:2
	v_mov_b32_e32 v67, v48
	s_waitcnt lgkmcnt(0)
	s_barrier
	s_and_saveexec_b64 s[18:19], s[10:11]
	s_cbranch_execz .LBB75_78
; %bb.75:                               ;   in Loop: Header=BB75_2 Depth=1
	s_mov_b64 s[20:21], 0
	v_mov_b32_e32 v67, v48
	v_mov_b32_e32 v66, v49
.LBB75_76:                              ;   Parent Loop BB75_2 Depth=1
                                        ; =>  This Inner Loop Header: Depth=2
	v_sub_u32_e32 v68, v66, v67
	v_lshrrev_b32_e32 v69, 31, v68
	v_add_u32_e32 v68, v68, v69
	v_ashrrev_i32_e32 v68, 1, v68
	v_add_u32_e32 v68, v68, v67
	v_not_b32_e32 v70, v68
	v_add_u32_e32 v69, v45, v68
	v_add3_u32 v70, v44, v70, v46
	ds_read_i8 v69, v69
	ds_read_i8 v70, v70
	v_add_u32_e32 v71, 1, v68
	s_waitcnt lgkmcnt(0)
	v_cmp_lt_i16_e64 s[16:17], v70, v69
	s_nop 1
	v_cndmask_b32_e64 v66, v66, v68, s[16:17]
	v_cndmask_b32_e64 v67, v71, v67, s[16:17]
	v_cmp_ge_i32_e64 s[16:17], v67, v66
	s_or_b64 s[20:21], s[16:17], s[20:21]
	s_andn2_b64 exec, exec, s[20:21]
	s_cbranch_execnz .LBB75_76
; %bb.77:                               ;   in Loop: Header=BB75_2 Depth=1
	s_or_b64 exec, exec, s[20:21]
.LBB75_78:                              ;   in Loop: Header=BB75_2 Depth=1
	s_or_b64 exec, exec, s[18:19]
	v_add_u32_e32 v66, v67, v45
	v_sub_u32_e32 v67, v50, v67
	ds_read_u8 v68, v66
	ds_read_u8 v69, v67
	v_cmp_le_i32_e64 s[18:19], v46, v66
	v_cmp_gt_i32_e64 s[16:17], v47, v67
                                        ; implicit-def: $vgpr70
	s_waitcnt lgkmcnt(1)
	v_bfe_i32 v68, v68, 0, 8
	s_waitcnt lgkmcnt(0)
	v_bfe_i32 v69, v69, 0, 8
	v_cmp_lt_i16_e64 s[20:21], v69, v68
	s_or_b64 s[18:19], s[18:19], s[20:21]
	s_and_b64 s[16:17], s[16:17], s[18:19]
	s_xor_b64 s[18:19], s[16:17], -1
	s_and_saveexec_b64 s[20:21], s[18:19]
	s_xor_b64 s[18:19], exec, s[20:21]
	s_cbranch_execz .LBB75_80
; %bb.79:                               ;   in Loop: Header=BB75_2 Depth=1
	ds_read_u8 v70, v66 offset:1
.LBB75_80:                              ;   in Loop: Header=BB75_2 Depth=1
	s_or_saveexec_b64 s[18:19], s[18:19]
	v_mov_b32_e32 v71, v69
	s_xor_b64 exec, exec, s[18:19]
	s_cbranch_execz .LBB75_82
; %bb.81:                               ;   in Loop: Header=BB75_2 Depth=1
	ds_read_u8 v71, v67 offset:1
	s_waitcnt lgkmcnt(1)
	v_mov_b32_e32 v70, v68
.LBB75_82:                              ;   in Loop: Header=BB75_2 Depth=1
	s_or_b64 exec, exec, s[18:19]
	v_add_u32_e32 v73, 1, v66
	v_add_u32_e32 v72, 1, v67
	v_cndmask_b32_e64 v73, v73, v66, s[16:17]
	v_cndmask_b32_e64 v72, v67, v72, s[16:17]
	v_cmp_ge_i32_e64 s[20:21], v73, v46
	s_waitcnt lgkmcnt(0)
	v_cmp_lt_i16_sdwa s[22:23], sext(v71), sext(v70) src0_sel:BYTE_0 src1_sel:BYTE_0
	v_cmp_lt_i32_e64 s[18:19], v72, v47
	s_or_b64 s[20:21], s[20:21], s[22:23]
	s_and_b64 s[18:19], s[18:19], s[20:21]
	s_xor_b64 s[20:21], s[18:19], -1
                                        ; implicit-def: $vgpr74
	s_and_saveexec_b64 s[22:23], s[20:21]
	s_xor_b64 s[20:21], exec, s[22:23]
	s_cbranch_execz .LBB75_84
; %bb.83:                               ;   in Loop: Header=BB75_2 Depth=1
	ds_read_u8 v74, v73 offset:1
.LBB75_84:                              ;   in Loop: Header=BB75_2 Depth=1
	s_or_saveexec_b64 s[20:21], s[20:21]
	v_mov_b32_e32 v75, v71
	s_xor_b64 exec, exec, s[20:21]
	s_cbranch_execz .LBB75_86
; %bb.85:                               ;   in Loop: Header=BB75_2 Depth=1
	ds_read_u8 v75, v72 offset:1
	s_waitcnt lgkmcnt(1)
	v_mov_b32_e32 v74, v70
.LBB75_86:                              ;   in Loop: Header=BB75_2 Depth=1
	s_or_b64 exec, exec, s[20:21]
	v_add_u32_e32 v76, 1, v73
	v_cndmask_b32_e64 v70, v70, v71, s[18:19]
	v_add_u32_e32 v71, 1, v72
	v_cndmask_b32_e64 v76, v76, v73, s[18:19]
	v_cndmask_b32_e64 v71, v72, v71, s[18:19]
	;; [unrolled: 1-line block ×3, first 2 shown]
	v_cmp_ge_i32_e64 s[18:19], v76, v46
	s_waitcnt lgkmcnt(0)
	v_cmp_lt_i16_sdwa s[20:21], sext(v75), sext(v74) src0_sel:BYTE_0 src1_sel:BYTE_0
	v_cndmask_b32_e64 v68, v68, v69, s[16:17]
	v_cndmask_b32_e64 v66, v66, v67, s[16:17]
	v_cmp_lt_i32_e64 s[16:17], v71, v47
	s_or_b64 s[18:19], s[18:19], s[20:21]
	s_and_b64 s[16:17], s[16:17], s[18:19]
	v_cndmask_b32_e64 v69, v76, v71, s[16:17]
	s_barrier
	ds_write_b8 v2, v64
	ds_write_b8 v2, v65 offset:1
	ds_write_b8 v2, v63 offset:2
	s_waitcnt lgkmcnt(0)
	s_barrier
	ds_read_u8 v63, v69
	ds_read_u8 v64, v66
	;; [unrolled: 1-line block ×3, first 2 shown]
	v_cndmask_b32_e64 v67, v74, v75, s[16:17]
	s_waitcnt lgkmcnt(0)
	s_barrier
	ds_write_b8 v2, v68
	ds_write_b8 v2, v70 offset:1
	ds_write_b8 v2, v67 offset:2
	v_mov_b32_e32 v67, v55
	s_waitcnt lgkmcnt(0)
	s_barrier
	s_and_saveexec_b64 s[18:19], s[12:13]
	s_cbranch_execz .LBB75_90
; %bb.87:                               ;   in Loop: Header=BB75_2 Depth=1
	s_mov_b64 s[20:21], 0
	v_mov_b32_e32 v67, v55
	v_mov_b32_e32 v66, v56
.LBB75_88:                              ;   Parent Loop BB75_2 Depth=1
                                        ; =>  This Inner Loop Header: Depth=2
	v_sub_u32_e32 v68, v66, v67
	v_lshrrev_b32_e32 v69, 31, v68
	v_add_u32_e32 v68, v68, v69
	v_ashrrev_i32_e32 v68, 1, v68
	v_add_u32_e32 v68, v68, v67
	v_not_b32_e32 v70, v68
	v_add_u32_e32 v69, v52, v68
	v_add3_u32 v70, v51, v70, v53
	ds_read_i8 v69, v69
	ds_read_i8 v70, v70
	v_add_u32_e32 v71, 1, v68
	s_waitcnt lgkmcnt(0)
	v_cmp_lt_i16_e64 s[16:17], v70, v69
	s_nop 1
	v_cndmask_b32_e64 v66, v66, v68, s[16:17]
	v_cndmask_b32_e64 v67, v71, v67, s[16:17]
	v_cmp_ge_i32_e64 s[16:17], v67, v66
	s_or_b64 s[20:21], s[16:17], s[20:21]
	s_andn2_b64 exec, exec, s[20:21]
	s_cbranch_execnz .LBB75_88
; %bb.89:                               ;   in Loop: Header=BB75_2 Depth=1
	s_or_b64 exec, exec, s[20:21]
.LBB75_90:                              ;   in Loop: Header=BB75_2 Depth=1
	s_or_b64 exec, exec, s[18:19]
	v_add_u32_e32 v66, v67, v52
	v_sub_u32_e32 v67, v57, v67
	ds_read_u8 v68, v66
	ds_read_u8 v69, v67
	v_cmp_le_i32_e64 s[18:19], v53, v66
	v_cmp_gt_i32_e64 s[16:17], v54, v67
                                        ; implicit-def: $vgpr70
	s_waitcnt lgkmcnt(1)
	v_bfe_i32 v68, v68, 0, 8
	s_waitcnt lgkmcnt(0)
	v_bfe_i32 v69, v69, 0, 8
	v_cmp_lt_i16_e64 s[20:21], v69, v68
	s_or_b64 s[18:19], s[18:19], s[20:21]
	s_and_b64 s[16:17], s[16:17], s[18:19]
	s_xor_b64 s[18:19], s[16:17], -1
	s_and_saveexec_b64 s[20:21], s[18:19]
	s_xor_b64 s[18:19], exec, s[20:21]
	s_cbranch_execz .LBB75_92
; %bb.91:                               ;   in Loop: Header=BB75_2 Depth=1
	ds_read_u8 v70, v66 offset:1
.LBB75_92:                              ;   in Loop: Header=BB75_2 Depth=1
	s_or_saveexec_b64 s[18:19], s[18:19]
	v_mov_b32_e32 v71, v69
	s_xor_b64 exec, exec, s[18:19]
	s_cbranch_execz .LBB75_94
; %bb.93:                               ;   in Loop: Header=BB75_2 Depth=1
	ds_read_u8 v71, v67 offset:1
	s_waitcnt lgkmcnt(1)
	v_mov_b32_e32 v70, v68
.LBB75_94:                              ;   in Loop: Header=BB75_2 Depth=1
	s_or_b64 exec, exec, s[18:19]
	v_add_u32_e32 v73, 1, v66
	v_add_u32_e32 v72, 1, v67
	v_cndmask_b32_e64 v73, v73, v66, s[16:17]
	v_cndmask_b32_e64 v72, v67, v72, s[16:17]
	v_cmp_ge_i32_e64 s[20:21], v73, v53
	s_waitcnt lgkmcnt(0)
	v_cmp_lt_i16_sdwa s[22:23], sext(v71), sext(v70) src0_sel:BYTE_0 src1_sel:BYTE_0
	v_cmp_lt_i32_e64 s[18:19], v72, v54
	s_or_b64 s[20:21], s[20:21], s[22:23]
	s_and_b64 s[18:19], s[18:19], s[20:21]
	s_xor_b64 s[20:21], s[18:19], -1
                                        ; implicit-def: $vgpr74
	s_and_saveexec_b64 s[22:23], s[20:21]
	s_xor_b64 s[20:21], exec, s[22:23]
	s_cbranch_execz .LBB75_96
; %bb.95:                               ;   in Loop: Header=BB75_2 Depth=1
	ds_read_u8 v74, v73 offset:1
.LBB75_96:                              ;   in Loop: Header=BB75_2 Depth=1
	s_or_saveexec_b64 s[20:21], s[20:21]
	v_mov_b32_e32 v75, v71
	s_xor_b64 exec, exec, s[20:21]
	s_cbranch_execz .LBB75_98
; %bb.97:                               ;   in Loop: Header=BB75_2 Depth=1
	ds_read_u8 v75, v72 offset:1
	s_waitcnt lgkmcnt(1)
	v_mov_b32_e32 v74, v70
.LBB75_98:                              ;   in Loop: Header=BB75_2 Depth=1
	s_or_b64 exec, exec, s[20:21]
	v_add_u32_e32 v76, 1, v73
	v_cndmask_b32_e64 v70, v70, v71, s[18:19]
	v_add_u32_e32 v71, 1, v72
	v_cndmask_b32_e64 v76, v76, v73, s[18:19]
	v_cndmask_b32_e64 v71, v72, v71, s[18:19]
	;; [unrolled: 1-line block ×3, first 2 shown]
	v_cmp_ge_i32_e64 s[18:19], v76, v53
	s_waitcnt lgkmcnt(0)
	v_cmp_lt_i16_sdwa s[20:21], sext(v75), sext(v74) src0_sel:BYTE_0 src1_sel:BYTE_0
	v_cndmask_b32_e64 v68, v68, v69, s[16:17]
	v_cndmask_b32_e64 v66, v66, v67, s[16:17]
	v_cmp_lt_i32_e64 s[16:17], v71, v54
	s_or_b64 s[18:19], s[18:19], s[20:21]
	s_and_b64 s[16:17], s[16:17], s[18:19]
	v_cndmask_b32_e64 v69, v76, v71, s[16:17]
	s_barrier
	ds_write_b8 v2, v64
	ds_write_b8 v2, v65 offset:1
	ds_write_b8 v2, v63 offset:2
	s_waitcnt lgkmcnt(0)
	s_barrier
	ds_read_u8 v63, v69
	ds_read_u8 v64, v66
	;; [unrolled: 1-line block ×3, first 2 shown]
	v_mov_b32_e32 v66, v59
	v_cndmask_b32_e64 v67, v74, v75, s[16:17]
	s_waitcnt lgkmcnt(0)
	s_barrier
	ds_write_b8 v2, v68
	ds_write_b8 v2, v70 offset:1
	ds_write_b8 v2, v67 offset:2
	s_waitcnt lgkmcnt(0)
	s_barrier
	s_and_saveexec_b64 s[18:19], s[14:15]
	s_cbranch_execz .LBB75_102
; %bb.99:                               ;   in Loop: Header=BB75_2 Depth=1
	s_mov_b64 s[20:21], 0
	v_mov_b32_e32 v66, v59
	v_mov_b32_e32 v67, v60
.LBB75_100:                             ;   Parent Loop BB75_2 Depth=1
                                        ; =>  This Inner Loop Header: Depth=2
	v_sub_u32_e32 v68, v67, v66
	v_lshrrev_b32_e32 v69, 31, v68
	v_add_u32_e32 v68, v68, v69
	v_ashrrev_i32_e32 v68, 1, v68
	v_add_u32_e32 v68, v68, v66
	v_not_b32_e32 v69, v68
	v_add3_u32 v69, v2, v69, v58
	ds_read_i8 v70, v68
	ds_read_i8 v69, v69
	v_add_u32_e32 v71, 1, v68
	s_waitcnt lgkmcnt(0)
	v_cmp_lt_i16_e64 s[16:17], v69, v70
	s_nop 1
	v_cndmask_b32_e64 v67, v67, v68, s[16:17]
	v_cndmask_b32_e64 v66, v71, v66, s[16:17]
	v_cmp_ge_i32_e64 s[16:17], v66, v67
	s_or_b64 s[20:21], s[16:17], s[20:21]
	s_andn2_b64 exec, exec, s[20:21]
	s_cbranch_execnz .LBB75_100
; %bb.101:                              ;   in Loop: Header=BB75_2 Depth=1
	s_or_b64 exec, exec, s[20:21]
.LBB75_102:                             ;   in Loop: Header=BB75_2 Depth=1
	s_or_b64 exec, exec, s[18:19]
	v_sub_u32_e32 v67, v62, v66
	ds_read_u8 v68, v66
	ds_read_u8 v69, v67
	v_cmp_le_i32_e64 s[18:19], v58, v66
	v_cmp_gt_i32_e64 s[16:17], s28, v67
                                        ; implicit-def: $vgpr70
	s_waitcnt lgkmcnt(1)
	v_bfe_i32 v68, v68, 0, 8
	s_waitcnt lgkmcnt(0)
	v_bfe_i32 v69, v69, 0, 8
	v_cmp_lt_i16_e64 s[20:21], v69, v68
	s_or_b64 s[18:19], s[18:19], s[20:21]
	s_and_b64 s[16:17], s[16:17], s[18:19]
	s_xor_b64 s[18:19], s[16:17], -1
	s_and_saveexec_b64 s[20:21], s[18:19]
	s_xor_b64 s[18:19], exec, s[20:21]
	s_cbranch_execz .LBB75_104
; %bb.103:                              ;   in Loop: Header=BB75_2 Depth=1
	ds_read_u8 v70, v66 offset:1
.LBB75_104:                             ;   in Loop: Header=BB75_2 Depth=1
	s_or_saveexec_b64 s[18:19], s[18:19]
	v_mov_b32_e32 v71, v69
	s_xor_b64 exec, exec, s[18:19]
	s_cbranch_execz .LBB75_106
; %bb.105:                              ;   in Loop: Header=BB75_2 Depth=1
	ds_read_u8 v71, v67 offset:1
	s_waitcnt lgkmcnt(1)
	v_mov_b32_e32 v70, v68
.LBB75_106:                             ;   in Loop: Header=BB75_2 Depth=1
	s_or_b64 exec, exec, s[18:19]
	v_add_u32_e32 v73, 1, v66
	v_add_u32_e32 v72, 1, v67
	v_cndmask_b32_e64 v75, v73, v66, s[16:17]
	v_cndmask_b32_e64 v72, v67, v72, s[16:17]
	v_cmp_ge_i32_e64 s[20:21], v75, v58
	s_waitcnt lgkmcnt(0)
	v_cmp_lt_i16_sdwa s[22:23], sext(v71), sext(v70) src0_sel:BYTE_0 src1_sel:BYTE_0
	v_cmp_gt_i32_e64 s[18:19], s28, v72
	s_or_b64 s[20:21], s[20:21], s[22:23]
	s_and_b64 s[18:19], s[18:19], s[20:21]
	s_xor_b64 s[20:21], s[18:19], -1
                                        ; implicit-def: $vgpr74
                                        ; implicit-def: $vgpr73
	s_and_saveexec_b64 s[22:23], s[20:21]
	s_xor_b64 s[20:21], exec, s[22:23]
	s_cbranch_execz .LBB75_108
; %bb.107:                              ;   in Loop: Header=BB75_2 Depth=1
	ds_read_u8 v74, v75 offset:1
	v_add_u32_e32 v73, 1, v75
.LBB75_108:                             ;   in Loop: Header=BB75_2 Depth=1
	s_or_saveexec_b64 s[20:21], s[20:21]
	v_mov_b32_e32 v76, v75
	v_mov_b32_e32 v77, v71
	s_xor_b64 exec, exec, s[20:21]
	s_cbranch_execz .LBB75_1
; %bb.109:                              ;   in Loop: Header=BB75_2 Depth=1
	ds_read_u8 v77, v72 offset:1
	s_waitcnt lgkmcnt(1)
	v_add_u32_e32 v74, 1, v72
	v_mov_b32_e32 v76, v72
	v_mov_b32_e32 v73, v75
	;; [unrolled: 1-line block ×4, first 2 shown]
	s_branch .LBB75_1
.LBB75_110:
	s_add_u32 s0, s30, s33
	s_addc_u32 s1, s31, 0
	v_add_u16_e32 v2, v68, v70
	v_lshl_add_u64 v[0:1], s[0:1], 0, v[0:1]
	v_add_u16_e32 v3, v69, v65
	v_add_u16_e32 v4, v66, v67
	global_store_byte v[0:1], v2, off
	global_store_byte v[0:1], v3, off offset:512
	global_store_byte v[0:1], v4, off offset:1024
	s_endpgm
	.section	.rodata,"a",@progbits
	.p2align	6, 0x0
	.amdhsa_kernel _Z17sort_pairs_kernelIaLj512ELj3EN10test_utils4lessELj10EEvPKT_PS2_T2_
		.amdhsa_group_segment_fixed_size 1537
		.amdhsa_private_segment_fixed_size 0
		.amdhsa_kernarg_size 20
		.amdhsa_user_sgpr_count 2
		.amdhsa_user_sgpr_dispatch_ptr 0
		.amdhsa_user_sgpr_queue_ptr 0
		.amdhsa_user_sgpr_kernarg_segment_ptr 1
		.amdhsa_user_sgpr_dispatch_id 0
		.amdhsa_user_sgpr_kernarg_preload_length 0
		.amdhsa_user_sgpr_kernarg_preload_offset 0
		.amdhsa_user_sgpr_private_segment_size 0
		.amdhsa_uses_dynamic_stack 0
		.amdhsa_enable_private_segment 0
		.amdhsa_system_sgpr_workgroup_id_x 1
		.amdhsa_system_sgpr_workgroup_id_y 0
		.amdhsa_system_sgpr_workgroup_id_z 0
		.amdhsa_system_sgpr_workgroup_info 0
		.amdhsa_system_vgpr_workitem_id 0
		.amdhsa_next_free_vgpr 78
		.amdhsa_next_free_sgpr 40
		.amdhsa_accum_offset 80
		.amdhsa_reserve_vcc 1
		.amdhsa_float_round_mode_32 0
		.amdhsa_float_round_mode_16_64 0
		.amdhsa_float_denorm_mode_32 3
		.amdhsa_float_denorm_mode_16_64 3
		.amdhsa_dx10_clamp 1
		.amdhsa_ieee_mode 1
		.amdhsa_fp16_overflow 0
		.amdhsa_tg_split 0
		.amdhsa_exception_fp_ieee_invalid_op 0
		.amdhsa_exception_fp_denorm_src 0
		.amdhsa_exception_fp_ieee_div_zero 0
		.amdhsa_exception_fp_ieee_overflow 0
		.amdhsa_exception_fp_ieee_underflow 0
		.amdhsa_exception_fp_ieee_inexact 0
		.amdhsa_exception_int_div_zero 0
	.end_amdhsa_kernel
	.section	.text._Z17sort_pairs_kernelIaLj512ELj3EN10test_utils4lessELj10EEvPKT_PS2_T2_,"axG",@progbits,_Z17sort_pairs_kernelIaLj512ELj3EN10test_utils4lessELj10EEvPKT_PS2_T2_,comdat
.Lfunc_end75:
	.size	_Z17sort_pairs_kernelIaLj512ELj3EN10test_utils4lessELj10EEvPKT_PS2_T2_, .Lfunc_end75-_Z17sort_pairs_kernelIaLj512ELj3EN10test_utils4lessELj10EEvPKT_PS2_T2_
                                        ; -- End function
	.section	.AMDGPU.csdata,"",@progbits
; Kernel info:
; codeLenInByte = 6824
; NumSgprs: 46
; NumVgprs: 78
; NumAgprs: 0
; TotalNumVgprs: 78
; ScratchSize: 0
; MemoryBound: 0
; FloatMode: 240
; IeeeMode: 1
; LDSByteSize: 1537 bytes/workgroup (compile time only)
; SGPRBlocks: 5
; VGPRBlocks: 9
; NumSGPRsForWavesPerEU: 46
; NumVGPRsForWavesPerEU: 78
; AccumOffset: 80
; Occupancy: 6
; WaveLimiterHint : 1
; COMPUTE_PGM_RSRC2:SCRATCH_EN: 0
; COMPUTE_PGM_RSRC2:USER_SGPR: 2
; COMPUTE_PGM_RSRC2:TRAP_HANDLER: 0
; COMPUTE_PGM_RSRC2:TGID_X_EN: 1
; COMPUTE_PGM_RSRC2:TGID_Y_EN: 0
; COMPUTE_PGM_RSRC2:TGID_Z_EN: 0
; COMPUTE_PGM_RSRC2:TIDIG_COMP_CNT: 0
; COMPUTE_PGM_RSRC3_GFX90A:ACCUM_OFFSET: 19
; COMPUTE_PGM_RSRC3_GFX90A:TG_SPLIT: 0
	.section	.text._Z16sort_keys_kernelIaLj512ELj4EN10test_utils4lessELj10EEvPKT_PS2_T2_,"axG",@progbits,_Z16sort_keys_kernelIaLj512ELj4EN10test_utils4lessELj10EEvPKT_PS2_T2_,comdat
	.protected	_Z16sort_keys_kernelIaLj512ELj4EN10test_utils4lessELj10EEvPKT_PS2_T2_ ; -- Begin function _Z16sort_keys_kernelIaLj512ELj4EN10test_utils4lessELj10EEvPKT_PS2_T2_
	.globl	_Z16sort_keys_kernelIaLj512ELj4EN10test_utils4lessELj10EEvPKT_PS2_T2_
	.p2align	8
	.type	_Z16sort_keys_kernelIaLj512ELj4EN10test_utils4lessELj10EEvPKT_PS2_T2_,@function
_Z16sort_keys_kernelIaLj512ELj4EN10test_utils4lessELj10EEvPKT_PS2_T2_: ; @_Z16sort_keys_kernelIaLj512ELj4EN10test_utils4lessELj10EEvPKT_PS2_T2_
; %bb.0:
	s_load_dwordx4 s[24:27], s[0:1], 0x0
	s_lshl_b32 s28, s2, 11
	v_lshlrev_b32_e32 v2, 2, v0
	v_and_b32_e32 v3, 0x7f8, v2
	v_and_b32_e32 v5, 0x7f0, v2
	s_waitcnt lgkmcnt(0)
	s_add_u32 s0, s24, s28
	s_addc_u32 s1, s25, 0
	global_load_ubyte v44, v0, s[0:1] offset:512
	global_load_ubyte v45, v0, s[0:1] offset:1536
	;; [unrolled: 1-line block ×3, first 2 shown]
	global_load_ubyte v47, v0, s[0:1]
	v_or_b32_e32 v15, 4, v3
	v_add_u32_e32 v16, 8, v3
	v_and_b32_e32 v4, 4, v2
	v_and_b32_e32 v7, 0x7e0, v2
	v_or_b32_e32 v17, 8, v5
	v_add_u32_e32 v18, 16, v5
	v_sub_u32_e32 v38, v16, v15
	v_and_b32_e32 v6, 12, v2
	v_and_b32_e32 v9, 0x7c0, v2
	v_or_b32_e32 v19, 16, v7
	v_add_u32_e32 v20, 32, v7
	v_sub_u32_e32 v39, v18, v17
	v_sub_u32_e32 v48, v4, v38
	v_cmp_ge_i32_e32 vcc, v4, v38
	v_and_b32_e32 v8, 28, v2
	v_and_b32_e32 v11, 0x780, v2
	v_or_b32_e32 v21, 32, v9
	v_add_u32_e32 v22, 64, v9
	v_sub_u32_e32 v40, v20, v19
	v_sub_u32_e32 v49, v6, v39
	v_cndmask_b32_e32 v38, 0, v48, vcc
	v_cmp_ge_i32_e32 vcc, v6, v39
	v_and_b32_e32 v10, 60, v2
	v_and_b32_e32 v13, 0x700, v2
	v_or_b32_e32 v23, 64, v11
	v_add_u32_e32 v24, 0x80, v11
	v_sub_u32_e32 v41, v22, v21
	v_sub_u32_e32 v50, v8, v40
	v_cndmask_b32_e32 v39, 0, v49, vcc
	v_cmp_ge_i32_e32 vcc, v8, v40
	v_and_b32_e32 v12, 0x7c, v2
	v_or_b32_e32 v25, 0x80, v13
	v_add_u32_e32 v26, 0x100, v13
	v_sub_u32_e32 v42, v24, v23
	v_sub_u32_e32 v51, v10, v41
	v_cndmask_b32_e32 v40, 0, v50, vcc
	v_cmp_ge_i32_e32 vcc, v10, v41
	v_and_b32_e32 v14, 0xfc, v2
	v_sub_u32_e32 v43, v26, v25
	v_sub_u32_e32 v52, v12, v42
	v_cndmask_b32_e32 v41, 0, v51, vcc
	v_cmp_ge_i32_e32 vcc, v12, v42
	v_sub_u32_e32 v53, v14, v43
	v_and_b32_e32 v51, 0x400, v2
	v_cndmask_b32_e32 v42, 0, v52, vcc
	v_cmp_ge_i32_e32 vcc, v14, v43
	v_add_u32_e32 v54, 0x400, v51
	v_and_b32_e32 v52, 0x3fc, v2
	v_cndmask_b32_e32 v43, 0, v53, vcc
	v_or_b32_e32 v53, 0x200, v51
	v_sub_u32_e32 v55, v54, v53
	v_sub_u32_e32 v32, v15, v3
	;; [unrolled: 1-line block ×9, first 2 shown]
	v_cmp_ge_i32_e64 s[12:13], v52, v55
	v_min_i32_e32 v32, v4, v32
	v_min_i32_e32 v33, v6, v33
	;; [unrolled: 1-line block ×6, first 2 shown]
	v_cndmask_b32_e64 v55, 0, v57, s[12:13]
	v_min_i32_e32 v56, v52, v56
	v_min_i32_e32 v58, 0x400, v2
	s_mov_b32 s24, 0
	v_mov_b32_e32 v1, 0
	s_mov_b32 s25, 0xffff
	v_add_u32_e32 v27, v15, v4
	v_add_u32_e32 v28, v17, v6
	v_add_u32_e32 v29, v19, v8
	v_add_u32_e32 v30, v21, v10
	s_waitcnt vmcnt(3)
	v_lshlrev_b16_e32 v44, 8, v44
	s_waitcnt vmcnt(2)
	v_lshlrev_b16_e32 v45, 8, v45
	s_waitcnt vmcnt(1)
	v_or_b32_sdwa v45, v46, v45 dst_sel:WORD_1 dst_unused:UNUSED_PAD src0_sel:DWORD src1_sel:DWORD
	s_waitcnt vmcnt(0)
	v_or_b32_e32 v44, v47, v44
	v_or_b32_sdwa v63, v44, v45 dst_sel:DWORD dst_unused:UNUSED_PAD src0_sel:WORD_0 src1_sel:DWORD
	v_and_b32_e32 v44, 0x600, v2
	v_or_b32_e32 v46, 0x100, v44
	v_add_u32_e32 v47, 0x200, v44
	v_and_b32_e32 v45, 0x1fc, v2
	v_sub_u32_e32 v48, v47, v46
	v_sub_u32_e32 v50, v45, v48
	v_cmp_ge_i32_e64 s[10:11], v45, v48
	v_sub_u32_e32 v49, v46, v44
	v_min_i32_e32 v49, v45, v49
	v_cndmask_b32_e64 v48, 0, v50, s[10:11]
	v_mov_b32_e32 v50, 0x400
	v_sub_u32_e64 v57, v2, v50 clamp
	v_add_u32_e32 v31, v23, v12
	v_cmp_lt_i32_e32 vcc, v38, v32
	v_cmp_lt_i32_e64 s[0:1], v39, v33
	v_cmp_lt_i32_e64 s[2:3], v40, v34
	;; [unrolled: 1-line block ×8, first 2 shown]
	s_mov_b32 s29, 0x7060405
	s_mov_b32 s30, 0xc0c0001
	s_movk_i32 s31, 0xff00
	s_mov_b32 s33, 0xffff0000
	s_movk_i32 s34, 0x800
	v_add_u32_e32 v59, v25, v14
	v_add_u32_e32 v60, v46, v45
	;; [unrolled: 1-line block ×4, first 2 shown]
	s_branch .LBB76_2
.LBB76_1:                               ;   in Loop: Header=BB76_2 Depth=1
	s_or_b64 exec, exec, s[22:23]
	v_cndmask_b32_e64 v65, v65, v66, s[18:19]
	v_cndmask_b32_e64 v66, v67, v68, s[20:21]
	v_cmp_ge_i32_e64 s[18:19], v71, v50
	s_waitcnt lgkmcnt(0)
	v_cmp_lt_i16_sdwa s[20:21], sext(v73), sext(v70) src0_sel:BYTE_0 src1_sel:BYTE_0
	v_cndmask_b32_e64 v64, v63, v64, s[16:17]
	v_cmp_gt_i32_e64 s[16:17], s34, v69
	s_or_b64 s[18:19], s[18:19], s[20:21]
	s_and_b64 s[16:17], s[16:17], s[18:19]
	v_cndmask_b32_e64 v67, v70, v73, s[16:17]
	v_lshlrev_b16_e32 v63, 8, v65
	v_lshlrev_b16_e32 v68, 8, v67
	v_or_b32_sdwa v63, v64, v63 dst_sel:DWORD dst_unused:UNUSED_PAD src0_sel:BYTE_0 src1_sel:DWORD
	v_or_b32_sdwa v68, v66, v68 dst_sel:WORD_1 dst_unused:UNUSED_PAD src0_sel:BYTE_0 src1_sel:DWORD
	s_add_i32 s24, s24, 1
	s_cmp_eq_u32 s24, 10
	v_or_b32_sdwa v63, v63, v68 dst_sel:DWORD dst_unused:UNUSED_PAD src0_sel:WORD_0 src1_sel:DWORD
	s_cbranch_scc1 .LBB76_146
.LBB76_2:                               ; =>This Loop Header: Depth=1
                                        ;     Child Loop BB76_4 Depth 2
                                        ;     Child Loop BB76_20 Depth 2
	;; [unrolled: 1-line block ×9, first 2 shown]
	v_lshrrev_b32_e32 v65, 8, v63
	v_perm_b32 v64, v63, v63, s29
	v_cmp_lt_i16_sdwa s[16:17], sext(v65), sext(v63) src0_sel:BYTE_0 src1_sel:BYTE_0
	v_min_i16_sdwa v68, sext(v65), sext(v63) dst_sel:DWORD dst_unused:UNUSED_PAD src0_sel:BYTE_0 src1_sel:BYTE_0
	s_nop 0
	v_cndmask_b32_e64 v64, v63, v64, s[16:17]
	v_lshrrev_b32_e32 v66, 16, v64
	v_perm_b32 v67, 0, v66, s30
	v_max_i16_sdwa v63, sext(v65), sext(v63) dst_sel:DWORD dst_unused:UNUSED_PAD src0_sel:BYTE_0 src1_sel:BYTE_0
	v_lshrrev_b32_e32 v65, 24, v64
	v_lshlrev_b32_e32 v67, 16, v67
	v_and_or_b32 v67, v64, s25, v67
	v_cmp_lt_i16_sdwa s[16:17], sext(v65), sext(v66) src0_sel:BYTE_0 src1_sel:BYTE_0
	v_max_i16_sdwa v69, sext(v65), sext(v66) dst_sel:DWORD dst_unused:UNUSED_PAD src0_sel:BYTE_0 src1_sel:BYTE_0
	v_min_i16_sdwa v65, sext(v65), sext(v66) dst_sel:DWORD dst_unused:UNUSED_PAD src0_sel:BYTE_0 src1_sel:BYTE_0
	v_cndmask_b32_e64 v64, v64, v67, s[16:17]
	v_and_b32_sdwa v67, v64, s31 dst_sel:DWORD dst_unused:UNUSED_PAD src0_sel:WORD_1 src1_sel:DWORD
	v_lshlrev_b16_e32 v66, 8, v65
	v_or_b32_sdwa v67, v63, v67 dst_sel:WORD_1 dst_unused:UNUSED_PAD src0_sel:BYTE_0 src1_sel:DWORD
	v_or_b32_sdwa v66, v64, v66 dst_sel:DWORD dst_unused:UNUSED_PAD src0_sel:BYTE_0 src1_sel:DWORD
	v_or_b32_sdwa v66, v66, v67 dst_sel:DWORD dst_unused:UNUSED_PAD src0_sel:WORD_0 src1_sel:DWORD
	v_cmp_lt_i16_e64 s[16:17], v65, v63
	v_lshlrev_b16_e32 v67, 8, v68
	v_max_i16_e32 v70, v65, v63
	v_cndmask_b32_e64 v64, v64, v66, s[16:17]
	v_min_i16_e32 v66, v65, v63
	v_or_b32_sdwa v67, v66, v67 dst_sel:DWORD dst_unused:UNUSED_PAD src0_sel:BYTE_0 src1_sel:DWORD
	v_and_b32_e32 v67, 0xffff, v67
	v_cmp_lt_i16_e64 s[16:17], v65, v68
	v_and_or_b32 v67, v64, s33, v67
	s_barrier
	v_cndmask_b32_e64 v65, v66, v68, s[16:17]
	v_lshlrev_b16_e32 v66, 8, v70
	v_cndmask_b32_e64 v64, v64, v67, s[16:17]
	v_or_b32_sdwa v66, v69, v66 dst_sel:WORD_1 dst_unused:UNUSED_PAD src0_sel:BYTE_0 src1_sel:DWORD
	v_cmp_gt_i16_e64 s[16:17], v63, v69
	v_and_or_b32 v66, v64, s25, v66
	s_nop 0
	v_cndmask_b32_e64 v63, v64, v66, s[16:17]
	v_cndmask_b32_e64 v66, v70, v69, s[16:17]
	v_and_b32_sdwa v64, v63, s31 dst_sel:DWORD dst_unused:UNUSED_PAD src0_sel:WORD_1 src1_sel:DWORD
	v_lshlrev_b16_e32 v67, 8, v66
	v_or_b32_sdwa v64, v65, v64 dst_sel:WORD_1 dst_unused:UNUSED_PAD src0_sel:BYTE_0 src1_sel:DWORD
	v_or_b32_sdwa v67, v63, v67 dst_sel:DWORD dst_unused:UNUSED_PAD src0_sel:BYTE_0 src1_sel:DWORD
	v_or_b32_sdwa v64, v67, v64 dst_sel:DWORD dst_unused:UNUSED_PAD src0_sel:WORD_0 src1_sel:DWORD
	v_cmp_lt_i16_e64 s[16:17], v66, v65
	s_nop 1
	v_cndmask_b32_e64 v63, v63, v64, s[16:17]
	ds_write_b32 v2, v63
	v_mov_b32_e32 v63, v38
	s_waitcnt lgkmcnt(0)
	s_barrier
	s_and_saveexec_b64 s[18:19], vcc
	s_cbranch_execz .LBB76_6
; %bb.3:                                ;   in Loop: Header=BB76_2 Depth=1
	s_mov_b64 s[20:21], 0
	v_mov_b32_e32 v63, v38
	v_mov_b32_e32 v64, v32
.LBB76_4:                               ;   Parent Loop BB76_2 Depth=1
                                        ; =>  This Inner Loop Header: Depth=2
	v_sub_u32_e32 v65, v64, v63
	v_lshrrev_b32_e32 v66, 31, v65
	v_add_u32_e32 v65, v65, v66
	v_ashrrev_i32_e32 v65, 1, v65
	v_add_u32_e32 v65, v65, v63
	v_not_b32_e32 v67, v65
	v_add_u32_e32 v66, v3, v65
	v_add3_u32 v67, v4, v67, v15
	ds_read_i8 v66, v66
	ds_read_i8 v67, v67
	v_add_u32_e32 v68, 1, v65
	s_waitcnt lgkmcnt(0)
	v_cmp_lt_i16_e64 s[16:17], v67, v66
	s_nop 1
	v_cndmask_b32_e64 v64, v64, v65, s[16:17]
	v_cndmask_b32_e64 v63, v68, v63, s[16:17]
	v_cmp_ge_i32_e64 s[16:17], v63, v64
	s_or_b64 s[20:21], s[16:17], s[20:21]
	s_andn2_b64 exec, exec, s[20:21]
	s_cbranch_execnz .LBB76_4
; %bb.5:                                ;   in Loop: Header=BB76_2 Depth=1
	s_or_b64 exec, exec, s[20:21]
.LBB76_6:                               ;   in Loop: Header=BB76_2 Depth=1
	s_or_b64 exec, exec, s[18:19]
	v_add_u32_e32 v67, v63, v3
	v_sub_u32_e32 v68, v27, v63
	ds_read_u8 v63, v67
	ds_read_u8 v64, v68
	v_cmp_le_i32_e64 s[18:19], v15, v67
	v_cmp_gt_i32_e64 s[16:17], v16, v68
                                        ; implicit-def: $vgpr65
	s_waitcnt lgkmcnt(1)
	v_bfe_i32 v63, v63, 0, 8
	s_waitcnt lgkmcnt(0)
	v_bfe_i32 v64, v64, 0, 8
	v_cmp_lt_i16_e64 s[20:21], v64, v63
	s_or_b64 s[18:19], s[18:19], s[20:21]
	s_and_b64 s[16:17], s[16:17], s[18:19]
	s_xor_b64 s[18:19], s[16:17], -1
	s_and_saveexec_b64 s[20:21], s[18:19]
	s_xor_b64 s[18:19], exec, s[20:21]
	s_cbranch_execz .LBB76_8
; %bb.7:                                ;   in Loop: Header=BB76_2 Depth=1
	ds_read_u8 v65, v67 offset:1
.LBB76_8:                               ;   in Loop: Header=BB76_2 Depth=1
	s_or_saveexec_b64 s[18:19], s[18:19]
	v_mov_b32_e32 v66, v64
	s_xor_b64 exec, exec, s[18:19]
	s_cbranch_execz .LBB76_10
; %bb.9:                                ;   in Loop: Header=BB76_2 Depth=1
	ds_read_u8 v66, v68 offset:1
	s_waitcnt lgkmcnt(1)
	v_mov_b32_e32 v65, v63
.LBB76_10:                              ;   in Loop: Header=BB76_2 Depth=1
	s_or_b64 exec, exec, s[18:19]
	v_add_u32_e32 v70, 1, v67
	v_add_u32_e32 v69, 1, v68
	v_cndmask_b32_e64 v70, v70, v67, s[16:17]
	v_cndmask_b32_e64 v69, v68, v69, s[16:17]
	v_cmp_ge_i32_e64 s[20:21], v70, v15
	s_waitcnt lgkmcnt(0)
	v_cmp_lt_i16_sdwa s[22:23], sext(v66), sext(v65) src0_sel:BYTE_0 src1_sel:BYTE_0
	v_cmp_lt_i32_e64 s[18:19], v69, v16
	s_or_b64 s[20:21], s[20:21], s[22:23]
	s_and_b64 s[18:19], s[18:19], s[20:21]
	s_xor_b64 s[20:21], s[18:19], -1
                                        ; implicit-def: $vgpr67
	s_and_saveexec_b64 s[22:23], s[20:21]
	s_xor_b64 s[20:21], exec, s[22:23]
	s_cbranch_execz .LBB76_12
; %bb.11:                               ;   in Loop: Header=BB76_2 Depth=1
	ds_read_u8 v67, v70 offset:1
.LBB76_12:                              ;   in Loop: Header=BB76_2 Depth=1
	s_or_saveexec_b64 s[20:21], s[20:21]
	v_mov_b32_e32 v68, v66
	s_xor_b64 exec, exec, s[20:21]
	s_cbranch_execz .LBB76_14
; %bb.13:                               ;   in Loop: Header=BB76_2 Depth=1
	ds_read_u8 v68, v69 offset:1
	s_waitcnt lgkmcnt(1)
	v_mov_b32_e32 v67, v65
.LBB76_14:                              ;   in Loop: Header=BB76_2 Depth=1
	s_or_b64 exec, exec, s[20:21]
	v_add_u32_e32 v72, 1, v70
	v_add_u32_e32 v71, 1, v69
	v_cndmask_b32_e64 v70, v72, v70, s[18:19]
	v_cndmask_b32_e64 v69, v69, v71, s[18:19]
	v_cmp_ge_i32_e64 s[22:23], v70, v15
	s_waitcnt lgkmcnt(0)
	v_cmp_lt_i16_sdwa s[36:37], sext(v68), sext(v67) src0_sel:BYTE_0 src1_sel:BYTE_0
	v_cmp_lt_i32_e64 s[20:21], v69, v16
	s_or_b64 s[22:23], s[22:23], s[36:37]
	s_and_b64 s[20:21], s[20:21], s[22:23]
	s_xor_b64 s[22:23], s[20:21], -1
                                        ; implicit-def: $vgpr71
	s_and_saveexec_b64 s[36:37], s[22:23]
	s_xor_b64 s[22:23], exec, s[36:37]
	s_cbranch_execz .LBB76_16
; %bb.15:                               ;   in Loop: Header=BB76_2 Depth=1
	ds_read_u8 v71, v70 offset:1
.LBB76_16:                              ;   in Loop: Header=BB76_2 Depth=1
	s_or_saveexec_b64 s[22:23], s[22:23]
	v_mov_b32_e32 v72, v68
	s_xor_b64 exec, exec, s[22:23]
	s_cbranch_execz .LBB76_18
; %bb.17:                               ;   in Loop: Header=BB76_2 Depth=1
	ds_read_u8 v72, v69 offset:1
	s_waitcnt lgkmcnt(1)
	v_mov_b32_e32 v71, v67
.LBB76_18:                              ;   in Loop: Header=BB76_2 Depth=1
	s_or_b64 exec, exec, s[22:23]
	v_cndmask_b32_e64 v67, v67, v68, s[20:21]
	v_add_u32_e32 v68, 1, v69
	v_add_u32_e32 v73, 1, v70
	v_cndmask_b32_e64 v68, v69, v68, s[20:21]
	v_cndmask_b32_e64 v69, v73, v70, s[20:21]
	;; [unrolled: 1-line block ×3, first 2 shown]
	v_cmp_ge_i32_e64 s[18:19], v69, v15
	s_waitcnt lgkmcnt(0)
	v_cmp_lt_i16_sdwa s[20:21], sext(v72), sext(v71) src0_sel:BYTE_0 src1_sel:BYTE_0
	v_cndmask_b32_e64 v63, v63, v64, s[16:17]
	v_cmp_lt_i32_e64 s[16:17], v68, v16
	s_or_b64 s[18:19], s[18:19], s[20:21]
	s_and_b64 s[16:17], s[16:17], s[18:19]
	v_cndmask_b32_e64 v64, v71, v72, s[16:17]
	s_barrier
	ds_write_b8 v2, v63
	ds_write_b8 v2, v65 offset:1
	ds_write_b8 v2, v67 offset:2
	ds_write_b8 v2, v64 offset:3
	v_mov_b32_e32 v63, v39
	s_waitcnt lgkmcnt(0)
	s_barrier
	s_and_saveexec_b64 s[18:19], s[0:1]
	s_cbranch_execz .LBB76_22
; %bb.19:                               ;   in Loop: Header=BB76_2 Depth=1
	s_mov_b64 s[20:21], 0
	v_mov_b32_e32 v63, v39
	v_mov_b32_e32 v64, v33
.LBB76_20:                              ;   Parent Loop BB76_2 Depth=1
                                        ; =>  This Inner Loop Header: Depth=2
	v_sub_u32_e32 v65, v64, v63
	v_lshrrev_b32_e32 v66, 31, v65
	v_add_u32_e32 v65, v65, v66
	v_ashrrev_i32_e32 v65, 1, v65
	v_add_u32_e32 v65, v65, v63
	v_not_b32_e32 v67, v65
	v_add_u32_e32 v66, v5, v65
	v_add3_u32 v67, v6, v67, v17
	ds_read_i8 v66, v66
	ds_read_i8 v67, v67
	v_add_u32_e32 v68, 1, v65
	s_waitcnt lgkmcnt(0)
	v_cmp_lt_i16_e64 s[16:17], v67, v66
	s_nop 1
	v_cndmask_b32_e64 v64, v64, v65, s[16:17]
	v_cndmask_b32_e64 v63, v68, v63, s[16:17]
	v_cmp_ge_i32_e64 s[16:17], v63, v64
	s_or_b64 s[20:21], s[16:17], s[20:21]
	s_andn2_b64 exec, exec, s[20:21]
	s_cbranch_execnz .LBB76_20
; %bb.21:                               ;   in Loop: Header=BB76_2 Depth=1
	s_or_b64 exec, exec, s[20:21]
.LBB76_22:                              ;   in Loop: Header=BB76_2 Depth=1
	s_or_b64 exec, exec, s[18:19]
	v_add_u32_e32 v67, v63, v5
	v_sub_u32_e32 v68, v28, v63
	ds_read_u8 v63, v67
	ds_read_u8 v64, v68
	v_cmp_le_i32_e64 s[18:19], v17, v67
	v_cmp_gt_i32_e64 s[16:17], v18, v68
                                        ; implicit-def: $vgpr65
	s_waitcnt lgkmcnt(1)
	v_bfe_i32 v63, v63, 0, 8
	s_waitcnt lgkmcnt(0)
	v_bfe_i32 v64, v64, 0, 8
	v_cmp_lt_i16_e64 s[20:21], v64, v63
	s_or_b64 s[18:19], s[18:19], s[20:21]
	s_and_b64 s[16:17], s[16:17], s[18:19]
	s_xor_b64 s[18:19], s[16:17], -1
	s_and_saveexec_b64 s[20:21], s[18:19]
	s_xor_b64 s[18:19], exec, s[20:21]
	s_cbranch_execz .LBB76_24
; %bb.23:                               ;   in Loop: Header=BB76_2 Depth=1
	ds_read_u8 v65, v67 offset:1
.LBB76_24:                              ;   in Loop: Header=BB76_2 Depth=1
	s_or_saveexec_b64 s[18:19], s[18:19]
	v_mov_b32_e32 v66, v64
	s_xor_b64 exec, exec, s[18:19]
	s_cbranch_execz .LBB76_26
; %bb.25:                               ;   in Loop: Header=BB76_2 Depth=1
	ds_read_u8 v66, v68 offset:1
	s_waitcnt lgkmcnt(1)
	v_mov_b32_e32 v65, v63
.LBB76_26:                              ;   in Loop: Header=BB76_2 Depth=1
	s_or_b64 exec, exec, s[18:19]
	v_add_u32_e32 v70, 1, v67
	v_add_u32_e32 v69, 1, v68
	v_cndmask_b32_e64 v70, v70, v67, s[16:17]
	v_cndmask_b32_e64 v69, v68, v69, s[16:17]
	v_cmp_ge_i32_e64 s[20:21], v70, v17
	s_waitcnt lgkmcnt(0)
	v_cmp_lt_i16_sdwa s[22:23], sext(v66), sext(v65) src0_sel:BYTE_0 src1_sel:BYTE_0
	v_cmp_lt_i32_e64 s[18:19], v69, v18
	s_or_b64 s[20:21], s[20:21], s[22:23]
	s_and_b64 s[18:19], s[18:19], s[20:21]
	s_xor_b64 s[20:21], s[18:19], -1
                                        ; implicit-def: $vgpr67
	s_and_saveexec_b64 s[22:23], s[20:21]
	s_xor_b64 s[20:21], exec, s[22:23]
	s_cbranch_execz .LBB76_28
; %bb.27:                               ;   in Loop: Header=BB76_2 Depth=1
	ds_read_u8 v67, v70 offset:1
.LBB76_28:                              ;   in Loop: Header=BB76_2 Depth=1
	s_or_saveexec_b64 s[20:21], s[20:21]
	v_mov_b32_e32 v68, v66
	s_xor_b64 exec, exec, s[20:21]
	s_cbranch_execz .LBB76_30
; %bb.29:                               ;   in Loop: Header=BB76_2 Depth=1
	ds_read_u8 v68, v69 offset:1
	s_waitcnt lgkmcnt(1)
	v_mov_b32_e32 v67, v65
.LBB76_30:                              ;   in Loop: Header=BB76_2 Depth=1
	s_or_b64 exec, exec, s[20:21]
	v_add_u32_e32 v72, 1, v70
	v_add_u32_e32 v71, 1, v69
	v_cndmask_b32_e64 v70, v72, v70, s[18:19]
	v_cndmask_b32_e64 v69, v69, v71, s[18:19]
	v_cmp_ge_i32_e64 s[22:23], v70, v17
	s_waitcnt lgkmcnt(0)
	v_cmp_lt_i16_sdwa s[36:37], sext(v68), sext(v67) src0_sel:BYTE_0 src1_sel:BYTE_0
	v_cmp_lt_i32_e64 s[20:21], v69, v18
	s_or_b64 s[22:23], s[22:23], s[36:37]
	s_and_b64 s[20:21], s[20:21], s[22:23]
	s_xor_b64 s[22:23], s[20:21], -1
                                        ; implicit-def: $vgpr71
	s_and_saveexec_b64 s[36:37], s[22:23]
	s_xor_b64 s[22:23], exec, s[36:37]
	s_cbranch_execz .LBB76_32
; %bb.31:                               ;   in Loop: Header=BB76_2 Depth=1
	ds_read_u8 v71, v70 offset:1
.LBB76_32:                              ;   in Loop: Header=BB76_2 Depth=1
	s_or_saveexec_b64 s[22:23], s[22:23]
	v_mov_b32_e32 v72, v68
	s_xor_b64 exec, exec, s[22:23]
	s_cbranch_execz .LBB76_34
; %bb.33:                               ;   in Loop: Header=BB76_2 Depth=1
	ds_read_u8 v72, v69 offset:1
	s_waitcnt lgkmcnt(1)
	v_mov_b32_e32 v71, v67
.LBB76_34:                              ;   in Loop: Header=BB76_2 Depth=1
	s_or_b64 exec, exec, s[22:23]
	v_cndmask_b32_e64 v67, v67, v68, s[20:21]
	v_add_u32_e32 v68, 1, v69
	v_add_u32_e32 v73, 1, v70
	v_cndmask_b32_e64 v68, v69, v68, s[20:21]
	v_cndmask_b32_e64 v69, v73, v70, s[20:21]
	;; [unrolled: 1-line block ×3, first 2 shown]
	v_cmp_ge_i32_e64 s[18:19], v69, v17
	s_waitcnt lgkmcnt(0)
	v_cmp_lt_i16_sdwa s[20:21], sext(v72), sext(v71) src0_sel:BYTE_0 src1_sel:BYTE_0
	v_cndmask_b32_e64 v63, v63, v64, s[16:17]
	v_cmp_lt_i32_e64 s[16:17], v68, v18
	s_or_b64 s[18:19], s[18:19], s[20:21]
	s_and_b64 s[16:17], s[16:17], s[18:19]
	v_cndmask_b32_e64 v64, v71, v72, s[16:17]
	s_barrier
	ds_write_b8 v2, v63
	ds_write_b8 v2, v65 offset:1
	ds_write_b8 v2, v67 offset:2
	;; [unrolled: 1-line block ×3, first 2 shown]
	v_mov_b32_e32 v63, v40
	s_waitcnt lgkmcnt(0)
	s_barrier
	s_and_saveexec_b64 s[18:19], s[2:3]
	s_cbranch_execz .LBB76_38
; %bb.35:                               ;   in Loop: Header=BB76_2 Depth=1
	s_mov_b64 s[20:21], 0
	v_mov_b32_e32 v63, v40
	v_mov_b32_e32 v64, v34
.LBB76_36:                              ;   Parent Loop BB76_2 Depth=1
                                        ; =>  This Inner Loop Header: Depth=2
	v_sub_u32_e32 v65, v64, v63
	v_lshrrev_b32_e32 v66, 31, v65
	v_add_u32_e32 v65, v65, v66
	v_ashrrev_i32_e32 v65, 1, v65
	v_add_u32_e32 v65, v65, v63
	v_not_b32_e32 v67, v65
	v_add_u32_e32 v66, v7, v65
	v_add3_u32 v67, v8, v67, v19
	ds_read_i8 v66, v66
	ds_read_i8 v67, v67
	v_add_u32_e32 v68, 1, v65
	s_waitcnt lgkmcnt(0)
	v_cmp_lt_i16_e64 s[16:17], v67, v66
	s_nop 1
	v_cndmask_b32_e64 v64, v64, v65, s[16:17]
	v_cndmask_b32_e64 v63, v68, v63, s[16:17]
	v_cmp_ge_i32_e64 s[16:17], v63, v64
	s_or_b64 s[20:21], s[16:17], s[20:21]
	s_andn2_b64 exec, exec, s[20:21]
	s_cbranch_execnz .LBB76_36
; %bb.37:                               ;   in Loop: Header=BB76_2 Depth=1
	s_or_b64 exec, exec, s[20:21]
.LBB76_38:                              ;   in Loop: Header=BB76_2 Depth=1
	s_or_b64 exec, exec, s[18:19]
	v_add_u32_e32 v67, v63, v7
	v_sub_u32_e32 v68, v29, v63
	ds_read_u8 v63, v67
	ds_read_u8 v64, v68
	v_cmp_le_i32_e64 s[18:19], v19, v67
	v_cmp_gt_i32_e64 s[16:17], v20, v68
                                        ; implicit-def: $vgpr65
	s_waitcnt lgkmcnt(1)
	v_bfe_i32 v63, v63, 0, 8
	s_waitcnt lgkmcnt(0)
	v_bfe_i32 v64, v64, 0, 8
	v_cmp_lt_i16_e64 s[20:21], v64, v63
	s_or_b64 s[18:19], s[18:19], s[20:21]
	s_and_b64 s[16:17], s[16:17], s[18:19]
	s_xor_b64 s[18:19], s[16:17], -1
	s_and_saveexec_b64 s[20:21], s[18:19]
	s_xor_b64 s[18:19], exec, s[20:21]
	s_cbranch_execz .LBB76_40
; %bb.39:                               ;   in Loop: Header=BB76_2 Depth=1
	ds_read_u8 v65, v67 offset:1
.LBB76_40:                              ;   in Loop: Header=BB76_2 Depth=1
	s_or_saveexec_b64 s[18:19], s[18:19]
	v_mov_b32_e32 v66, v64
	s_xor_b64 exec, exec, s[18:19]
	s_cbranch_execz .LBB76_42
; %bb.41:                               ;   in Loop: Header=BB76_2 Depth=1
	ds_read_u8 v66, v68 offset:1
	s_waitcnt lgkmcnt(1)
	v_mov_b32_e32 v65, v63
.LBB76_42:                              ;   in Loop: Header=BB76_2 Depth=1
	s_or_b64 exec, exec, s[18:19]
	v_add_u32_e32 v70, 1, v67
	v_add_u32_e32 v69, 1, v68
	v_cndmask_b32_e64 v70, v70, v67, s[16:17]
	v_cndmask_b32_e64 v69, v68, v69, s[16:17]
	v_cmp_ge_i32_e64 s[20:21], v70, v19
	s_waitcnt lgkmcnt(0)
	v_cmp_lt_i16_sdwa s[22:23], sext(v66), sext(v65) src0_sel:BYTE_0 src1_sel:BYTE_0
	v_cmp_lt_i32_e64 s[18:19], v69, v20
	s_or_b64 s[20:21], s[20:21], s[22:23]
	s_and_b64 s[18:19], s[18:19], s[20:21]
	s_xor_b64 s[20:21], s[18:19], -1
                                        ; implicit-def: $vgpr67
	s_and_saveexec_b64 s[22:23], s[20:21]
	s_xor_b64 s[20:21], exec, s[22:23]
	s_cbranch_execz .LBB76_44
; %bb.43:                               ;   in Loop: Header=BB76_2 Depth=1
	ds_read_u8 v67, v70 offset:1
.LBB76_44:                              ;   in Loop: Header=BB76_2 Depth=1
	s_or_saveexec_b64 s[20:21], s[20:21]
	v_mov_b32_e32 v68, v66
	s_xor_b64 exec, exec, s[20:21]
	s_cbranch_execz .LBB76_46
; %bb.45:                               ;   in Loop: Header=BB76_2 Depth=1
	ds_read_u8 v68, v69 offset:1
	s_waitcnt lgkmcnt(1)
	v_mov_b32_e32 v67, v65
.LBB76_46:                              ;   in Loop: Header=BB76_2 Depth=1
	s_or_b64 exec, exec, s[20:21]
	v_add_u32_e32 v72, 1, v70
	v_add_u32_e32 v71, 1, v69
	v_cndmask_b32_e64 v70, v72, v70, s[18:19]
	v_cndmask_b32_e64 v69, v69, v71, s[18:19]
	v_cmp_ge_i32_e64 s[22:23], v70, v19
	s_waitcnt lgkmcnt(0)
	v_cmp_lt_i16_sdwa s[36:37], sext(v68), sext(v67) src0_sel:BYTE_0 src1_sel:BYTE_0
	v_cmp_lt_i32_e64 s[20:21], v69, v20
	s_or_b64 s[22:23], s[22:23], s[36:37]
	s_and_b64 s[20:21], s[20:21], s[22:23]
	s_xor_b64 s[22:23], s[20:21], -1
                                        ; implicit-def: $vgpr71
	s_and_saveexec_b64 s[36:37], s[22:23]
	s_xor_b64 s[22:23], exec, s[36:37]
	s_cbranch_execz .LBB76_48
; %bb.47:                               ;   in Loop: Header=BB76_2 Depth=1
	ds_read_u8 v71, v70 offset:1
.LBB76_48:                              ;   in Loop: Header=BB76_2 Depth=1
	s_or_saveexec_b64 s[22:23], s[22:23]
	v_mov_b32_e32 v72, v68
	s_xor_b64 exec, exec, s[22:23]
	s_cbranch_execz .LBB76_50
; %bb.49:                               ;   in Loop: Header=BB76_2 Depth=1
	ds_read_u8 v72, v69 offset:1
	s_waitcnt lgkmcnt(1)
	v_mov_b32_e32 v71, v67
.LBB76_50:                              ;   in Loop: Header=BB76_2 Depth=1
	s_or_b64 exec, exec, s[22:23]
	v_cndmask_b32_e64 v67, v67, v68, s[20:21]
	v_add_u32_e32 v68, 1, v69
	v_add_u32_e32 v73, 1, v70
	v_cndmask_b32_e64 v68, v69, v68, s[20:21]
	v_cndmask_b32_e64 v69, v73, v70, s[20:21]
	;; [unrolled: 1-line block ×3, first 2 shown]
	v_cmp_ge_i32_e64 s[18:19], v69, v19
	s_waitcnt lgkmcnt(0)
	v_cmp_lt_i16_sdwa s[20:21], sext(v72), sext(v71) src0_sel:BYTE_0 src1_sel:BYTE_0
	v_cndmask_b32_e64 v63, v63, v64, s[16:17]
	v_cmp_lt_i32_e64 s[16:17], v68, v20
	s_or_b64 s[18:19], s[18:19], s[20:21]
	s_and_b64 s[16:17], s[16:17], s[18:19]
	v_cndmask_b32_e64 v64, v71, v72, s[16:17]
	s_barrier
	ds_write_b8 v2, v63
	ds_write_b8 v2, v65 offset:1
	ds_write_b8 v2, v67 offset:2
	;; [unrolled: 1-line block ×3, first 2 shown]
	v_mov_b32_e32 v63, v41
	s_waitcnt lgkmcnt(0)
	s_barrier
	s_and_saveexec_b64 s[18:19], s[4:5]
	s_cbranch_execz .LBB76_54
; %bb.51:                               ;   in Loop: Header=BB76_2 Depth=1
	s_mov_b64 s[20:21], 0
	v_mov_b32_e32 v63, v41
	v_mov_b32_e32 v64, v35
.LBB76_52:                              ;   Parent Loop BB76_2 Depth=1
                                        ; =>  This Inner Loop Header: Depth=2
	v_sub_u32_e32 v65, v64, v63
	v_lshrrev_b32_e32 v66, 31, v65
	v_add_u32_e32 v65, v65, v66
	v_ashrrev_i32_e32 v65, 1, v65
	v_add_u32_e32 v65, v65, v63
	v_not_b32_e32 v67, v65
	v_add_u32_e32 v66, v9, v65
	v_add3_u32 v67, v10, v67, v21
	ds_read_i8 v66, v66
	ds_read_i8 v67, v67
	v_add_u32_e32 v68, 1, v65
	s_waitcnt lgkmcnt(0)
	v_cmp_lt_i16_e64 s[16:17], v67, v66
	s_nop 1
	v_cndmask_b32_e64 v64, v64, v65, s[16:17]
	v_cndmask_b32_e64 v63, v68, v63, s[16:17]
	v_cmp_ge_i32_e64 s[16:17], v63, v64
	s_or_b64 s[20:21], s[16:17], s[20:21]
	s_andn2_b64 exec, exec, s[20:21]
	s_cbranch_execnz .LBB76_52
; %bb.53:                               ;   in Loop: Header=BB76_2 Depth=1
	s_or_b64 exec, exec, s[20:21]
.LBB76_54:                              ;   in Loop: Header=BB76_2 Depth=1
	s_or_b64 exec, exec, s[18:19]
	v_add_u32_e32 v67, v63, v9
	v_sub_u32_e32 v68, v30, v63
	ds_read_u8 v63, v67
	ds_read_u8 v64, v68
	v_cmp_le_i32_e64 s[18:19], v21, v67
	v_cmp_gt_i32_e64 s[16:17], v22, v68
                                        ; implicit-def: $vgpr65
	s_waitcnt lgkmcnt(1)
	v_bfe_i32 v63, v63, 0, 8
	s_waitcnt lgkmcnt(0)
	v_bfe_i32 v64, v64, 0, 8
	v_cmp_lt_i16_e64 s[20:21], v64, v63
	s_or_b64 s[18:19], s[18:19], s[20:21]
	s_and_b64 s[16:17], s[16:17], s[18:19]
	s_xor_b64 s[18:19], s[16:17], -1
	s_and_saveexec_b64 s[20:21], s[18:19]
	s_xor_b64 s[18:19], exec, s[20:21]
	s_cbranch_execz .LBB76_56
; %bb.55:                               ;   in Loop: Header=BB76_2 Depth=1
	ds_read_u8 v65, v67 offset:1
.LBB76_56:                              ;   in Loop: Header=BB76_2 Depth=1
	s_or_saveexec_b64 s[18:19], s[18:19]
	v_mov_b32_e32 v66, v64
	s_xor_b64 exec, exec, s[18:19]
	s_cbranch_execz .LBB76_58
; %bb.57:                               ;   in Loop: Header=BB76_2 Depth=1
	ds_read_u8 v66, v68 offset:1
	s_waitcnt lgkmcnt(1)
	v_mov_b32_e32 v65, v63
.LBB76_58:                              ;   in Loop: Header=BB76_2 Depth=1
	s_or_b64 exec, exec, s[18:19]
	v_add_u32_e32 v70, 1, v67
	v_add_u32_e32 v69, 1, v68
	v_cndmask_b32_e64 v70, v70, v67, s[16:17]
	v_cndmask_b32_e64 v69, v68, v69, s[16:17]
	v_cmp_ge_i32_e64 s[20:21], v70, v21
	s_waitcnt lgkmcnt(0)
	v_cmp_lt_i16_sdwa s[22:23], sext(v66), sext(v65) src0_sel:BYTE_0 src1_sel:BYTE_0
	v_cmp_lt_i32_e64 s[18:19], v69, v22
	s_or_b64 s[20:21], s[20:21], s[22:23]
	s_and_b64 s[18:19], s[18:19], s[20:21]
	s_xor_b64 s[20:21], s[18:19], -1
                                        ; implicit-def: $vgpr67
	s_and_saveexec_b64 s[22:23], s[20:21]
	s_xor_b64 s[20:21], exec, s[22:23]
	s_cbranch_execz .LBB76_60
; %bb.59:                               ;   in Loop: Header=BB76_2 Depth=1
	ds_read_u8 v67, v70 offset:1
.LBB76_60:                              ;   in Loop: Header=BB76_2 Depth=1
	s_or_saveexec_b64 s[20:21], s[20:21]
	v_mov_b32_e32 v68, v66
	s_xor_b64 exec, exec, s[20:21]
	s_cbranch_execz .LBB76_62
; %bb.61:                               ;   in Loop: Header=BB76_2 Depth=1
	ds_read_u8 v68, v69 offset:1
	s_waitcnt lgkmcnt(1)
	v_mov_b32_e32 v67, v65
.LBB76_62:                              ;   in Loop: Header=BB76_2 Depth=1
	s_or_b64 exec, exec, s[20:21]
	v_add_u32_e32 v72, 1, v70
	v_add_u32_e32 v71, 1, v69
	v_cndmask_b32_e64 v70, v72, v70, s[18:19]
	v_cndmask_b32_e64 v69, v69, v71, s[18:19]
	v_cmp_ge_i32_e64 s[22:23], v70, v21
	s_waitcnt lgkmcnt(0)
	v_cmp_lt_i16_sdwa s[36:37], sext(v68), sext(v67) src0_sel:BYTE_0 src1_sel:BYTE_0
	v_cmp_lt_i32_e64 s[20:21], v69, v22
	s_or_b64 s[22:23], s[22:23], s[36:37]
	s_and_b64 s[20:21], s[20:21], s[22:23]
	s_xor_b64 s[22:23], s[20:21], -1
                                        ; implicit-def: $vgpr71
	s_and_saveexec_b64 s[36:37], s[22:23]
	s_xor_b64 s[22:23], exec, s[36:37]
	s_cbranch_execz .LBB76_64
; %bb.63:                               ;   in Loop: Header=BB76_2 Depth=1
	ds_read_u8 v71, v70 offset:1
.LBB76_64:                              ;   in Loop: Header=BB76_2 Depth=1
	s_or_saveexec_b64 s[22:23], s[22:23]
	v_mov_b32_e32 v72, v68
	s_xor_b64 exec, exec, s[22:23]
	s_cbranch_execz .LBB76_66
; %bb.65:                               ;   in Loop: Header=BB76_2 Depth=1
	ds_read_u8 v72, v69 offset:1
	s_waitcnt lgkmcnt(1)
	v_mov_b32_e32 v71, v67
.LBB76_66:                              ;   in Loop: Header=BB76_2 Depth=1
	s_or_b64 exec, exec, s[22:23]
	v_cndmask_b32_e64 v67, v67, v68, s[20:21]
	v_add_u32_e32 v68, 1, v69
	v_add_u32_e32 v73, 1, v70
	v_cndmask_b32_e64 v68, v69, v68, s[20:21]
	v_cndmask_b32_e64 v69, v73, v70, s[20:21]
	;; [unrolled: 1-line block ×3, first 2 shown]
	v_cmp_ge_i32_e64 s[18:19], v69, v21
	s_waitcnt lgkmcnt(0)
	v_cmp_lt_i16_sdwa s[20:21], sext(v72), sext(v71) src0_sel:BYTE_0 src1_sel:BYTE_0
	v_cndmask_b32_e64 v63, v63, v64, s[16:17]
	v_cmp_lt_i32_e64 s[16:17], v68, v22
	s_or_b64 s[18:19], s[18:19], s[20:21]
	s_and_b64 s[16:17], s[16:17], s[18:19]
	v_cndmask_b32_e64 v64, v71, v72, s[16:17]
	s_barrier
	ds_write_b8 v2, v63
	ds_write_b8 v2, v65 offset:1
	ds_write_b8 v2, v67 offset:2
	;; [unrolled: 1-line block ×3, first 2 shown]
	v_mov_b32_e32 v63, v42
	s_waitcnt lgkmcnt(0)
	s_barrier
	s_and_saveexec_b64 s[18:19], s[6:7]
	s_cbranch_execz .LBB76_70
; %bb.67:                               ;   in Loop: Header=BB76_2 Depth=1
	s_mov_b64 s[20:21], 0
	v_mov_b32_e32 v63, v42
	v_mov_b32_e32 v64, v36
.LBB76_68:                              ;   Parent Loop BB76_2 Depth=1
                                        ; =>  This Inner Loop Header: Depth=2
	v_sub_u32_e32 v65, v64, v63
	v_lshrrev_b32_e32 v66, 31, v65
	v_add_u32_e32 v65, v65, v66
	v_ashrrev_i32_e32 v65, 1, v65
	v_add_u32_e32 v65, v65, v63
	v_not_b32_e32 v67, v65
	v_add_u32_e32 v66, v11, v65
	v_add3_u32 v67, v12, v67, v23
	ds_read_i8 v66, v66
	ds_read_i8 v67, v67
	v_add_u32_e32 v68, 1, v65
	s_waitcnt lgkmcnt(0)
	v_cmp_lt_i16_e64 s[16:17], v67, v66
	s_nop 1
	v_cndmask_b32_e64 v64, v64, v65, s[16:17]
	v_cndmask_b32_e64 v63, v68, v63, s[16:17]
	v_cmp_ge_i32_e64 s[16:17], v63, v64
	s_or_b64 s[20:21], s[16:17], s[20:21]
	s_andn2_b64 exec, exec, s[20:21]
	s_cbranch_execnz .LBB76_68
; %bb.69:                               ;   in Loop: Header=BB76_2 Depth=1
	s_or_b64 exec, exec, s[20:21]
.LBB76_70:                              ;   in Loop: Header=BB76_2 Depth=1
	s_or_b64 exec, exec, s[18:19]
	v_add_u32_e32 v67, v63, v11
	v_sub_u32_e32 v68, v31, v63
	ds_read_u8 v63, v67
	ds_read_u8 v64, v68
	v_cmp_le_i32_e64 s[18:19], v23, v67
	v_cmp_gt_i32_e64 s[16:17], v24, v68
                                        ; implicit-def: $vgpr65
	s_waitcnt lgkmcnt(1)
	v_bfe_i32 v63, v63, 0, 8
	s_waitcnt lgkmcnt(0)
	v_bfe_i32 v64, v64, 0, 8
	v_cmp_lt_i16_e64 s[20:21], v64, v63
	s_or_b64 s[18:19], s[18:19], s[20:21]
	s_and_b64 s[16:17], s[16:17], s[18:19]
	s_xor_b64 s[18:19], s[16:17], -1
	s_and_saveexec_b64 s[20:21], s[18:19]
	s_xor_b64 s[18:19], exec, s[20:21]
	s_cbranch_execz .LBB76_72
; %bb.71:                               ;   in Loop: Header=BB76_2 Depth=1
	ds_read_u8 v65, v67 offset:1
.LBB76_72:                              ;   in Loop: Header=BB76_2 Depth=1
	s_or_saveexec_b64 s[18:19], s[18:19]
	v_mov_b32_e32 v66, v64
	s_xor_b64 exec, exec, s[18:19]
	s_cbranch_execz .LBB76_74
; %bb.73:                               ;   in Loop: Header=BB76_2 Depth=1
	ds_read_u8 v66, v68 offset:1
	s_waitcnt lgkmcnt(1)
	v_mov_b32_e32 v65, v63
.LBB76_74:                              ;   in Loop: Header=BB76_2 Depth=1
	s_or_b64 exec, exec, s[18:19]
	v_add_u32_e32 v70, 1, v67
	v_add_u32_e32 v69, 1, v68
	v_cndmask_b32_e64 v70, v70, v67, s[16:17]
	v_cndmask_b32_e64 v69, v68, v69, s[16:17]
	v_cmp_ge_i32_e64 s[20:21], v70, v23
	s_waitcnt lgkmcnt(0)
	v_cmp_lt_i16_sdwa s[22:23], sext(v66), sext(v65) src0_sel:BYTE_0 src1_sel:BYTE_0
	v_cmp_lt_i32_e64 s[18:19], v69, v24
	s_or_b64 s[20:21], s[20:21], s[22:23]
	s_and_b64 s[18:19], s[18:19], s[20:21]
	s_xor_b64 s[20:21], s[18:19], -1
                                        ; implicit-def: $vgpr67
	s_and_saveexec_b64 s[22:23], s[20:21]
	s_xor_b64 s[20:21], exec, s[22:23]
	s_cbranch_execz .LBB76_76
; %bb.75:                               ;   in Loop: Header=BB76_2 Depth=1
	ds_read_u8 v67, v70 offset:1
.LBB76_76:                              ;   in Loop: Header=BB76_2 Depth=1
	s_or_saveexec_b64 s[20:21], s[20:21]
	v_mov_b32_e32 v68, v66
	s_xor_b64 exec, exec, s[20:21]
	s_cbranch_execz .LBB76_78
; %bb.77:                               ;   in Loop: Header=BB76_2 Depth=1
	ds_read_u8 v68, v69 offset:1
	s_waitcnt lgkmcnt(1)
	v_mov_b32_e32 v67, v65
.LBB76_78:                              ;   in Loop: Header=BB76_2 Depth=1
	s_or_b64 exec, exec, s[20:21]
	v_add_u32_e32 v72, 1, v70
	v_add_u32_e32 v71, 1, v69
	v_cndmask_b32_e64 v70, v72, v70, s[18:19]
	v_cndmask_b32_e64 v69, v69, v71, s[18:19]
	v_cmp_ge_i32_e64 s[22:23], v70, v23
	s_waitcnt lgkmcnt(0)
	v_cmp_lt_i16_sdwa s[36:37], sext(v68), sext(v67) src0_sel:BYTE_0 src1_sel:BYTE_0
	v_cmp_lt_i32_e64 s[20:21], v69, v24
	s_or_b64 s[22:23], s[22:23], s[36:37]
	s_and_b64 s[20:21], s[20:21], s[22:23]
	s_xor_b64 s[22:23], s[20:21], -1
                                        ; implicit-def: $vgpr71
	s_and_saveexec_b64 s[36:37], s[22:23]
	s_xor_b64 s[22:23], exec, s[36:37]
	s_cbranch_execz .LBB76_80
; %bb.79:                               ;   in Loop: Header=BB76_2 Depth=1
	ds_read_u8 v71, v70 offset:1
.LBB76_80:                              ;   in Loop: Header=BB76_2 Depth=1
	s_or_saveexec_b64 s[22:23], s[22:23]
	v_mov_b32_e32 v72, v68
	s_xor_b64 exec, exec, s[22:23]
	s_cbranch_execz .LBB76_82
; %bb.81:                               ;   in Loop: Header=BB76_2 Depth=1
	ds_read_u8 v72, v69 offset:1
	s_waitcnt lgkmcnt(1)
	v_mov_b32_e32 v71, v67
.LBB76_82:                              ;   in Loop: Header=BB76_2 Depth=1
	s_or_b64 exec, exec, s[22:23]
	v_cndmask_b32_e64 v67, v67, v68, s[20:21]
	v_add_u32_e32 v68, 1, v69
	v_add_u32_e32 v73, 1, v70
	v_cndmask_b32_e64 v68, v69, v68, s[20:21]
	v_cndmask_b32_e64 v69, v73, v70, s[20:21]
	;; [unrolled: 1-line block ×3, first 2 shown]
	v_cmp_ge_i32_e64 s[18:19], v69, v23
	s_waitcnt lgkmcnt(0)
	v_cmp_lt_i16_sdwa s[20:21], sext(v72), sext(v71) src0_sel:BYTE_0 src1_sel:BYTE_0
	v_cndmask_b32_e64 v63, v63, v64, s[16:17]
	v_cmp_lt_i32_e64 s[16:17], v68, v24
	s_or_b64 s[18:19], s[18:19], s[20:21]
	s_and_b64 s[16:17], s[16:17], s[18:19]
	v_cndmask_b32_e64 v64, v71, v72, s[16:17]
	s_barrier
	ds_write_b8 v2, v63
	ds_write_b8 v2, v65 offset:1
	ds_write_b8 v2, v67 offset:2
	ds_write_b8 v2, v64 offset:3
	v_mov_b32_e32 v63, v43
	s_waitcnt lgkmcnt(0)
	s_barrier
	s_and_saveexec_b64 s[18:19], s[8:9]
	s_cbranch_execz .LBB76_86
; %bb.83:                               ;   in Loop: Header=BB76_2 Depth=1
	s_mov_b64 s[20:21], 0
	v_mov_b32_e32 v63, v43
	v_mov_b32_e32 v64, v37
.LBB76_84:                              ;   Parent Loop BB76_2 Depth=1
                                        ; =>  This Inner Loop Header: Depth=2
	v_sub_u32_e32 v65, v64, v63
	v_lshrrev_b32_e32 v66, 31, v65
	v_add_u32_e32 v65, v65, v66
	v_ashrrev_i32_e32 v65, 1, v65
	v_add_u32_e32 v65, v65, v63
	v_not_b32_e32 v67, v65
	v_add_u32_e32 v66, v13, v65
	v_add3_u32 v67, v14, v67, v25
	ds_read_i8 v66, v66
	ds_read_i8 v67, v67
	v_add_u32_e32 v68, 1, v65
	s_waitcnt lgkmcnt(0)
	v_cmp_lt_i16_e64 s[16:17], v67, v66
	s_nop 1
	v_cndmask_b32_e64 v64, v64, v65, s[16:17]
	v_cndmask_b32_e64 v63, v68, v63, s[16:17]
	v_cmp_ge_i32_e64 s[16:17], v63, v64
	s_or_b64 s[20:21], s[16:17], s[20:21]
	s_andn2_b64 exec, exec, s[20:21]
	s_cbranch_execnz .LBB76_84
; %bb.85:                               ;   in Loop: Header=BB76_2 Depth=1
	s_or_b64 exec, exec, s[20:21]
.LBB76_86:                              ;   in Loop: Header=BB76_2 Depth=1
	s_or_b64 exec, exec, s[18:19]
	v_add_u32_e32 v67, v63, v13
	v_sub_u32_e32 v68, v59, v63
	ds_read_u8 v63, v67
	ds_read_u8 v64, v68
	v_cmp_le_i32_e64 s[18:19], v25, v67
	v_cmp_gt_i32_e64 s[16:17], v26, v68
                                        ; implicit-def: $vgpr65
	s_waitcnt lgkmcnt(1)
	v_bfe_i32 v63, v63, 0, 8
	s_waitcnt lgkmcnt(0)
	v_bfe_i32 v64, v64, 0, 8
	v_cmp_lt_i16_e64 s[20:21], v64, v63
	s_or_b64 s[18:19], s[18:19], s[20:21]
	s_and_b64 s[16:17], s[16:17], s[18:19]
	s_xor_b64 s[18:19], s[16:17], -1
	s_and_saveexec_b64 s[20:21], s[18:19]
	s_xor_b64 s[18:19], exec, s[20:21]
	s_cbranch_execz .LBB76_88
; %bb.87:                               ;   in Loop: Header=BB76_2 Depth=1
	ds_read_u8 v65, v67 offset:1
.LBB76_88:                              ;   in Loop: Header=BB76_2 Depth=1
	s_or_saveexec_b64 s[18:19], s[18:19]
	v_mov_b32_e32 v66, v64
	s_xor_b64 exec, exec, s[18:19]
	s_cbranch_execz .LBB76_90
; %bb.89:                               ;   in Loop: Header=BB76_2 Depth=1
	ds_read_u8 v66, v68 offset:1
	s_waitcnt lgkmcnt(1)
	v_mov_b32_e32 v65, v63
.LBB76_90:                              ;   in Loop: Header=BB76_2 Depth=1
	s_or_b64 exec, exec, s[18:19]
	v_add_u32_e32 v70, 1, v67
	v_add_u32_e32 v69, 1, v68
	v_cndmask_b32_e64 v70, v70, v67, s[16:17]
	v_cndmask_b32_e64 v69, v68, v69, s[16:17]
	v_cmp_ge_i32_e64 s[20:21], v70, v25
	s_waitcnt lgkmcnt(0)
	v_cmp_lt_i16_sdwa s[22:23], sext(v66), sext(v65) src0_sel:BYTE_0 src1_sel:BYTE_0
	v_cmp_lt_i32_e64 s[18:19], v69, v26
	s_or_b64 s[20:21], s[20:21], s[22:23]
	s_and_b64 s[18:19], s[18:19], s[20:21]
	s_xor_b64 s[20:21], s[18:19], -1
                                        ; implicit-def: $vgpr67
	s_and_saveexec_b64 s[22:23], s[20:21]
	s_xor_b64 s[20:21], exec, s[22:23]
	s_cbranch_execz .LBB76_92
; %bb.91:                               ;   in Loop: Header=BB76_2 Depth=1
	ds_read_u8 v67, v70 offset:1
.LBB76_92:                              ;   in Loop: Header=BB76_2 Depth=1
	s_or_saveexec_b64 s[20:21], s[20:21]
	v_mov_b32_e32 v68, v66
	s_xor_b64 exec, exec, s[20:21]
	s_cbranch_execz .LBB76_94
; %bb.93:                               ;   in Loop: Header=BB76_2 Depth=1
	ds_read_u8 v68, v69 offset:1
	s_waitcnt lgkmcnt(1)
	v_mov_b32_e32 v67, v65
.LBB76_94:                              ;   in Loop: Header=BB76_2 Depth=1
	s_or_b64 exec, exec, s[20:21]
	v_add_u32_e32 v72, 1, v70
	v_add_u32_e32 v71, 1, v69
	v_cndmask_b32_e64 v70, v72, v70, s[18:19]
	v_cndmask_b32_e64 v69, v69, v71, s[18:19]
	v_cmp_ge_i32_e64 s[22:23], v70, v25
	s_waitcnt lgkmcnt(0)
	v_cmp_lt_i16_sdwa s[36:37], sext(v68), sext(v67) src0_sel:BYTE_0 src1_sel:BYTE_0
	v_cmp_lt_i32_e64 s[20:21], v69, v26
	s_or_b64 s[22:23], s[22:23], s[36:37]
	s_and_b64 s[20:21], s[20:21], s[22:23]
	s_xor_b64 s[22:23], s[20:21], -1
                                        ; implicit-def: $vgpr71
	s_and_saveexec_b64 s[36:37], s[22:23]
	s_xor_b64 s[22:23], exec, s[36:37]
	s_cbranch_execz .LBB76_96
; %bb.95:                               ;   in Loop: Header=BB76_2 Depth=1
	ds_read_u8 v71, v70 offset:1
.LBB76_96:                              ;   in Loop: Header=BB76_2 Depth=1
	s_or_saveexec_b64 s[22:23], s[22:23]
	v_mov_b32_e32 v72, v68
	s_xor_b64 exec, exec, s[22:23]
	s_cbranch_execz .LBB76_98
; %bb.97:                               ;   in Loop: Header=BB76_2 Depth=1
	ds_read_u8 v72, v69 offset:1
	s_waitcnt lgkmcnt(1)
	v_mov_b32_e32 v71, v67
.LBB76_98:                              ;   in Loop: Header=BB76_2 Depth=1
	s_or_b64 exec, exec, s[22:23]
	v_cndmask_b32_e64 v67, v67, v68, s[20:21]
	v_add_u32_e32 v68, 1, v69
	v_add_u32_e32 v73, 1, v70
	v_cndmask_b32_e64 v68, v69, v68, s[20:21]
	v_cndmask_b32_e64 v69, v73, v70, s[20:21]
	;; [unrolled: 1-line block ×3, first 2 shown]
	v_cmp_ge_i32_e64 s[18:19], v69, v25
	s_waitcnt lgkmcnt(0)
	v_cmp_lt_i16_sdwa s[20:21], sext(v72), sext(v71) src0_sel:BYTE_0 src1_sel:BYTE_0
	v_cndmask_b32_e64 v63, v63, v64, s[16:17]
	v_cmp_lt_i32_e64 s[16:17], v68, v26
	s_or_b64 s[18:19], s[18:19], s[20:21]
	s_and_b64 s[16:17], s[16:17], s[18:19]
	v_cndmask_b32_e64 v64, v71, v72, s[16:17]
	s_barrier
	ds_write_b8 v2, v63
	ds_write_b8 v2, v65 offset:1
	ds_write_b8 v2, v67 offset:2
	;; [unrolled: 1-line block ×3, first 2 shown]
	v_mov_b32_e32 v63, v48
	s_waitcnt lgkmcnt(0)
	s_barrier
	s_and_saveexec_b64 s[18:19], s[10:11]
	s_cbranch_execz .LBB76_102
; %bb.99:                               ;   in Loop: Header=BB76_2 Depth=1
	s_mov_b64 s[20:21], 0
	v_mov_b32_e32 v63, v48
	v_mov_b32_e32 v64, v49
.LBB76_100:                             ;   Parent Loop BB76_2 Depth=1
                                        ; =>  This Inner Loop Header: Depth=2
	v_sub_u32_e32 v65, v64, v63
	v_lshrrev_b32_e32 v66, 31, v65
	v_add_u32_e32 v65, v65, v66
	v_ashrrev_i32_e32 v65, 1, v65
	v_add_u32_e32 v65, v65, v63
	v_not_b32_e32 v67, v65
	v_add_u32_e32 v66, v44, v65
	v_add3_u32 v67, v45, v67, v46
	ds_read_i8 v66, v66
	ds_read_i8 v67, v67
	v_add_u32_e32 v68, 1, v65
	s_waitcnt lgkmcnt(0)
	v_cmp_lt_i16_e64 s[16:17], v67, v66
	s_nop 1
	v_cndmask_b32_e64 v64, v64, v65, s[16:17]
	v_cndmask_b32_e64 v63, v68, v63, s[16:17]
	v_cmp_ge_i32_e64 s[16:17], v63, v64
	s_or_b64 s[20:21], s[16:17], s[20:21]
	s_andn2_b64 exec, exec, s[20:21]
	s_cbranch_execnz .LBB76_100
; %bb.101:                              ;   in Loop: Header=BB76_2 Depth=1
	s_or_b64 exec, exec, s[20:21]
.LBB76_102:                             ;   in Loop: Header=BB76_2 Depth=1
	s_or_b64 exec, exec, s[18:19]
	v_add_u32_e32 v67, v63, v44
	v_sub_u32_e32 v68, v60, v63
	ds_read_u8 v63, v67
	ds_read_u8 v64, v68
	v_cmp_le_i32_e64 s[18:19], v46, v67
	v_cmp_gt_i32_e64 s[16:17], v47, v68
                                        ; implicit-def: $vgpr65
	s_waitcnt lgkmcnt(1)
	v_bfe_i32 v63, v63, 0, 8
	s_waitcnt lgkmcnt(0)
	v_bfe_i32 v64, v64, 0, 8
	v_cmp_lt_i16_e64 s[20:21], v64, v63
	s_or_b64 s[18:19], s[18:19], s[20:21]
	s_and_b64 s[16:17], s[16:17], s[18:19]
	s_xor_b64 s[18:19], s[16:17], -1
	s_and_saveexec_b64 s[20:21], s[18:19]
	s_xor_b64 s[18:19], exec, s[20:21]
	s_cbranch_execz .LBB76_104
; %bb.103:                              ;   in Loop: Header=BB76_2 Depth=1
	ds_read_u8 v65, v67 offset:1
.LBB76_104:                             ;   in Loop: Header=BB76_2 Depth=1
	s_or_saveexec_b64 s[18:19], s[18:19]
	v_mov_b32_e32 v66, v64
	s_xor_b64 exec, exec, s[18:19]
	s_cbranch_execz .LBB76_106
; %bb.105:                              ;   in Loop: Header=BB76_2 Depth=1
	ds_read_u8 v66, v68 offset:1
	s_waitcnt lgkmcnt(1)
	v_mov_b32_e32 v65, v63
.LBB76_106:                             ;   in Loop: Header=BB76_2 Depth=1
	s_or_b64 exec, exec, s[18:19]
	v_add_u32_e32 v70, 1, v67
	v_add_u32_e32 v69, 1, v68
	v_cndmask_b32_e64 v70, v70, v67, s[16:17]
	v_cndmask_b32_e64 v69, v68, v69, s[16:17]
	v_cmp_ge_i32_e64 s[20:21], v70, v46
	s_waitcnt lgkmcnt(0)
	v_cmp_lt_i16_sdwa s[22:23], sext(v66), sext(v65) src0_sel:BYTE_0 src1_sel:BYTE_0
	v_cmp_lt_i32_e64 s[18:19], v69, v47
	s_or_b64 s[20:21], s[20:21], s[22:23]
	s_and_b64 s[18:19], s[18:19], s[20:21]
	s_xor_b64 s[20:21], s[18:19], -1
                                        ; implicit-def: $vgpr67
	s_and_saveexec_b64 s[22:23], s[20:21]
	s_xor_b64 s[20:21], exec, s[22:23]
	s_cbranch_execz .LBB76_108
; %bb.107:                              ;   in Loop: Header=BB76_2 Depth=1
	ds_read_u8 v67, v70 offset:1
.LBB76_108:                             ;   in Loop: Header=BB76_2 Depth=1
	s_or_saveexec_b64 s[20:21], s[20:21]
	v_mov_b32_e32 v68, v66
	s_xor_b64 exec, exec, s[20:21]
	s_cbranch_execz .LBB76_110
; %bb.109:                              ;   in Loop: Header=BB76_2 Depth=1
	ds_read_u8 v68, v69 offset:1
	s_waitcnt lgkmcnt(1)
	v_mov_b32_e32 v67, v65
.LBB76_110:                             ;   in Loop: Header=BB76_2 Depth=1
	s_or_b64 exec, exec, s[20:21]
	v_add_u32_e32 v72, 1, v70
	v_add_u32_e32 v71, 1, v69
	v_cndmask_b32_e64 v70, v72, v70, s[18:19]
	v_cndmask_b32_e64 v69, v69, v71, s[18:19]
	v_cmp_ge_i32_e64 s[22:23], v70, v46
	s_waitcnt lgkmcnt(0)
	v_cmp_lt_i16_sdwa s[36:37], sext(v68), sext(v67) src0_sel:BYTE_0 src1_sel:BYTE_0
	v_cmp_lt_i32_e64 s[20:21], v69, v47
	s_or_b64 s[22:23], s[22:23], s[36:37]
	s_and_b64 s[20:21], s[20:21], s[22:23]
	s_xor_b64 s[22:23], s[20:21], -1
                                        ; implicit-def: $vgpr71
	s_and_saveexec_b64 s[36:37], s[22:23]
	s_xor_b64 s[22:23], exec, s[36:37]
	s_cbranch_execz .LBB76_112
; %bb.111:                              ;   in Loop: Header=BB76_2 Depth=1
	ds_read_u8 v71, v70 offset:1
.LBB76_112:                             ;   in Loop: Header=BB76_2 Depth=1
	s_or_saveexec_b64 s[22:23], s[22:23]
	v_mov_b32_e32 v72, v68
	s_xor_b64 exec, exec, s[22:23]
	s_cbranch_execz .LBB76_114
; %bb.113:                              ;   in Loop: Header=BB76_2 Depth=1
	ds_read_u8 v72, v69 offset:1
	s_waitcnt lgkmcnt(1)
	v_mov_b32_e32 v71, v67
.LBB76_114:                             ;   in Loop: Header=BB76_2 Depth=1
	s_or_b64 exec, exec, s[22:23]
	v_cndmask_b32_e64 v67, v67, v68, s[20:21]
	v_add_u32_e32 v68, 1, v69
	v_add_u32_e32 v73, 1, v70
	v_cndmask_b32_e64 v68, v69, v68, s[20:21]
	v_cndmask_b32_e64 v69, v73, v70, s[20:21]
	;; [unrolled: 1-line block ×3, first 2 shown]
	v_cmp_ge_i32_e64 s[18:19], v69, v46
	s_waitcnt lgkmcnt(0)
	v_cmp_lt_i16_sdwa s[20:21], sext(v72), sext(v71) src0_sel:BYTE_0 src1_sel:BYTE_0
	v_cndmask_b32_e64 v63, v63, v64, s[16:17]
	v_cmp_lt_i32_e64 s[16:17], v68, v47
	s_or_b64 s[18:19], s[18:19], s[20:21]
	s_and_b64 s[16:17], s[16:17], s[18:19]
	v_cndmask_b32_e64 v64, v71, v72, s[16:17]
	s_barrier
	ds_write_b8 v2, v63
	ds_write_b8 v2, v65 offset:1
	ds_write_b8 v2, v67 offset:2
	;; [unrolled: 1-line block ×3, first 2 shown]
	v_mov_b32_e32 v63, v55
	s_waitcnt lgkmcnt(0)
	s_barrier
	s_and_saveexec_b64 s[18:19], s[12:13]
	s_cbranch_execz .LBB76_118
; %bb.115:                              ;   in Loop: Header=BB76_2 Depth=1
	s_mov_b64 s[20:21], 0
	v_mov_b32_e32 v63, v55
	v_mov_b32_e32 v64, v56
.LBB76_116:                             ;   Parent Loop BB76_2 Depth=1
                                        ; =>  This Inner Loop Header: Depth=2
	v_sub_u32_e32 v65, v64, v63
	v_lshrrev_b32_e32 v66, 31, v65
	v_add_u32_e32 v65, v65, v66
	v_ashrrev_i32_e32 v65, 1, v65
	v_add_u32_e32 v65, v65, v63
	v_not_b32_e32 v67, v65
	v_add_u32_e32 v66, v51, v65
	v_add3_u32 v67, v52, v67, v53
	ds_read_i8 v66, v66
	ds_read_i8 v67, v67
	v_add_u32_e32 v68, 1, v65
	s_waitcnt lgkmcnt(0)
	v_cmp_lt_i16_e64 s[16:17], v67, v66
	s_nop 1
	v_cndmask_b32_e64 v64, v64, v65, s[16:17]
	v_cndmask_b32_e64 v63, v68, v63, s[16:17]
	v_cmp_ge_i32_e64 s[16:17], v63, v64
	s_or_b64 s[20:21], s[16:17], s[20:21]
	s_andn2_b64 exec, exec, s[20:21]
	s_cbranch_execnz .LBB76_116
; %bb.117:                              ;   in Loop: Header=BB76_2 Depth=1
	s_or_b64 exec, exec, s[20:21]
.LBB76_118:                             ;   in Loop: Header=BB76_2 Depth=1
	s_or_b64 exec, exec, s[18:19]
	v_add_u32_e32 v67, v63, v51
	v_sub_u32_e32 v68, v61, v63
	ds_read_u8 v63, v67
	ds_read_u8 v64, v68
	v_cmp_le_i32_e64 s[18:19], v53, v67
	v_cmp_gt_i32_e64 s[16:17], v54, v68
                                        ; implicit-def: $vgpr65
	s_waitcnt lgkmcnt(1)
	v_bfe_i32 v63, v63, 0, 8
	s_waitcnt lgkmcnt(0)
	v_bfe_i32 v64, v64, 0, 8
	v_cmp_lt_i16_e64 s[20:21], v64, v63
	s_or_b64 s[18:19], s[18:19], s[20:21]
	s_and_b64 s[16:17], s[16:17], s[18:19]
	s_xor_b64 s[18:19], s[16:17], -1
	s_and_saveexec_b64 s[20:21], s[18:19]
	s_xor_b64 s[18:19], exec, s[20:21]
	s_cbranch_execz .LBB76_120
; %bb.119:                              ;   in Loop: Header=BB76_2 Depth=1
	ds_read_u8 v65, v67 offset:1
.LBB76_120:                             ;   in Loop: Header=BB76_2 Depth=1
	s_or_saveexec_b64 s[18:19], s[18:19]
	v_mov_b32_e32 v66, v64
	s_xor_b64 exec, exec, s[18:19]
	s_cbranch_execz .LBB76_122
; %bb.121:                              ;   in Loop: Header=BB76_2 Depth=1
	ds_read_u8 v66, v68 offset:1
	s_waitcnt lgkmcnt(1)
	v_mov_b32_e32 v65, v63
.LBB76_122:                             ;   in Loop: Header=BB76_2 Depth=1
	s_or_b64 exec, exec, s[18:19]
	v_add_u32_e32 v70, 1, v67
	v_add_u32_e32 v69, 1, v68
	v_cndmask_b32_e64 v70, v70, v67, s[16:17]
	v_cndmask_b32_e64 v69, v68, v69, s[16:17]
	v_cmp_ge_i32_e64 s[20:21], v70, v53
	s_waitcnt lgkmcnt(0)
	v_cmp_lt_i16_sdwa s[22:23], sext(v66), sext(v65) src0_sel:BYTE_0 src1_sel:BYTE_0
	v_cmp_lt_i32_e64 s[18:19], v69, v54
	s_or_b64 s[20:21], s[20:21], s[22:23]
	s_and_b64 s[18:19], s[18:19], s[20:21]
	s_xor_b64 s[20:21], s[18:19], -1
                                        ; implicit-def: $vgpr67
	s_and_saveexec_b64 s[22:23], s[20:21]
	s_xor_b64 s[20:21], exec, s[22:23]
	s_cbranch_execz .LBB76_124
; %bb.123:                              ;   in Loop: Header=BB76_2 Depth=1
	ds_read_u8 v67, v70 offset:1
.LBB76_124:                             ;   in Loop: Header=BB76_2 Depth=1
	s_or_saveexec_b64 s[20:21], s[20:21]
	v_mov_b32_e32 v68, v66
	s_xor_b64 exec, exec, s[20:21]
	s_cbranch_execz .LBB76_126
; %bb.125:                              ;   in Loop: Header=BB76_2 Depth=1
	ds_read_u8 v68, v69 offset:1
	s_waitcnt lgkmcnt(1)
	v_mov_b32_e32 v67, v65
.LBB76_126:                             ;   in Loop: Header=BB76_2 Depth=1
	s_or_b64 exec, exec, s[20:21]
	v_add_u32_e32 v72, 1, v70
	v_add_u32_e32 v71, 1, v69
	v_cndmask_b32_e64 v70, v72, v70, s[18:19]
	v_cndmask_b32_e64 v69, v69, v71, s[18:19]
	v_cmp_ge_i32_e64 s[22:23], v70, v53
	s_waitcnt lgkmcnt(0)
	v_cmp_lt_i16_sdwa s[36:37], sext(v68), sext(v67) src0_sel:BYTE_0 src1_sel:BYTE_0
	v_cmp_lt_i32_e64 s[20:21], v69, v54
	s_or_b64 s[22:23], s[22:23], s[36:37]
	s_and_b64 s[20:21], s[20:21], s[22:23]
	s_xor_b64 s[22:23], s[20:21], -1
                                        ; implicit-def: $vgpr71
	s_and_saveexec_b64 s[36:37], s[22:23]
	s_xor_b64 s[22:23], exec, s[36:37]
	s_cbranch_execz .LBB76_128
; %bb.127:                              ;   in Loop: Header=BB76_2 Depth=1
	ds_read_u8 v71, v70 offset:1
.LBB76_128:                             ;   in Loop: Header=BB76_2 Depth=1
	s_or_saveexec_b64 s[22:23], s[22:23]
	v_mov_b32_e32 v72, v68
	s_xor_b64 exec, exec, s[22:23]
	s_cbranch_execz .LBB76_130
; %bb.129:                              ;   in Loop: Header=BB76_2 Depth=1
	ds_read_u8 v72, v69 offset:1
	s_waitcnt lgkmcnt(1)
	v_mov_b32_e32 v71, v67
.LBB76_130:                             ;   in Loop: Header=BB76_2 Depth=1
	s_or_b64 exec, exec, s[22:23]
	v_cndmask_b32_e64 v67, v67, v68, s[20:21]
	v_add_u32_e32 v68, 1, v69
	v_add_u32_e32 v73, 1, v70
	v_cndmask_b32_e64 v68, v69, v68, s[20:21]
	v_cndmask_b32_e64 v69, v73, v70, s[20:21]
	;; [unrolled: 1-line block ×3, first 2 shown]
	v_cmp_ge_i32_e64 s[18:19], v69, v53
	s_waitcnt lgkmcnt(0)
	v_cmp_lt_i16_sdwa s[20:21], sext(v72), sext(v71) src0_sel:BYTE_0 src1_sel:BYTE_0
	v_cndmask_b32_e64 v63, v63, v64, s[16:17]
	v_cmp_lt_i32_e64 s[16:17], v68, v54
	s_or_b64 s[18:19], s[18:19], s[20:21]
	s_and_b64 s[16:17], s[16:17], s[18:19]
	v_cndmask_b32_e64 v64, v71, v72, s[16:17]
	s_barrier
	ds_write_b8 v2, v63
	ds_write_b8 v2, v65 offset:1
	ds_write_b8 v2, v67 offset:2
	;; [unrolled: 1-line block ×3, first 2 shown]
	v_mov_b32_e32 v67, v57
	s_waitcnt lgkmcnt(0)
	s_barrier
	s_and_saveexec_b64 s[18:19], s[14:15]
	s_cbranch_execz .LBB76_134
; %bb.131:                              ;   in Loop: Header=BB76_2 Depth=1
	s_mov_b64 s[20:21], 0
	v_mov_b32_e32 v67, v57
	v_mov_b32_e32 v63, v58
.LBB76_132:                             ;   Parent Loop BB76_2 Depth=1
                                        ; =>  This Inner Loop Header: Depth=2
	v_sub_u32_e32 v64, v63, v67
	v_lshrrev_b32_e32 v65, 31, v64
	v_add_u32_e32 v64, v64, v65
	v_ashrrev_i32_e32 v64, 1, v64
	v_add_u32_e32 v64, v64, v67
	v_not_b32_e32 v65, v64
	v_add3_u32 v65, v2, v65, v50
	ds_read_i8 v66, v64
	ds_read_i8 v65, v65
	v_add_u32_e32 v68, 1, v64
	s_waitcnt lgkmcnt(0)
	v_cmp_lt_i16_e64 s[16:17], v65, v66
	s_nop 1
	v_cndmask_b32_e64 v63, v63, v64, s[16:17]
	v_cndmask_b32_e64 v67, v68, v67, s[16:17]
	v_cmp_ge_i32_e64 s[16:17], v67, v63
	s_or_b64 s[20:21], s[16:17], s[20:21]
	s_andn2_b64 exec, exec, s[20:21]
	s_cbranch_execnz .LBB76_132
; %bb.133:                              ;   in Loop: Header=BB76_2 Depth=1
	s_or_b64 exec, exec, s[20:21]
.LBB76_134:                             ;   in Loop: Header=BB76_2 Depth=1
	s_or_b64 exec, exec, s[18:19]
	v_sub_u32_e32 v68, v62, v67
	ds_read_u8 v63, v67
	ds_read_u8 v64, v68
	v_cmp_le_i32_e64 s[18:19], v50, v67
	v_cmp_gt_i32_e64 s[16:17], s34, v68
                                        ; implicit-def: $vgpr65
	s_waitcnt lgkmcnt(1)
	v_bfe_i32 v63, v63, 0, 8
	s_waitcnt lgkmcnt(0)
	v_bfe_i32 v64, v64, 0, 8
	v_cmp_lt_i16_e64 s[20:21], v64, v63
	s_or_b64 s[18:19], s[18:19], s[20:21]
	s_and_b64 s[16:17], s[16:17], s[18:19]
	s_xor_b64 s[18:19], s[16:17], -1
	s_and_saveexec_b64 s[20:21], s[18:19]
	s_xor_b64 s[18:19], exec, s[20:21]
	s_cbranch_execz .LBB76_136
; %bb.135:                              ;   in Loop: Header=BB76_2 Depth=1
	ds_read_u8 v65, v67 offset:1
.LBB76_136:                             ;   in Loop: Header=BB76_2 Depth=1
	s_or_saveexec_b64 s[18:19], s[18:19]
	v_mov_b32_e32 v66, v64
	s_xor_b64 exec, exec, s[18:19]
	s_cbranch_execz .LBB76_138
; %bb.137:                              ;   in Loop: Header=BB76_2 Depth=1
	ds_read_u8 v66, v68 offset:1
	s_waitcnt lgkmcnt(1)
	v_mov_b32_e32 v65, v63
.LBB76_138:                             ;   in Loop: Header=BB76_2 Depth=1
	s_or_b64 exec, exec, s[18:19]
	v_add_u32_e32 v70, 1, v67
	v_add_u32_e32 v69, 1, v68
	v_cndmask_b32_e64 v70, v70, v67, s[16:17]
	v_cndmask_b32_e64 v69, v68, v69, s[16:17]
	v_cmp_ge_i32_e64 s[20:21], v70, v50
	s_waitcnt lgkmcnt(0)
	v_cmp_lt_i16_sdwa s[22:23], sext(v66), sext(v65) src0_sel:BYTE_0 src1_sel:BYTE_0
	v_cmp_gt_i32_e64 s[18:19], s34, v69
	s_or_b64 s[20:21], s[20:21], s[22:23]
	s_and_b64 s[18:19], s[18:19], s[20:21]
	s_xor_b64 s[20:21], s[18:19], -1
                                        ; implicit-def: $vgpr67
	s_and_saveexec_b64 s[22:23], s[20:21]
	s_xor_b64 s[20:21], exec, s[22:23]
	s_cbranch_execz .LBB76_140
; %bb.139:                              ;   in Loop: Header=BB76_2 Depth=1
	ds_read_u8 v67, v70 offset:1
.LBB76_140:                             ;   in Loop: Header=BB76_2 Depth=1
	s_or_saveexec_b64 s[20:21], s[20:21]
	v_mov_b32_e32 v68, v66
	s_xor_b64 exec, exec, s[20:21]
	s_cbranch_execz .LBB76_142
; %bb.141:                              ;   in Loop: Header=BB76_2 Depth=1
	ds_read_u8 v68, v69 offset:1
	s_waitcnt lgkmcnt(1)
	v_mov_b32_e32 v67, v65
.LBB76_142:                             ;   in Loop: Header=BB76_2 Depth=1
	s_or_b64 exec, exec, s[20:21]
	v_add_u32_e32 v72, 1, v70
	v_add_u32_e32 v71, 1, v69
	v_cndmask_b32_e64 v72, v72, v70, s[18:19]
	v_cndmask_b32_e64 v69, v69, v71, s[18:19]
	v_cmp_ge_i32_e64 s[22:23], v72, v50
	s_waitcnt lgkmcnt(0)
	v_cmp_lt_i16_sdwa s[36:37], sext(v68), sext(v67) src0_sel:BYTE_0 src1_sel:BYTE_0
	v_cmp_gt_i32_e64 s[20:21], s34, v69
	s_or_b64 s[22:23], s[22:23], s[36:37]
	s_and_b64 s[20:21], s[20:21], s[22:23]
	s_xor_b64 s[22:23], s[20:21], -1
                                        ; implicit-def: $vgpr70
                                        ; implicit-def: $vgpr71
	s_and_saveexec_b64 s[36:37], s[22:23]
	s_xor_b64 s[22:23], exec, s[36:37]
	s_cbranch_execz .LBB76_144
; %bb.143:                              ;   in Loop: Header=BB76_2 Depth=1
	ds_read_u8 v70, v72 offset:1
	v_add_u32_e32 v71, 1, v72
                                        ; implicit-def: $vgpr72
.LBB76_144:                             ;   in Loop: Header=BB76_2 Depth=1
	s_or_saveexec_b64 s[22:23], s[22:23]
	v_mov_b32_e32 v73, v68
	s_xor_b64 exec, exec, s[22:23]
	s_cbranch_execz .LBB76_1
; %bb.145:                              ;   in Loop: Header=BB76_2 Depth=1
	ds_read_u8 v73, v69 offset:1
	v_add_u32_e32 v69, 1, v69
	v_mov_b32_e32 v71, v72
	s_waitcnt lgkmcnt(1)
	v_mov_b32_e32 v70, v67
	s_branch .LBB76_1
.LBB76_146:
	s_add_u32 s0, s26, s28
	s_addc_u32 s1, s27, 0
	v_lshl_add_u64 v[0:1], s[0:1], 0, v[0:1]
	global_store_byte v[0:1], v64, off
	global_store_byte v[0:1], v65, off offset:512
	global_store_byte v[0:1], v66, off offset:1024
	;; [unrolled: 1-line block ×3, first 2 shown]
	s_endpgm
	.section	.rodata,"a",@progbits
	.p2align	6, 0x0
	.amdhsa_kernel _Z16sort_keys_kernelIaLj512ELj4EN10test_utils4lessELj10EEvPKT_PS2_T2_
		.amdhsa_group_segment_fixed_size 2049
		.amdhsa_private_segment_fixed_size 0
		.amdhsa_kernarg_size 20
		.amdhsa_user_sgpr_count 2
		.amdhsa_user_sgpr_dispatch_ptr 0
		.amdhsa_user_sgpr_queue_ptr 0
		.amdhsa_user_sgpr_kernarg_segment_ptr 1
		.amdhsa_user_sgpr_dispatch_id 0
		.amdhsa_user_sgpr_kernarg_preload_length 0
		.amdhsa_user_sgpr_kernarg_preload_offset 0
		.amdhsa_user_sgpr_private_segment_size 0
		.amdhsa_uses_dynamic_stack 0
		.amdhsa_enable_private_segment 0
		.amdhsa_system_sgpr_workgroup_id_x 1
		.amdhsa_system_sgpr_workgroup_id_y 0
		.amdhsa_system_sgpr_workgroup_id_z 0
		.amdhsa_system_sgpr_workgroup_info 0
		.amdhsa_system_vgpr_workitem_id 0
		.amdhsa_next_free_vgpr 74
		.amdhsa_next_free_sgpr 38
		.amdhsa_accum_offset 76
		.amdhsa_reserve_vcc 1
		.amdhsa_float_round_mode_32 0
		.amdhsa_float_round_mode_16_64 0
		.amdhsa_float_denorm_mode_32 3
		.amdhsa_float_denorm_mode_16_64 3
		.amdhsa_dx10_clamp 1
		.amdhsa_ieee_mode 1
		.amdhsa_fp16_overflow 0
		.amdhsa_tg_split 0
		.amdhsa_exception_fp_ieee_invalid_op 0
		.amdhsa_exception_fp_denorm_src 0
		.amdhsa_exception_fp_ieee_div_zero 0
		.amdhsa_exception_fp_ieee_overflow 0
		.amdhsa_exception_fp_ieee_underflow 0
		.amdhsa_exception_fp_ieee_inexact 0
		.amdhsa_exception_int_div_zero 0
	.end_amdhsa_kernel
	.section	.text._Z16sort_keys_kernelIaLj512ELj4EN10test_utils4lessELj10EEvPKT_PS2_T2_,"axG",@progbits,_Z16sort_keys_kernelIaLj512ELj4EN10test_utils4lessELj10EEvPKT_PS2_T2_,comdat
.Lfunc_end76:
	.size	_Z16sort_keys_kernelIaLj512ELj4EN10test_utils4lessELj10EEvPKT_PS2_T2_, .Lfunc_end76-_Z16sort_keys_kernelIaLj512ELj4EN10test_utils4lessELj10EEvPKT_PS2_T2_
                                        ; -- End function
	.section	.AMDGPU.csdata,"",@progbits
; Kernel info:
; codeLenInByte = 6984
; NumSgprs: 44
; NumVgprs: 74
; NumAgprs: 0
; TotalNumVgprs: 74
; ScratchSize: 0
; MemoryBound: 0
; FloatMode: 240
; IeeeMode: 1
; LDSByteSize: 2049 bytes/workgroup (compile time only)
; SGPRBlocks: 5
; VGPRBlocks: 9
; NumSGPRsForWavesPerEU: 44
; NumVGPRsForWavesPerEU: 74
; AccumOffset: 76
; Occupancy: 6
; WaveLimiterHint : 1
; COMPUTE_PGM_RSRC2:SCRATCH_EN: 0
; COMPUTE_PGM_RSRC2:USER_SGPR: 2
; COMPUTE_PGM_RSRC2:TRAP_HANDLER: 0
; COMPUTE_PGM_RSRC2:TGID_X_EN: 1
; COMPUTE_PGM_RSRC2:TGID_Y_EN: 0
; COMPUTE_PGM_RSRC2:TGID_Z_EN: 0
; COMPUTE_PGM_RSRC2:TIDIG_COMP_CNT: 0
; COMPUTE_PGM_RSRC3_GFX90A:ACCUM_OFFSET: 18
; COMPUTE_PGM_RSRC3_GFX90A:TG_SPLIT: 0
	.section	.text._Z17sort_pairs_kernelIaLj512ELj4EN10test_utils4lessELj10EEvPKT_PS2_T2_,"axG",@progbits,_Z17sort_pairs_kernelIaLj512ELj4EN10test_utils4lessELj10EEvPKT_PS2_T2_,comdat
	.protected	_Z17sort_pairs_kernelIaLj512ELj4EN10test_utils4lessELj10EEvPKT_PS2_T2_ ; -- Begin function _Z17sort_pairs_kernelIaLj512ELj4EN10test_utils4lessELj10EEvPKT_PS2_T2_
	.globl	_Z17sort_pairs_kernelIaLj512ELj4EN10test_utils4lessELj10EEvPKT_PS2_T2_
	.p2align	8
	.type	_Z17sort_pairs_kernelIaLj512ELj4EN10test_utils4lessELj10EEvPKT_PS2_T2_,@function
_Z17sort_pairs_kernelIaLj512ELj4EN10test_utils4lessELj10EEvPKT_PS2_T2_: ; @_Z17sort_pairs_kernelIaLj512ELj4EN10test_utils4lessELj10EEvPKT_PS2_T2_
; %bb.0:
	s_load_dwordx4 s[36:39], s[0:1], 0x0
	s_lshl_b32 s33, s2, 11
	v_lshlrev_b32_e32 v2, 2, v0
	v_and_b32_e32 v3, 0x7f8, v2
	v_and_b32_e32 v5, 0x7f0, v2
	s_waitcnt lgkmcnt(0)
	s_add_u32 s0, s36, s33
	s_addc_u32 s1, s37, 0
	global_load_ubyte v41, v0, s[0:1] offset:512
	global_load_ubyte v42, v0, s[0:1] offset:1536
	;; [unrolled: 1-line block ×3, first 2 shown]
	global_load_ubyte v44, v0, s[0:1]
	v_or_b32_e32 v15, 4, v3
	v_add_u32_e32 v16, 8, v3
	v_and_b32_e32 v4, 4, v2
	v_or_b32_e32 v17, 8, v5
	v_add_u32_e32 v18, 16, v5
	v_sub_u32_e32 v36, v16, v15
	v_and_b32_e32 v6, 12, v2
	v_sub_u32_e32 v37, v18, v17
	v_sub_u32_e32 v46, v4, v36
	v_cmp_ge_i32_e32 vcc, v4, v36
	v_and_b32_e32 v7, 0x7e0, v2
	v_sub_u32_e32 v47, v6, v37
	v_cndmask_b32_e32 v36, 0, v46, vcc
	v_cmp_ge_i32_e32 vcc, v6, v37
	v_and_b32_e32 v9, 0x7c0, v2
	v_or_b32_e32 v19, 16, v7
	v_add_u32_e32 v20, 32, v7
	v_cndmask_b32_e32 v37, 0, v47, vcc
	s_movk_i32 s8, 0x100
	v_and_b32_e32 v8, 28, v2
	v_and_b32_e32 v11, 0x780, v2
	;; [unrolled: 1-line block ×3, first 2 shown]
	v_or_b32_e32 v21, 32, v9
	v_add_u32_e32 v22, 64, v9
	v_sub_u32_e32 v38, v20, v19
	v_and_b32_e32 v10, 60, v2
	v_or_b32_e32 v23, 64, v11
	v_add_u32_e32 v24, 0x80, v11
	v_or_b32_e32 v25, 0x80, v13
	v_add_u32_e32 v26, 0x100, v13
	v_sub_u32_e32 v39, v22, v21
	v_sub_u32_e32 v48, v8, v38
	v_cmp_ge_i32_e32 vcc, v8, v38
	v_and_b32_e32 v12, 0x7c, v2
	v_and_b32_e32 v14, 0xfc, v2
	v_sub_u32_e32 v40, v24, v23
	v_sub_u32_e32 v49, v10, v39
	v_cndmask_b32_e32 v38, 0, v48, vcc
	v_cmp_ge_i32_e32 vcc, v10, v39
	v_sub_u32_e32 v45, v25, v13
	v_sub_u32_e32 v50, v12, v40
	v_cndmask_b32_e32 v39, 0, v49, vcc
	v_cmp_ge_i32_e32 vcc, v12, v40
	v_and_b32_e32 v51, 0x3fc, v2
	v_sub_u32_e32 v31, v15, v3
	v_cndmask_b32_e32 v40, 0, v50, vcc
	v_and_b32_e32 v50, 0x400, v2
	v_or_b32_e32 v52, 0x200, v50
	v_add_u32_e32 v53, 0x400, v50
	v_sub_u32_e32 v54, v53, v52
	v_sub_u32_e32 v32, v17, v5
	;; [unrolled: 1-line block ×7, first 2 shown]
	v_cmp_ge_i32_e64 s[12:13], v51, v54
	v_min_i32_e32 v31, v4, v31
	v_min_i32_e32 v32, v6, v32
	;; [unrolled: 1-line block ×5, first 2 shown]
	v_cndmask_b32_e64 v54, 0, v56, s[12:13]
	v_min_i32_e32 v55, v51, v55
	v_min_i32_e32 v57, 0x400, v2
	s_mov_b32 s40, 0
	v_mov_b32_e32 v1, 0
	s_mov_b32 s41, 0xffff
	v_add_u32_e32 v27, v15, v4
	v_add_u32_e32 v28, v17, v6
	;; [unrolled: 1-line block ×4, first 2 shown]
	v_cmp_lt_i32_e32 vcc, v36, v31
	v_cmp_lt_i32_e64 s[0:1], v37, v32
	v_cmp_lt_i32_e64 s[2:3], v38, v33
	;; [unrolled: 1-line block ×3, first 2 shown]
	s_waitcnt vmcnt(3)
	v_lshlrev_b16_e32 v41, 8, v41
	s_waitcnt vmcnt(2)
	v_lshlrev_b16_e32 v42, 8, v42
	s_waitcnt vmcnt(1)
	v_add_u16_e32 v47, 1, v43
	s_waitcnt vmcnt(0)
	v_add_u16_e32 v46, 1, v44
	v_or_b32_e32 v44, v44, v41
	v_or_b32_sdwa v43, v43, v42 dst_sel:WORD_1 dst_unused:UNUSED_PAD src0_sel:DWORD src1_sel:DWORD
	v_or_b32_sdwa v41, v41, v46 dst_sel:DWORD dst_unused:UNUSED_PAD src0_sel:DWORD src1_sel:BYTE_0
	v_or_b32_sdwa v42, v42, v47 dst_sel:DWORD dst_unused:UNUSED_PAD src0_sel:DWORD src1_sel:BYTE_0
	v_add_u16_e32 v41, 0x100, v41
	v_add_u16_sdwa v42, v42, s8 dst_sel:WORD_1 dst_unused:UNUSED_PAD src0_sel:DWORD src1_sel:DWORD
	v_or_b32_sdwa v64, v44, v43 dst_sel:DWORD dst_unused:UNUSED_PAD src0_sel:WORD_0 src1_sel:DWORD
	v_or_b32_e32 v63, v41, v42
	v_sub_u32_e32 v41, v26, v25
	v_sub_u32_e32 v42, v14, v41
	v_cmp_ge_i32_e64 s[8:9], v14, v41
	v_and_b32_e32 v43, 0x600, v2
	v_add_u32_e32 v46, 0x200, v43
	v_cndmask_b32_e64 v41, 0, v42, s[8:9]
	v_min_i32_e32 v42, v14, v45
	v_or_b32_e32 v45, 0x100, v43
	v_and_b32_e32 v44, 0x1fc, v2
	v_sub_u32_e32 v47, v46, v45
	v_sub_u32_e32 v49, v44, v47
	v_cmp_ge_i32_e64 s[10:11], v44, v47
	v_sub_u32_e32 v48, v45, v43
	v_min_i32_e32 v48, v44, v48
	v_cndmask_b32_e64 v47, 0, v49, s[10:11]
	v_mov_b32_e32 v49, 0x400
	v_sub_u32_e64 v56, v2, v49 clamp
	v_cmp_lt_i32_e64 s[6:7], v40, v35
	v_cmp_lt_i32_e64 s[8:9], v41, v42
	;; [unrolled: 1-line block ×5, first 2 shown]
	s_mov_b32 s42, 0x7060405
	s_mov_b32 s43, 0xc0c0001
	s_movk_i32 s44, 0xff00
	s_mov_b32 s45, 0xffff0000
	s_mov_b32 s46, 0x7050604
	s_movk_i32 s47, 0x800
	v_add_u32_e32 v58, v23, v12
	v_add_u32_e32 v59, v25, v14
	;; [unrolled: 1-line block ×5, first 2 shown]
	s_branch .LBB77_2
.LBB77_1:                               ;   in Loop: Header=BB77_2 Depth=1
	s_or_b64 exec, exec, s[22:23]
	v_cndmask_b32_e64 v69, v69, v70, s[16:17]
	v_cndmask_b32_e64 v70, v71, v72, s[18:19]
	;; [unrolled: 1-line block ×4, first 2 shown]
	v_cmp_ge_i32_e64 s[18:19], v78, v49
	s_waitcnt lgkmcnt(0)
	v_cmp_lt_i16_sdwa s[20:21], sext(v82), sext(v79) src0_sel:BYTE_0 src1_sel:BYTE_0
	v_cndmask_b32_e64 v68, v67, v68, s[16:17]
	v_cmp_gt_i32_e64 s[16:17], s47, v77
	s_or_b64 s[18:19], s[18:19], s[20:21]
	s_and_b64 s[16:17], s[16:17], s[18:19]
	v_cndmask_b32_e64 v74, v78, v77, s[16:17]
	s_barrier
	ds_write_b8 v2, v64
	ds_write_b8 v2, v65 offset:1
	ds_write_b8 v2, v66 offset:2
	;; [unrolled: 1-line block ×3, first 2 shown]
	s_waitcnt lgkmcnt(0)
	s_barrier
	ds_read_u8 v65, v80
	ds_read_u8 v66, v74
	;; [unrolled: 1-line block ×4, first 2 shown]
	v_cndmask_b32_e64 v67, v79, v82, s[16:17]
	v_lshlrev_b16_e32 v73, 8, v70
	v_lshlrev_b16_e32 v64, 8, v67
	v_or_b32_sdwa v63, v69, v73 dst_sel:DWORD dst_unused:UNUSED_PAD src0_sel:BYTE_0 src1_sel:DWORD
	v_or_b32_sdwa v64, v71, v64 dst_sel:WORD_1 dst_unused:UNUSED_PAD src0_sel:BYTE_0 src1_sel:DWORD
	s_waitcnt lgkmcnt(2)
	v_lshlrev_b16_e32 v73, 8, v66
	v_or_b32_sdwa v64, v63, v64 dst_sel:DWORD dst_unused:UNUSED_PAD src0_sel:WORD_0 src1_sel:DWORD
	s_waitcnt lgkmcnt(0)
	v_lshlrev_b16_e32 v63, 8, v72
	v_or_b32_e32 v63, v68, v63
	v_or_b32_sdwa v73, v65, v73 dst_sel:WORD_1 dst_unused:UNUSED_PAD src0_sel:DWORD src1_sel:DWORD
	s_add_i32 s40, s40, 1
	s_cmp_eq_u32 s40, 10
	v_or_b32_sdwa v63, v63, v73 dst_sel:DWORD dst_unused:UNUSED_PAD src0_sel:WORD_0 src1_sel:DWORD
	s_cbranch_scc1 .LBB77_146
.LBB77_2:                               ; =>This Loop Header: Depth=1
                                        ;     Child Loop BB77_4 Depth 2
                                        ;     Child Loop BB77_20 Depth 2
	;; [unrolled: 1-line block ×9, first 2 shown]
	v_lshrrev_b32_e32 v66, 8, v64
	v_perm_b32 v65, v64, v64, s42
	v_cmp_lt_i16_sdwa s[16:17], sext(v66), sext(v64) src0_sel:BYTE_0 src1_sel:BYTE_0
	s_barrier
	s_nop 0
	v_cndmask_b32_e64 v64, v64, v65, s[16:17]
	v_lshrrev_b32_e32 v65, 16, v64
	v_perm_b32 v66, 0, v65, s43
	v_lshrrev_b32_e32 v67, 24, v64
	v_lshlrev_b32_e32 v66, 16, v66
	v_and_or_b32 v66, v64, s41, v66
	v_cmp_lt_i16_sdwa s[18:19], sext(v67), sext(v65) src0_sel:BYTE_0 src1_sel:BYTE_0
	v_min_i16_sdwa v65, sext(v67), sext(v65) dst_sel:DWORD dst_unused:UNUSED_PAD src0_sel:BYTE_0 src1_sel:BYTE_0
	v_lshlrev_b16_e32 v68, 8, v65
	v_cndmask_b32_e64 v64, v64, v66, s[18:19]
	v_and_b32_sdwa v66, v64, s44 dst_sel:DWORD dst_unused:UNUSED_PAD src0_sel:WORD_1 src1_sel:DWORD
	v_or_b32_sdwa v66, v64, v66 dst_sel:WORD_1 dst_unused:UNUSED_PAD src0_sel:BYTE_1 src1_sel:DWORD
	v_lshrrev_b32_e32 v67, 8, v64
	v_or_b32_sdwa v68, v64, v68 dst_sel:DWORD dst_unused:UNUSED_PAD src0_sel:BYTE_0 src1_sel:DWORD
	v_or_b32_sdwa v66, v68, v66 dst_sel:DWORD dst_unused:UNUSED_PAD src0_sel:WORD_0 src1_sel:DWORD
	v_cmp_lt_i16_sdwa s[20:21], v65, sext(v67) src0_sel:DWORD src1_sel:BYTE_0
	v_min_i16_sdwa v65, v65, sext(v67) dst_sel:DWORD dst_unused:UNUSED_PAD src0_sel:DWORD src1_sel:BYTE_0
	s_nop 0
	v_cndmask_b32_e64 v64, v64, v66, s[20:21]
	v_lshlrev_b16_e32 v66, 8, v64
	v_or_b32_sdwa v66, v65, v66 dst_sel:DWORD dst_unused:UNUSED_PAD src0_sel:BYTE_0 src1_sel:DWORD
	v_and_b32_e32 v66, 0xffff, v66
	v_and_or_b32 v66, v64, s45, v66
	v_cmp_lt_i16_sdwa s[22:23], v65, sext(v64) src0_sel:DWORD src1_sel:BYTE_0
	s_nop 1
	v_cndmask_b32_e64 v64, v64, v66, s[22:23]
	v_lshrrev_b32_e32 v65, 16, v64
	v_perm_b32 v66, 0, v65, s43
	v_lshrrev_b32_e32 v67, 24, v64
	v_lshlrev_b32_e32 v66, 16, v66
	v_and_or_b32 v66, v64, s41, v66
	v_cmp_lt_i16_sdwa s[24:25], sext(v67), sext(v65) src0_sel:BYTE_0 src1_sel:BYTE_0
	v_min_i16_sdwa v65, sext(v67), sext(v65) dst_sel:DWORD dst_unused:UNUSED_PAD src0_sel:BYTE_0 src1_sel:BYTE_0
	v_lshlrev_b16_e32 v68, 8, v65
	v_cndmask_b32_e64 v64, v64, v66, s[24:25]
	v_and_b32_sdwa v66, v64, s44 dst_sel:DWORD dst_unused:UNUSED_PAD src0_sel:WORD_1 src1_sel:DWORD
	v_or_b32_sdwa v66, v64, v66 dst_sel:WORD_1 dst_unused:UNUSED_PAD src0_sel:BYTE_1 src1_sel:DWORD
	v_lshrrev_b32_e32 v67, 8, v64
	v_or_b32_sdwa v68, v64, v68 dst_sel:DWORD dst_unused:UNUSED_PAD src0_sel:BYTE_0 src1_sel:DWORD
	v_or_b32_sdwa v66, v68, v66 dst_sel:DWORD dst_unused:UNUSED_PAD src0_sel:WORD_0 src1_sel:DWORD
	v_cmp_lt_i16_sdwa s[26:27], v65, sext(v67) src0_sel:DWORD src1_sel:BYTE_0
	v_mov_b32_e32 v65, v36
	s_nop 0
	v_cndmask_b32_e64 v64, v64, v66, s[26:27]
	ds_write_b32 v2, v64
	s_waitcnt lgkmcnt(0)
	s_barrier
	s_and_saveexec_b64 s[30:31], vcc
	s_cbranch_execz .LBB77_6
; %bb.3:                                ;   in Loop: Header=BB77_2 Depth=1
	s_mov_b64 s[34:35], 0
	v_mov_b32_e32 v65, v36
	v_mov_b32_e32 v64, v31
.LBB77_4:                               ;   Parent Loop BB77_2 Depth=1
                                        ; =>  This Inner Loop Header: Depth=2
	v_sub_u32_e32 v66, v64, v65
	v_lshrrev_b32_e32 v67, 31, v66
	v_add_u32_e32 v66, v66, v67
	v_ashrrev_i32_e32 v66, 1, v66
	v_add_u32_e32 v66, v66, v65
	v_not_b32_e32 v68, v66
	v_add_u32_e32 v67, v3, v66
	v_add3_u32 v68, v4, v68, v15
	ds_read_i8 v67, v67
	ds_read_i8 v68, v68
	v_add_u32_e32 v69, 1, v66
	s_waitcnt lgkmcnt(0)
	v_cmp_lt_i16_e64 s[28:29], v68, v67
	s_nop 1
	v_cndmask_b32_e64 v64, v64, v66, s[28:29]
	v_cndmask_b32_e64 v65, v69, v65, s[28:29]
	v_cmp_ge_i32_e64 s[28:29], v65, v64
	s_or_b64 s[34:35], s[28:29], s[34:35]
	s_andn2_b64 exec, exec, s[34:35]
	s_cbranch_execnz .LBB77_4
; %bb.5:                                ;   in Loop: Header=BB77_2 Depth=1
	s_or_b64 exec, exec, s[34:35]
.LBB77_6:                               ;   in Loop: Header=BB77_2 Depth=1
	s_or_b64 exec, exec, s[30:31]
	v_add_u32_e32 v64, v65, v3
	v_sub_u32_e32 v65, v27, v65
	ds_read_u8 v66, v64
	ds_read_u8 v67, v65
	v_cmp_le_i32_e64 s[30:31], v15, v64
	v_cmp_gt_i32_e64 s[28:29], v16, v65
                                        ; implicit-def: $vgpr68
	s_waitcnt lgkmcnt(1)
	v_bfe_i32 v66, v66, 0, 8
	s_waitcnt lgkmcnt(0)
	v_bfe_i32 v67, v67, 0, 8
	v_cmp_lt_i16_e64 s[34:35], v67, v66
	s_or_b64 s[30:31], s[30:31], s[34:35]
	s_and_b64 s[28:29], s[28:29], s[30:31]
	s_xor_b64 s[30:31], s[28:29], -1
	s_and_saveexec_b64 s[34:35], s[30:31]
	s_xor_b64 s[30:31], exec, s[34:35]
	s_cbranch_execz .LBB77_8
; %bb.7:                                ;   in Loop: Header=BB77_2 Depth=1
	ds_read_u8 v68, v64 offset:1
.LBB77_8:                               ;   in Loop: Header=BB77_2 Depth=1
	s_or_saveexec_b64 s[30:31], s[30:31]
	v_mov_b32_e32 v69, v67
	s_xor_b64 exec, exec, s[30:31]
	s_cbranch_execz .LBB77_10
; %bb.9:                                ;   in Loop: Header=BB77_2 Depth=1
	ds_read_u8 v69, v65 offset:1
	s_waitcnt lgkmcnt(1)
	v_mov_b32_e32 v68, v66
.LBB77_10:                              ;   in Loop: Header=BB77_2 Depth=1
	s_or_b64 exec, exec, s[30:31]
	v_add_u32_e32 v71, 1, v64
	v_add_u32_e32 v70, 1, v65
	v_cndmask_b32_e64 v71, v71, v64, s[28:29]
	v_cndmask_b32_e64 v70, v65, v70, s[28:29]
	v_cmp_ge_i32_e64 s[34:35], v71, v15
	s_waitcnt lgkmcnt(0)
	v_cmp_lt_i16_sdwa s[36:37], sext(v69), sext(v68) src0_sel:BYTE_0 src1_sel:BYTE_0
	v_cmp_lt_i32_e64 s[30:31], v70, v16
	s_or_b64 s[34:35], s[34:35], s[36:37]
	s_and_b64 s[30:31], s[30:31], s[34:35]
	s_xor_b64 s[34:35], s[30:31], -1
                                        ; implicit-def: $vgpr72
	s_and_saveexec_b64 s[36:37], s[34:35]
	s_xor_b64 s[34:35], exec, s[36:37]
	s_cbranch_execz .LBB77_12
; %bb.11:                               ;   in Loop: Header=BB77_2 Depth=1
	ds_read_u8 v72, v71 offset:1
.LBB77_12:                              ;   in Loop: Header=BB77_2 Depth=1
	s_or_saveexec_b64 s[34:35], s[34:35]
	v_mov_b32_e32 v74, v69
	s_xor_b64 exec, exec, s[34:35]
	s_cbranch_execz .LBB77_14
; %bb.13:                               ;   in Loop: Header=BB77_2 Depth=1
	ds_read_u8 v74, v70 offset:1
	s_waitcnt lgkmcnt(1)
	v_mov_b32_e32 v72, v68
.LBB77_14:                              ;   in Loop: Header=BB77_2 Depth=1
	s_or_b64 exec, exec, s[34:35]
	v_add_u32_e32 v76, 1, v71
	v_add_u32_e32 v73, 1, v70
	v_cndmask_b32_e64 v77, v76, v71, s[30:31]
	v_cndmask_b32_e64 v75, v70, v73, s[30:31]
	v_cmp_ge_i32_e64 s[36:37], v77, v15
	s_waitcnt lgkmcnt(0)
	v_cmp_lt_i16_sdwa s[48:49], sext(v74), sext(v72) src0_sel:BYTE_0 src1_sel:BYTE_0
	v_cmp_lt_i32_e64 s[34:35], v75, v16
	s_or_b64 s[36:37], s[36:37], s[48:49]
	s_and_b64 s[34:35], s[34:35], s[36:37]
	s_xor_b64 s[36:37], s[34:35], -1
                                        ; implicit-def: $vgpr73
	s_and_saveexec_b64 s[48:49], s[36:37]
	s_xor_b64 s[36:37], exec, s[48:49]
	s_cbranch_execz .LBB77_16
; %bb.15:                               ;   in Loop: Header=BB77_2 Depth=1
	ds_read_u8 v73, v77 offset:1
.LBB77_16:                              ;   in Loop: Header=BB77_2 Depth=1
	s_or_saveexec_b64 s[36:37], s[36:37]
	v_mov_b32_e32 v76, v74
	s_xor_b64 exec, exec, s[36:37]
	s_cbranch_execz .LBB77_18
; %bb.17:                               ;   in Loop: Header=BB77_2 Depth=1
	ds_read_u8 v76, v75 offset:1
	s_waitcnt lgkmcnt(1)
	v_mov_b32_e32 v73, v72
.LBB77_18:                              ;   in Loop: Header=BB77_2 Depth=1
	s_or_b64 exec, exec, s[36:37]
	v_perm_b32 v78, v63, v63, s42
	v_cndmask_b32_e64 v63, v63, v78, s[16:17]
	v_cndmask_b32_e64 v64, v64, v65, s[28:29]
	v_lshrrev_b32_e32 v65, 16, v63
	v_perm_b32 v65, 0, v65, s43
	v_lshlrev_b32_e32 v65, 16, v65
	v_and_or_b32 v65, v63, s41, v65
	v_cndmask_b32_e64 v63, v63, v65, s[18:19]
	v_perm_b32 v65, v63, v63, s46
	v_cndmask_b32_e64 v63, v63, v65, s[20:21]
	v_perm_b32 v65, 0, v63, s43
	v_and_or_b32 v65, v63, s45, v65
	v_cndmask_b32_e64 v63, v63, v65, s[22:23]
	v_lshrrev_b32_e32 v65, 16, v63
	v_add_u32_e32 v79, 1, v77
	v_perm_b32 v65, 0, v65, s43
	v_cndmask_b32_e64 v72, v72, v74, s[34:35]
	v_add_u32_e32 v74, 1, v75
	v_cndmask_b32_e64 v79, v79, v77, s[34:35]
	v_lshlrev_b32_e32 v65, 16, v65
	v_cndmask_b32_e64 v74, v75, v74, s[34:35]
	v_and_or_b32 v65, v63, s41, v65
	v_cmp_ge_i32_e64 s[18:19], v79, v15
	s_waitcnt lgkmcnt(0)
	v_cmp_lt_i16_sdwa s[20:21], sext(v76), sext(v73) src0_sel:BYTE_0 src1_sel:BYTE_0
	v_cndmask_b32_e64 v63, v63, v65, s[24:25]
	v_cmp_lt_i32_e64 s[16:17], v74, v16
	s_or_b64 s[18:19], s[18:19], s[20:21]
	v_perm_b32 v65, v63, v63, s46
	s_and_b64 s[16:17], s[16:17], s[18:19]
	v_cndmask_b32_e64 v63, v63, v65, s[26:27]
	v_cndmask_b32_e64 v65, v79, v74, s[16:17]
	;; [unrolled: 1-line block ×6, first 2 shown]
	s_barrier
	ds_write_b32 v2, v63
	s_waitcnt lgkmcnt(0)
	s_barrier
	ds_read_u8 v63, v65
	ds_read_u8 v64, v64
	;; [unrolled: 1-line block ×4, first 2 shown]
	v_cndmask_b32_e64 v70, v73, v76, s[16:17]
	s_waitcnt lgkmcnt(0)
	s_barrier
	ds_write_b8 v2, v67
	ds_write_b8 v2, v68 offset:1
	ds_write_b8 v2, v72 offset:2
	;; [unrolled: 1-line block ×3, first 2 shown]
	v_mov_b32_e32 v68, v37
	s_waitcnt lgkmcnt(0)
	s_barrier
	s_and_saveexec_b64 s[18:19], s[0:1]
	s_cbranch_execz .LBB77_22
; %bb.19:                               ;   in Loop: Header=BB77_2 Depth=1
	s_mov_b64 s[20:21], 0
	v_mov_b32_e32 v68, v37
	v_mov_b32_e32 v67, v32
.LBB77_20:                              ;   Parent Loop BB77_2 Depth=1
                                        ; =>  This Inner Loop Header: Depth=2
	v_sub_u32_e32 v69, v67, v68
	v_lshrrev_b32_e32 v70, 31, v69
	v_add_u32_e32 v69, v69, v70
	v_ashrrev_i32_e32 v69, 1, v69
	v_add_u32_e32 v69, v69, v68
	v_not_b32_e32 v71, v69
	v_add_u32_e32 v70, v5, v69
	v_add3_u32 v71, v6, v71, v17
	ds_read_i8 v70, v70
	ds_read_i8 v71, v71
	v_add_u32_e32 v72, 1, v69
	s_waitcnt lgkmcnt(0)
	v_cmp_lt_i16_e64 s[16:17], v71, v70
	s_nop 1
	v_cndmask_b32_e64 v67, v67, v69, s[16:17]
	v_cndmask_b32_e64 v68, v72, v68, s[16:17]
	v_cmp_ge_i32_e64 s[16:17], v68, v67
	s_or_b64 s[20:21], s[16:17], s[20:21]
	s_andn2_b64 exec, exec, s[20:21]
	s_cbranch_execnz .LBB77_20
; %bb.21:                               ;   in Loop: Header=BB77_2 Depth=1
	s_or_b64 exec, exec, s[20:21]
.LBB77_22:                              ;   in Loop: Header=BB77_2 Depth=1
	s_or_b64 exec, exec, s[18:19]
	v_add_u32_e32 v67, v68, v5
	v_sub_u32_e32 v68, v28, v68
	ds_read_u8 v69, v67
	ds_read_u8 v70, v68
	v_cmp_le_i32_e64 s[18:19], v17, v67
	v_cmp_gt_i32_e64 s[16:17], v18, v68
                                        ; implicit-def: $vgpr71
	s_waitcnt lgkmcnt(1)
	v_bfe_i32 v69, v69, 0, 8
	s_waitcnt lgkmcnt(0)
	v_bfe_i32 v70, v70, 0, 8
	v_cmp_lt_i16_e64 s[20:21], v70, v69
	s_or_b64 s[18:19], s[18:19], s[20:21]
	s_and_b64 s[16:17], s[16:17], s[18:19]
	s_xor_b64 s[18:19], s[16:17], -1
	s_and_saveexec_b64 s[20:21], s[18:19]
	s_xor_b64 s[18:19], exec, s[20:21]
	s_cbranch_execz .LBB77_24
; %bb.23:                               ;   in Loop: Header=BB77_2 Depth=1
	ds_read_u8 v71, v67 offset:1
.LBB77_24:                              ;   in Loop: Header=BB77_2 Depth=1
	s_or_saveexec_b64 s[18:19], s[18:19]
	v_mov_b32_e32 v72, v70
	s_xor_b64 exec, exec, s[18:19]
	s_cbranch_execz .LBB77_26
; %bb.25:                               ;   in Loop: Header=BB77_2 Depth=1
	ds_read_u8 v72, v68 offset:1
	s_waitcnt lgkmcnt(1)
	v_mov_b32_e32 v71, v69
.LBB77_26:                              ;   in Loop: Header=BB77_2 Depth=1
	s_or_b64 exec, exec, s[18:19]
	v_add_u32_e32 v74, 1, v67
	v_add_u32_e32 v73, 1, v68
	v_cndmask_b32_e64 v74, v74, v67, s[16:17]
	v_cndmask_b32_e64 v73, v68, v73, s[16:17]
	v_cmp_ge_i32_e64 s[20:21], v74, v17
	s_waitcnt lgkmcnt(0)
	v_cmp_lt_i16_sdwa s[22:23], sext(v72), sext(v71) src0_sel:BYTE_0 src1_sel:BYTE_0
	v_cmp_lt_i32_e64 s[18:19], v73, v18
	s_or_b64 s[20:21], s[20:21], s[22:23]
	s_and_b64 s[18:19], s[18:19], s[20:21]
	s_xor_b64 s[20:21], s[18:19], -1
                                        ; implicit-def: $vgpr75
	s_and_saveexec_b64 s[22:23], s[20:21]
	s_xor_b64 s[20:21], exec, s[22:23]
	s_cbranch_execz .LBB77_28
; %bb.27:                               ;   in Loop: Header=BB77_2 Depth=1
	ds_read_u8 v75, v74 offset:1
.LBB77_28:                              ;   in Loop: Header=BB77_2 Depth=1
	s_or_saveexec_b64 s[20:21], s[20:21]
	v_mov_b32_e32 v76, v72
	s_xor_b64 exec, exec, s[20:21]
	s_cbranch_execz .LBB77_30
; %bb.29:                               ;   in Loop: Header=BB77_2 Depth=1
	ds_read_u8 v76, v73 offset:1
	s_waitcnt lgkmcnt(1)
	v_mov_b32_e32 v75, v71
.LBB77_30:                              ;   in Loop: Header=BB77_2 Depth=1
	s_or_b64 exec, exec, s[20:21]
	v_add_u32_e32 v78, 1, v74
	v_add_u32_e32 v77, 1, v73
	v_cndmask_b32_e64 v78, v78, v74, s[18:19]
	v_cndmask_b32_e64 v77, v73, v77, s[18:19]
	v_cmp_ge_i32_e64 s[22:23], v78, v17
	s_waitcnt lgkmcnt(0)
	v_cmp_lt_i16_sdwa s[24:25], sext(v76), sext(v75) src0_sel:BYTE_0 src1_sel:BYTE_0
	v_cmp_lt_i32_e64 s[20:21], v77, v18
	s_or_b64 s[22:23], s[22:23], s[24:25]
	s_and_b64 s[20:21], s[20:21], s[22:23]
	s_xor_b64 s[22:23], s[20:21], -1
                                        ; implicit-def: $vgpr79
	s_and_saveexec_b64 s[24:25], s[22:23]
	s_xor_b64 s[22:23], exec, s[24:25]
	s_cbranch_execz .LBB77_32
; %bb.31:                               ;   in Loop: Header=BB77_2 Depth=1
	ds_read_u8 v79, v78 offset:1
.LBB77_32:                              ;   in Loop: Header=BB77_2 Depth=1
	s_or_saveexec_b64 s[22:23], s[22:23]
	v_mov_b32_e32 v80, v76
	s_xor_b64 exec, exec, s[22:23]
	s_cbranch_execz .LBB77_34
; %bb.33:                               ;   in Loop: Header=BB77_2 Depth=1
	ds_read_u8 v80, v77 offset:1
	s_waitcnt lgkmcnt(1)
	v_mov_b32_e32 v79, v75
.LBB77_34:                              ;   in Loop: Header=BB77_2 Depth=1
	s_or_b64 exec, exec, s[22:23]
	v_add_u32_e32 v81, 1, v78
	v_cndmask_b32_e64 v75, v75, v76, s[20:21]
	v_add_u32_e32 v76, 1, v77
	v_cndmask_b32_e64 v81, v81, v78, s[20:21]
	v_cndmask_b32_e64 v76, v77, v76, s[20:21]
	;; [unrolled: 1-line block ×5, first 2 shown]
	v_cmp_ge_i32_e64 s[18:19], v81, v17
	s_waitcnt lgkmcnt(0)
	v_cmp_lt_i16_sdwa s[20:21], sext(v80), sext(v79) src0_sel:BYTE_0 src1_sel:BYTE_0
	v_cndmask_b32_e64 v69, v69, v70, s[16:17]
	v_cndmask_b32_e64 v67, v67, v68, s[16:17]
	v_cmp_lt_i32_e64 s[16:17], v76, v18
	s_or_b64 s[18:19], s[18:19], s[20:21]
	s_and_b64 s[16:17], s[16:17], s[18:19]
	v_cndmask_b32_e64 v70, v81, v76, s[16:17]
	s_barrier
	ds_write_b8 v2, v64
	ds_write_b8 v2, v65 offset:1
	ds_write_b8 v2, v66 offset:2
	;; [unrolled: 1-line block ×3, first 2 shown]
	s_waitcnt lgkmcnt(0)
	s_barrier
	ds_read_u8 v63, v70
	ds_read_u8 v64, v67
	;; [unrolled: 1-line block ×4, first 2 shown]
	v_cndmask_b32_e64 v68, v79, v80, s[16:17]
	s_waitcnt lgkmcnt(0)
	s_barrier
	ds_write_b8 v2, v69
	ds_write_b8 v2, v71 offset:1
	ds_write_b8 v2, v75 offset:2
	;; [unrolled: 1-line block ×3, first 2 shown]
	v_mov_b32_e32 v68, v38
	s_waitcnt lgkmcnt(0)
	s_barrier
	s_and_saveexec_b64 s[18:19], s[2:3]
	s_cbranch_execz .LBB77_38
; %bb.35:                               ;   in Loop: Header=BB77_2 Depth=1
	s_mov_b64 s[20:21], 0
	v_mov_b32_e32 v68, v38
	v_mov_b32_e32 v67, v33
.LBB77_36:                              ;   Parent Loop BB77_2 Depth=1
                                        ; =>  This Inner Loop Header: Depth=2
	v_sub_u32_e32 v69, v67, v68
	v_lshrrev_b32_e32 v70, 31, v69
	v_add_u32_e32 v69, v69, v70
	v_ashrrev_i32_e32 v69, 1, v69
	v_add_u32_e32 v69, v69, v68
	v_not_b32_e32 v71, v69
	v_add_u32_e32 v70, v7, v69
	v_add3_u32 v71, v8, v71, v19
	ds_read_i8 v70, v70
	ds_read_i8 v71, v71
	v_add_u32_e32 v72, 1, v69
	s_waitcnt lgkmcnt(0)
	v_cmp_lt_i16_e64 s[16:17], v71, v70
	s_nop 1
	v_cndmask_b32_e64 v67, v67, v69, s[16:17]
	v_cndmask_b32_e64 v68, v72, v68, s[16:17]
	v_cmp_ge_i32_e64 s[16:17], v68, v67
	s_or_b64 s[20:21], s[16:17], s[20:21]
	s_andn2_b64 exec, exec, s[20:21]
	s_cbranch_execnz .LBB77_36
; %bb.37:                               ;   in Loop: Header=BB77_2 Depth=1
	s_or_b64 exec, exec, s[20:21]
.LBB77_38:                              ;   in Loop: Header=BB77_2 Depth=1
	s_or_b64 exec, exec, s[18:19]
	v_add_u32_e32 v67, v68, v7
	v_sub_u32_e32 v68, v29, v68
	ds_read_u8 v69, v67
	ds_read_u8 v70, v68
	v_cmp_le_i32_e64 s[18:19], v19, v67
	v_cmp_gt_i32_e64 s[16:17], v20, v68
                                        ; implicit-def: $vgpr71
	s_waitcnt lgkmcnt(1)
	v_bfe_i32 v69, v69, 0, 8
	s_waitcnt lgkmcnt(0)
	v_bfe_i32 v70, v70, 0, 8
	v_cmp_lt_i16_e64 s[20:21], v70, v69
	s_or_b64 s[18:19], s[18:19], s[20:21]
	s_and_b64 s[16:17], s[16:17], s[18:19]
	s_xor_b64 s[18:19], s[16:17], -1
	s_and_saveexec_b64 s[20:21], s[18:19]
	s_xor_b64 s[18:19], exec, s[20:21]
	s_cbranch_execz .LBB77_40
; %bb.39:                               ;   in Loop: Header=BB77_2 Depth=1
	ds_read_u8 v71, v67 offset:1
.LBB77_40:                              ;   in Loop: Header=BB77_2 Depth=1
	s_or_saveexec_b64 s[18:19], s[18:19]
	v_mov_b32_e32 v72, v70
	s_xor_b64 exec, exec, s[18:19]
	s_cbranch_execz .LBB77_42
; %bb.41:                               ;   in Loop: Header=BB77_2 Depth=1
	ds_read_u8 v72, v68 offset:1
	s_waitcnt lgkmcnt(1)
	v_mov_b32_e32 v71, v69
.LBB77_42:                              ;   in Loop: Header=BB77_2 Depth=1
	s_or_b64 exec, exec, s[18:19]
	v_add_u32_e32 v74, 1, v67
	v_add_u32_e32 v73, 1, v68
	v_cndmask_b32_e64 v74, v74, v67, s[16:17]
	v_cndmask_b32_e64 v73, v68, v73, s[16:17]
	v_cmp_ge_i32_e64 s[20:21], v74, v19
	s_waitcnt lgkmcnt(0)
	v_cmp_lt_i16_sdwa s[22:23], sext(v72), sext(v71) src0_sel:BYTE_0 src1_sel:BYTE_0
	v_cmp_lt_i32_e64 s[18:19], v73, v20
	s_or_b64 s[20:21], s[20:21], s[22:23]
	s_and_b64 s[18:19], s[18:19], s[20:21]
	s_xor_b64 s[20:21], s[18:19], -1
                                        ; implicit-def: $vgpr75
	s_and_saveexec_b64 s[22:23], s[20:21]
	s_xor_b64 s[20:21], exec, s[22:23]
	s_cbranch_execz .LBB77_44
; %bb.43:                               ;   in Loop: Header=BB77_2 Depth=1
	ds_read_u8 v75, v74 offset:1
.LBB77_44:                              ;   in Loop: Header=BB77_2 Depth=1
	s_or_saveexec_b64 s[20:21], s[20:21]
	v_mov_b32_e32 v76, v72
	s_xor_b64 exec, exec, s[20:21]
	s_cbranch_execz .LBB77_46
; %bb.45:                               ;   in Loop: Header=BB77_2 Depth=1
	ds_read_u8 v76, v73 offset:1
	s_waitcnt lgkmcnt(1)
	v_mov_b32_e32 v75, v71
.LBB77_46:                              ;   in Loop: Header=BB77_2 Depth=1
	s_or_b64 exec, exec, s[20:21]
	v_add_u32_e32 v78, 1, v74
	v_add_u32_e32 v77, 1, v73
	v_cndmask_b32_e64 v78, v78, v74, s[18:19]
	v_cndmask_b32_e64 v77, v73, v77, s[18:19]
	v_cmp_ge_i32_e64 s[22:23], v78, v19
	s_waitcnt lgkmcnt(0)
	v_cmp_lt_i16_sdwa s[24:25], sext(v76), sext(v75) src0_sel:BYTE_0 src1_sel:BYTE_0
	v_cmp_lt_i32_e64 s[20:21], v77, v20
	s_or_b64 s[22:23], s[22:23], s[24:25]
	s_and_b64 s[20:21], s[20:21], s[22:23]
	s_xor_b64 s[22:23], s[20:21], -1
                                        ; implicit-def: $vgpr79
	s_and_saveexec_b64 s[24:25], s[22:23]
	s_xor_b64 s[22:23], exec, s[24:25]
	s_cbranch_execz .LBB77_48
; %bb.47:                               ;   in Loop: Header=BB77_2 Depth=1
	ds_read_u8 v79, v78 offset:1
.LBB77_48:                              ;   in Loop: Header=BB77_2 Depth=1
	s_or_saveexec_b64 s[22:23], s[22:23]
	v_mov_b32_e32 v80, v76
	s_xor_b64 exec, exec, s[22:23]
	s_cbranch_execz .LBB77_50
; %bb.49:                               ;   in Loop: Header=BB77_2 Depth=1
	ds_read_u8 v80, v77 offset:1
	s_waitcnt lgkmcnt(1)
	v_mov_b32_e32 v79, v75
.LBB77_50:                              ;   in Loop: Header=BB77_2 Depth=1
	s_or_b64 exec, exec, s[22:23]
	v_add_u32_e32 v81, 1, v78
	v_cndmask_b32_e64 v75, v75, v76, s[20:21]
	v_add_u32_e32 v76, 1, v77
	v_cndmask_b32_e64 v81, v81, v78, s[20:21]
	v_cndmask_b32_e64 v76, v77, v76, s[20:21]
	;; [unrolled: 1-line block ×5, first 2 shown]
	v_cmp_ge_i32_e64 s[18:19], v81, v19
	s_waitcnt lgkmcnt(0)
	v_cmp_lt_i16_sdwa s[20:21], sext(v80), sext(v79) src0_sel:BYTE_0 src1_sel:BYTE_0
	v_cndmask_b32_e64 v69, v69, v70, s[16:17]
	v_cndmask_b32_e64 v67, v67, v68, s[16:17]
	v_cmp_lt_i32_e64 s[16:17], v76, v20
	s_or_b64 s[18:19], s[18:19], s[20:21]
	s_and_b64 s[16:17], s[16:17], s[18:19]
	v_cndmask_b32_e64 v70, v81, v76, s[16:17]
	s_barrier
	ds_write_b8 v2, v64
	ds_write_b8 v2, v65 offset:1
	ds_write_b8 v2, v66 offset:2
	;; [unrolled: 1-line block ×3, first 2 shown]
	s_waitcnt lgkmcnt(0)
	s_barrier
	ds_read_u8 v63, v70
	ds_read_u8 v64, v67
	ds_read_u8 v65, v72
	ds_read_u8 v66, v77
	v_cndmask_b32_e64 v68, v79, v80, s[16:17]
	s_waitcnt lgkmcnt(0)
	s_barrier
	ds_write_b8 v2, v69
	ds_write_b8 v2, v71 offset:1
	ds_write_b8 v2, v75 offset:2
	;; [unrolled: 1-line block ×3, first 2 shown]
	v_mov_b32_e32 v68, v39
	s_waitcnt lgkmcnt(0)
	s_barrier
	s_and_saveexec_b64 s[18:19], s[4:5]
	s_cbranch_execz .LBB77_54
; %bb.51:                               ;   in Loop: Header=BB77_2 Depth=1
	s_mov_b64 s[20:21], 0
	v_mov_b32_e32 v68, v39
	v_mov_b32_e32 v67, v34
.LBB77_52:                              ;   Parent Loop BB77_2 Depth=1
                                        ; =>  This Inner Loop Header: Depth=2
	v_sub_u32_e32 v69, v67, v68
	v_lshrrev_b32_e32 v70, 31, v69
	v_add_u32_e32 v69, v69, v70
	v_ashrrev_i32_e32 v69, 1, v69
	v_add_u32_e32 v69, v69, v68
	v_not_b32_e32 v71, v69
	v_add_u32_e32 v70, v9, v69
	v_add3_u32 v71, v10, v71, v21
	ds_read_i8 v70, v70
	ds_read_i8 v71, v71
	v_add_u32_e32 v72, 1, v69
	s_waitcnt lgkmcnt(0)
	v_cmp_lt_i16_e64 s[16:17], v71, v70
	s_nop 1
	v_cndmask_b32_e64 v67, v67, v69, s[16:17]
	v_cndmask_b32_e64 v68, v72, v68, s[16:17]
	v_cmp_ge_i32_e64 s[16:17], v68, v67
	s_or_b64 s[20:21], s[16:17], s[20:21]
	s_andn2_b64 exec, exec, s[20:21]
	s_cbranch_execnz .LBB77_52
; %bb.53:                               ;   in Loop: Header=BB77_2 Depth=1
	s_or_b64 exec, exec, s[20:21]
.LBB77_54:                              ;   in Loop: Header=BB77_2 Depth=1
	s_or_b64 exec, exec, s[18:19]
	v_add_u32_e32 v67, v68, v9
	v_sub_u32_e32 v68, v30, v68
	ds_read_u8 v69, v67
	ds_read_u8 v70, v68
	v_cmp_le_i32_e64 s[18:19], v21, v67
	v_cmp_gt_i32_e64 s[16:17], v22, v68
                                        ; implicit-def: $vgpr71
	s_waitcnt lgkmcnt(1)
	v_bfe_i32 v69, v69, 0, 8
	s_waitcnt lgkmcnt(0)
	v_bfe_i32 v70, v70, 0, 8
	v_cmp_lt_i16_e64 s[20:21], v70, v69
	s_or_b64 s[18:19], s[18:19], s[20:21]
	s_and_b64 s[16:17], s[16:17], s[18:19]
	s_xor_b64 s[18:19], s[16:17], -1
	s_and_saveexec_b64 s[20:21], s[18:19]
	s_xor_b64 s[18:19], exec, s[20:21]
	s_cbranch_execz .LBB77_56
; %bb.55:                               ;   in Loop: Header=BB77_2 Depth=1
	ds_read_u8 v71, v67 offset:1
.LBB77_56:                              ;   in Loop: Header=BB77_2 Depth=1
	s_or_saveexec_b64 s[18:19], s[18:19]
	v_mov_b32_e32 v72, v70
	s_xor_b64 exec, exec, s[18:19]
	s_cbranch_execz .LBB77_58
; %bb.57:                               ;   in Loop: Header=BB77_2 Depth=1
	ds_read_u8 v72, v68 offset:1
	s_waitcnt lgkmcnt(1)
	v_mov_b32_e32 v71, v69
.LBB77_58:                              ;   in Loop: Header=BB77_2 Depth=1
	s_or_b64 exec, exec, s[18:19]
	v_add_u32_e32 v74, 1, v67
	v_add_u32_e32 v73, 1, v68
	v_cndmask_b32_e64 v74, v74, v67, s[16:17]
	v_cndmask_b32_e64 v73, v68, v73, s[16:17]
	v_cmp_ge_i32_e64 s[20:21], v74, v21
	s_waitcnt lgkmcnt(0)
	v_cmp_lt_i16_sdwa s[22:23], sext(v72), sext(v71) src0_sel:BYTE_0 src1_sel:BYTE_0
	v_cmp_lt_i32_e64 s[18:19], v73, v22
	s_or_b64 s[20:21], s[20:21], s[22:23]
	s_and_b64 s[18:19], s[18:19], s[20:21]
	s_xor_b64 s[20:21], s[18:19], -1
                                        ; implicit-def: $vgpr75
	s_and_saveexec_b64 s[22:23], s[20:21]
	s_xor_b64 s[20:21], exec, s[22:23]
	s_cbranch_execz .LBB77_60
; %bb.59:                               ;   in Loop: Header=BB77_2 Depth=1
	ds_read_u8 v75, v74 offset:1
.LBB77_60:                              ;   in Loop: Header=BB77_2 Depth=1
	s_or_saveexec_b64 s[20:21], s[20:21]
	v_mov_b32_e32 v76, v72
	s_xor_b64 exec, exec, s[20:21]
	s_cbranch_execz .LBB77_62
; %bb.61:                               ;   in Loop: Header=BB77_2 Depth=1
	ds_read_u8 v76, v73 offset:1
	s_waitcnt lgkmcnt(1)
	v_mov_b32_e32 v75, v71
.LBB77_62:                              ;   in Loop: Header=BB77_2 Depth=1
	s_or_b64 exec, exec, s[20:21]
	v_add_u32_e32 v78, 1, v74
	v_add_u32_e32 v77, 1, v73
	v_cndmask_b32_e64 v78, v78, v74, s[18:19]
	v_cndmask_b32_e64 v77, v73, v77, s[18:19]
	v_cmp_ge_i32_e64 s[22:23], v78, v21
	s_waitcnt lgkmcnt(0)
	v_cmp_lt_i16_sdwa s[24:25], sext(v76), sext(v75) src0_sel:BYTE_0 src1_sel:BYTE_0
	v_cmp_lt_i32_e64 s[20:21], v77, v22
	s_or_b64 s[22:23], s[22:23], s[24:25]
	s_and_b64 s[20:21], s[20:21], s[22:23]
	s_xor_b64 s[22:23], s[20:21], -1
                                        ; implicit-def: $vgpr79
	s_and_saveexec_b64 s[24:25], s[22:23]
	s_xor_b64 s[22:23], exec, s[24:25]
	s_cbranch_execz .LBB77_64
; %bb.63:                               ;   in Loop: Header=BB77_2 Depth=1
	ds_read_u8 v79, v78 offset:1
.LBB77_64:                              ;   in Loop: Header=BB77_2 Depth=1
	s_or_saveexec_b64 s[22:23], s[22:23]
	v_mov_b32_e32 v80, v76
	s_xor_b64 exec, exec, s[22:23]
	s_cbranch_execz .LBB77_66
; %bb.65:                               ;   in Loop: Header=BB77_2 Depth=1
	ds_read_u8 v80, v77 offset:1
	s_waitcnt lgkmcnt(1)
	v_mov_b32_e32 v79, v75
.LBB77_66:                              ;   in Loop: Header=BB77_2 Depth=1
	s_or_b64 exec, exec, s[22:23]
	v_add_u32_e32 v81, 1, v78
	v_cndmask_b32_e64 v75, v75, v76, s[20:21]
	v_add_u32_e32 v76, 1, v77
	v_cndmask_b32_e64 v81, v81, v78, s[20:21]
	v_cndmask_b32_e64 v76, v77, v76, s[20:21]
	;; [unrolled: 1-line block ×5, first 2 shown]
	v_cmp_ge_i32_e64 s[18:19], v81, v21
	s_waitcnt lgkmcnt(0)
	v_cmp_lt_i16_sdwa s[20:21], sext(v80), sext(v79) src0_sel:BYTE_0 src1_sel:BYTE_0
	v_cndmask_b32_e64 v69, v69, v70, s[16:17]
	v_cndmask_b32_e64 v67, v67, v68, s[16:17]
	v_cmp_lt_i32_e64 s[16:17], v76, v22
	s_or_b64 s[18:19], s[18:19], s[20:21]
	s_and_b64 s[16:17], s[16:17], s[18:19]
	v_cndmask_b32_e64 v70, v81, v76, s[16:17]
	s_barrier
	ds_write_b8 v2, v64
	ds_write_b8 v2, v65 offset:1
	ds_write_b8 v2, v66 offset:2
	;; [unrolled: 1-line block ×3, first 2 shown]
	s_waitcnt lgkmcnt(0)
	s_barrier
	ds_read_u8 v63, v70
	ds_read_u8 v64, v67
	;; [unrolled: 1-line block ×4, first 2 shown]
	v_cndmask_b32_e64 v68, v79, v80, s[16:17]
	s_waitcnt lgkmcnt(0)
	s_barrier
	ds_write_b8 v2, v69
	ds_write_b8 v2, v71 offset:1
	ds_write_b8 v2, v75 offset:2
	;; [unrolled: 1-line block ×3, first 2 shown]
	v_mov_b32_e32 v68, v40
	s_waitcnt lgkmcnt(0)
	s_barrier
	s_and_saveexec_b64 s[18:19], s[6:7]
	s_cbranch_execz .LBB77_70
; %bb.67:                               ;   in Loop: Header=BB77_2 Depth=1
	s_mov_b64 s[20:21], 0
	v_mov_b32_e32 v68, v40
	v_mov_b32_e32 v67, v35
.LBB77_68:                              ;   Parent Loop BB77_2 Depth=1
                                        ; =>  This Inner Loop Header: Depth=2
	v_sub_u32_e32 v69, v67, v68
	v_lshrrev_b32_e32 v70, 31, v69
	v_add_u32_e32 v69, v69, v70
	v_ashrrev_i32_e32 v69, 1, v69
	v_add_u32_e32 v69, v69, v68
	v_not_b32_e32 v71, v69
	v_add_u32_e32 v70, v11, v69
	v_add3_u32 v71, v12, v71, v23
	ds_read_i8 v70, v70
	ds_read_i8 v71, v71
	v_add_u32_e32 v72, 1, v69
	s_waitcnt lgkmcnt(0)
	v_cmp_lt_i16_e64 s[16:17], v71, v70
	s_nop 1
	v_cndmask_b32_e64 v67, v67, v69, s[16:17]
	v_cndmask_b32_e64 v68, v72, v68, s[16:17]
	v_cmp_ge_i32_e64 s[16:17], v68, v67
	s_or_b64 s[20:21], s[16:17], s[20:21]
	s_andn2_b64 exec, exec, s[20:21]
	s_cbranch_execnz .LBB77_68
; %bb.69:                               ;   in Loop: Header=BB77_2 Depth=1
	s_or_b64 exec, exec, s[20:21]
.LBB77_70:                              ;   in Loop: Header=BB77_2 Depth=1
	s_or_b64 exec, exec, s[18:19]
	v_add_u32_e32 v67, v68, v11
	v_sub_u32_e32 v68, v58, v68
	ds_read_u8 v69, v67
	ds_read_u8 v70, v68
	v_cmp_le_i32_e64 s[18:19], v23, v67
	v_cmp_gt_i32_e64 s[16:17], v24, v68
                                        ; implicit-def: $vgpr71
	s_waitcnt lgkmcnt(1)
	v_bfe_i32 v69, v69, 0, 8
	s_waitcnt lgkmcnt(0)
	v_bfe_i32 v70, v70, 0, 8
	v_cmp_lt_i16_e64 s[20:21], v70, v69
	s_or_b64 s[18:19], s[18:19], s[20:21]
	s_and_b64 s[16:17], s[16:17], s[18:19]
	s_xor_b64 s[18:19], s[16:17], -1
	s_and_saveexec_b64 s[20:21], s[18:19]
	s_xor_b64 s[18:19], exec, s[20:21]
	s_cbranch_execz .LBB77_72
; %bb.71:                               ;   in Loop: Header=BB77_2 Depth=1
	ds_read_u8 v71, v67 offset:1
.LBB77_72:                              ;   in Loop: Header=BB77_2 Depth=1
	s_or_saveexec_b64 s[18:19], s[18:19]
	v_mov_b32_e32 v72, v70
	s_xor_b64 exec, exec, s[18:19]
	s_cbranch_execz .LBB77_74
; %bb.73:                               ;   in Loop: Header=BB77_2 Depth=1
	ds_read_u8 v72, v68 offset:1
	s_waitcnt lgkmcnt(1)
	v_mov_b32_e32 v71, v69
.LBB77_74:                              ;   in Loop: Header=BB77_2 Depth=1
	s_or_b64 exec, exec, s[18:19]
	v_add_u32_e32 v74, 1, v67
	v_add_u32_e32 v73, 1, v68
	v_cndmask_b32_e64 v74, v74, v67, s[16:17]
	v_cndmask_b32_e64 v73, v68, v73, s[16:17]
	v_cmp_ge_i32_e64 s[20:21], v74, v23
	s_waitcnt lgkmcnt(0)
	v_cmp_lt_i16_sdwa s[22:23], sext(v72), sext(v71) src0_sel:BYTE_0 src1_sel:BYTE_0
	v_cmp_lt_i32_e64 s[18:19], v73, v24
	s_or_b64 s[20:21], s[20:21], s[22:23]
	s_and_b64 s[18:19], s[18:19], s[20:21]
	s_xor_b64 s[20:21], s[18:19], -1
                                        ; implicit-def: $vgpr75
	s_and_saveexec_b64 s[22:23], s[20:21]
	s_xor_b64 s[20:21], exec, s[22:23]
	s_cbranch_execz .LBB77_76
; %bb.75:                               ;   in Loop: Header=BB77_2 Depth=1
	ds_read_u8 v75, v74 offset:1
.LBB77_76:                              ;   in Loop: Header=BB77_2 Depth=1
	s_or_saveexec_b64 s[20:21], s[20:21]
	v_mov_b32_e32 v76, v72
	s_xor_b64 exec, exec, s[20:21]
	s_cbranch_execz .LBB77_78
; %bb.77:                               ;   in Loop: Header=BB77_2 Depth=1
	ds_read_u8 v76, v73 offset:1
	s_waitcnt lgkmcnt(1)
	v_mov_b32_e32 v75, v71
.LBB77_78:                              ;   in Loop: Header=BB77_2 Depth=1
	s_or_b64 exec, exec, s[20:21]
	v_add_u32_e32 v78, 1, v74
	v_add_u32_e32 v77, 1, v73
	v_cndmask_b32_e64 v78, v78, v74, s[18:19]
	v_cndmask_b32_e64 v77, v73, v77, s[18:19]
	v_cmp_ge_i32_e64 s[22:23], v78, v23
	s_waitcnt lgkmcnt(0)
	v_cmp_lt_i16_sdwa s[24:25], sext(v76), sext(v75) src0_sel:BYTE_0 src1_sel:BYTE_0
	v_cmp_lt_i32_e64 s[20:21], v77, v24
	s_or_b64 s[22:23], s[22:23], s[24:25]
	s_and_b64 s[20:21], s[20:21], s[22:23]
	s_xor_b64 s[22:23], s[20:21], -1
                                        ; implicit-def: $vgpr79
	s_and_saveexec_b64 s[24:25], s[22:23]
	s_xor_b64 s[22:23], exec, s[24:25]
	s_cbranch_execz .LBB77_80
; %bb.79:                               ;   in Loop: Header=BB77_2 Depth=1
	ds_read_u8 v79, v78 offset:1
.LBB77_80:                              ;   in Loop: Header=BB77_2 Depth=1
	s_or_saveexec_b64 s[22:23], s[22:23]
	v_mov_b32_e32 v80, v76
	s_xor_b64 exec, exec, s[22:23]
	s_cbranch_execz .LBB77_82
; %bb.81:                               ;   in Loop: Header=BB77_2 Depth=1
	ds_read_u8 v80, v77 offset:1
	s_waitcnt lgkmcnt(1)
	v_mov_b32_e32 v79, v75
.LBB77_82:                              ;   in Loop: Header=BB77_2 Depth=1
	s_or_b64 exec, exec, s[22:23]
	v_add_u32_e32 v81, 1, v78
	v_cndmask_b32_e64 v75, v75, v76, s[20:21]
	v_add_u32_e32 v76, 1, v77
	v_cndmask_b32_e64 v81, v81, v78, s[20:21]
	v_cndmask_b32_e64 v76, v77, v76, s[20:21]
	;; [unrolled: 1-line block ×5, first 2 shown]
	v_cmp_ge_i32_e64 s[18:19], v81, v23
	s_waitcnt lgkmcnt(0)
	v_cmp_lt_i16_sdwa s[20:21], sext(v80), sext(v79) src0_sel:BYTE_0 src1_sel:BYTE_0
	v_cndmask_b32_e64 v69, v69, v70, s[16:17]
	v_cndmask_b32_e64 v67, v67, v68, s[16:17]
	v_cmp_lt_i32_e64 s[16:17], v76, v24
	s_or_b64 s[18:19], s[18:19], s[20:21]
	s_and_b64 s[16:17], s[16:17], s[18:19]
	v_cndmask_b32_e64 v70, v81, v76, s[16:17]
	s_barrier
	ds_write_b8 v2, v64
	ds_write_b8 v2, v65 offset:1
	ds_write_b8 v2, v66 offset:2
	;; [unrolled: 1-line block ×3, first 2 shown]
	s_waitcnt lgkmcnt(0)
	s_barrier
	ds_read_u8 v63, v70
	ds_read_u8 v64, v67
	;; [unrolled: 1-line block ×4, first 2 shown]
	v_cndmask_b32_e64 v68, v79, v80, s[16:17]
	s_waitcnt lgkmcnt(0)
	s_barrier
	ds_write_b8 v2, v69
	ds_write_b8 v2, v71 offset:1
	ds_write_b8 v2, v75 offset:2
	;; [unrolled: 1-line block ×3, first 2 shown]
	v_mov_b32_e32 v68, v41
	s_waitcnt lgkmcnt(0)
	s_barrier
	s_and_saveexec_b64 s[18:19], s[8:9]
	s_cbranch_execz .LBB77_86
; %bb.83:                               ;   in Loop: Header=BB77_2 Depth=1
	s_mov_b64 s[20:21], 0
	v_mov_b32_e32 v68, v41
	v_mov_b32_e32 v67, v42
.LBB77_84:                              ;   Parent Loop BB77_2 Depth=1
                                        ; =>  This Inner Loop Header: Depth=2
	v_sub_u32_e32 v69, v67, v68
	v_lshrrev_b32_e32 v70, 31, v69
	v_add_u32_e32 v69, v69, v70
	v_ashrrev_i32_e32 v69, 1, v69
	v_add_u32_e32 v69, v69, v68
	v_not_b32_e32 v71, v69
	v_add_u32_e32 v70, v13, v69
	v_add3_u32 v71, v14, v71, v25
	ds_read_i8 v70, v70
	ds_read_i8 v71, v71
	v_add_u32_e32 v72, 1, v69
	s_waitcnt lgkmcnt(0)
	v_cmp_lt_i16_e64 s[16:17], v71, v70
	s_nop 1
	v_cndmask_b32_e64 v67, v67, v69, s[16:17]
	v_cndmask_b32_e64 v68, v72, v68, s[16:17]
	v_cmp_ge_i32_e64 s[16:17], v68, v67
	s_or_b64 s[20:21], s[16:17], s[20:21]
	s_andn2_b64 exec, exec, s[20:21]
	s_cbranch_execnz .LBB77_84
; %bb.85:                               ;   in Loop: Header=BB77_2 Depth=1
	s_or_b64 exec, exec, s[20:21]
.LBB77_86:                              ;   in Loop: Header=BB77_2 Depth=1
	s_or_b64 exec, exec, s[18:19]
	v_add_u32_e32 v67, v68, v13
	v_sub_u32_e32 v68, v59, v68
	ds_read_u8 v69, v67
	ds_read_u8 v70, v68
	v_cmp_le_i32_e64 s[18:19], v25, v67
	v_cmp_gt_i32_e64 s[16:17], v26, v68
                                        ; implicit-def: $vgpr71
	s_waitcnt lgkmcnt(1)
	v_bfe_i32 v69, v69, 0, 8
	s_waitcnt lgkmcnt(0)
	v_bfe_i32 v70, v70, 0, 8
	v_cmp_lt_i16_e64 s[20:21], v70, v69
	s_or_b64 s[18:19], s[18:19], s[20:21]
	s_and_b64 s[16:17], s[16:17], s[18:19]
	s_xor_b64 s[18:19], s[16:17], -1
	s_and_saveexec_b64 s[20:21], s[18:19]
	s_xor_b64 s[18:19], exec, s[20:21]
	s_cbranch_execz .LBB77_88
; %bb.87:                               ;   in Loop: Header=BB77_2 Depth=1
	ds_read_u8 v71, v67 offset:1
.LBB77_88:                              ;   in Loop: Header=BB77_2 Depth=1
	s_or_saveexec_b64 s[18:19], s[18:19]
	v_mov_b32_e32 v72, v70
	s_xor_b64 exec, exec, s[18:19]
	s_cbranch_execz .LBB77_90
; %bb.89:                               ;   in Loop: Header=BB77_2 Depth=1
	ds_read_u8 v72, v68 offset:1
	s_waitcnt lgkmcnt(1)
	v_mov_b32_e32 v71, v69
.LBB77_90:                              ;   in Loop: Header=BB77_2 Depth=1
	s_or_b64 exec, exec, s[18:19]
	v_add_u32_e32 v74, 1, v67
	v_add_u32_e32 v73, 1, v68
	v_cndmask_b32_e64 v74, v74, v67, s[16:17]
	v_cndmask_b32_e64 v73, v68, v73, s[16:17]
	v_cmp_ge_i32_e64 s[20:21], v74, v25
	s_waitcnt lgkmcnt(0)
	v_cmp_lt_i16_sdwa s[22:23], sext(v72), sext(v71) src0_sel:BYTE_0 src1_sel:BYTE_0
	v_cmp_lt_i32_e64 s[18:19], v73, v26
	s_or_b64 s[20:21], s[20:21], s[22:23]
	s_and_b64 s[18:19], s[18:19], s[20:21]
	s_xor_b64 s[20:21], s[18:19], -1
                                        ; implicit-def: $vgpr75
	s_and_saveexec_b64 s[22:23], s[20:21]
	s_xor_b64 s[20:21], exec, s[22:23]
	s_cbranch_execz .LBB77_92
; %bb.91:                               ;   in Loop: Header=BB77_2 Depth=1
	ds_read_u8 v75, v74 offset:1
.LBB77_92:                              ;   in Loop: Header=BB77_2 Depth=1
	s_or_saveexec_b64 s[20:21], s[20:21]
	v_mov_b32_e32 v76, v72
	s_xor_b64 exec, exec, s[20:21]
	s_cbranch_execz .LBB77_94
; %bb.93:                               ;   in Loop: Header=BB77_2 Depth=1
	ds_read_u8 v76, v73 offset:1
	s_waitcnt lgkmcnt(1)
	v_mov_b32_e32 v75, v71
.LBB77_94:                              ;   in Loop: Header=BB77_2 Depth=1
	s_or_b64 exec, exec, s[20:21]
	v_add_u32_e32 v78, 1, v74
	v_add_u32_e32 v77, 1, v73
	v_cndmask_b32_e64 v78, v78, v74, s[18:19]
	v_cndmask_b32_e64 v77, v73, v77, s[18:19]
	v_cmp_ge_i32_e64 s[22:23], v78, v25
	s_waitcnt lgkmcnt(0)
	v_cmp_lt_i16_sdwa s[24:25], sext(v76), sext(v75) src0_sel:BYTE_0 src1_sel:BYTE_0
	v_cmp_lt_i32_e64 s[20:21], v77, v26
	s_or_b64 s[22:23], s[22:23], s[24:25]
	s_and_b64 s[20:21], s[20:21], s[22:23]
	s_xor_b64 s[22:23], s[20:21], -1
                                        ; implicit-def: $vgpr79
	s_and_saveexec_b64 s[24:25], s[22:23]
	s_xor_b64 s[22:23], exec, s[24:25]
	s_cbranch_execz .LBB77_96
; %bb.95:                               ;   in Loop: Header=BB77_2 Depth=1
	ds_read_u8 v79, v78 offset:1
.LBB77_96:                              ;   in Loop: Header=BB77_2 Depth=1
	s_or_saveexec_b64 s[22:23], s[22:23]
	v_mov_b32_e32 v80, v76
	s_xor_b64 exec, exec, s[22:23]
	s_cbranch_execz .LBB77_98
; %bb.97:                               ;   in Loop: Header=BB77_2 Depth=1
	ds_read_u8 v80, v77 offset:1
	s_waitcnt lgkmcnt(1)
	v_mov_b32_e32 v79, v75
.LBB77_98:                              ;   in Loop: Header=BB77_2 Depth=1
	s_or_b64 exec, exec, s[22:23]
	v_add_u32_e32 v81, 1, v78
	v_cndmask_b32_e64 v75, v75, v76, s[20:21]
	v_add_u32_e32 v76, 1, v77
	v_cndmask_b32_e64 v81, v81, v78, s[20:21]
	v_cndmask_b32_e64 v76, v77, v76, s[20:21]
	;; [unrolled: 1-line block ×5, first 2 shown]
	v_cmp_ge_i32_e64 s[18:19], v81, v25
	s_waitcnt lgkmcnt(0)
	v_cmp_lt_i16_sdwa s[20:21], sext(v80), sext(v79) src0_sel:BYTE_0 src1_sel:BYTE_0
	v_cndmask_b32_e64 v69, v69, v70, s[16:17]
	v_cndmask_b32_e64 v67, v67, v68, s[16:17]
	v_cmp_lt_i32_e64 s[16:17], v76, v26
	s_or_b64 s[18:19], s[18:19], s[20:21]
	s_and_b64 s[16:17], s[16:17], s[18:19]
	v_cndmask_b32_e64 v70, v81, v76, s[16:17]
	s_barrier
	ds_write_b8 v2, v64
	ds_write_b8 v2, v65 offset:1
	ds_write_b8 v2, v66 offset:2
	;; [unrolled: 1-line block ×3, first 2 shown]
	s_waitcnt lgkmcnt(0)
	s_barrier
	ds_read_u8 v63, v70
	ds_read_u8 v64, v67
	;; [unrolled: 1-line block ×4, first 2 shown]
	v_cndmask_b32_e64 v68, v79, v80, s[16:17]
	s_waitcnt lgkmcnt(0)
	s_barrier
	ds_write_b8 v2, v69
	ds_write_b8 v2, v71 offset:1
	ds_write_b8 v2, v75 offset:2
	;; [unrolled: 1-line block ×3, first 2 shown]
	v_mov_b32_e32 v68, v47
	s_waitcnt lgkmcnt(0)
	s_barrier
	s_and_saveexec_b64 s[18:19], s[10:11]
	s_cbranch_execz .LBB77_102
; %bb.99:                               ;   in Loop: Header=BB77_2 Depth=1
	s_mov_b64 s[20:21], 0
	v_mov_b32_e32 v68, v47
	v_mov_b32_e32 v67, v48
.LBB77_100:                             ;   Parent Loop BB77_2 Depth=1
                                        ; =>  This Inner Loop Header: Depth=2
	v_sub_u32_e32 v69, v67, v68
	v_lshrrev_b32_e32 v70, 31, v69
	v_add_u32_e32 v69, v69, v70
	v_ashrrev_i32_e32 v69, 1, v69
	v_add_u32_e32 v69, v69, v68
	v_not_b32_e32 v71, v69
	v_add_u32_e32 v70, v43, v69
	v_add3_u32 v71, v44, v71, v45
	ds_read_i8 v70, v70
	ds_read_i8 v71, v71
	v_add_u32_e32 v72, 1, v69
	s_waitcnt lgkmcnt(0)
	v_cmp_lt_i16_e64 s[16:17], v71, v70
	s_nop 1
	v_cndmask_b32_e64 v67, v67, v69, s[16:17]
	v_cndmask_b32_e64 v68, v72, v68, s[16:17]
	v_cmp_ge_i32_e64 s[16:17], v68, v67
	s_or_b64 s[20:21], s[16:17], s[20:21]
	s_andn2_b64 exec, exec, s[20:21]
	s_cbranch_execnz .LBB77_100
; %bb.101:                              ;   in Loop: Header=BB77_2 Depth=1
	s_or_b64 exec, exec, s[20:21]
.LBB77_102:                             ;   in Loop: Header=BB77_2 Depth=1
	s_or_b64 exec, exec, s[18:19]
	v_add_u32_e32 v67, v68, v43
	v_sub_u32_e32 v68, v60, v68
	ds_read_u8 v69, v67
	ds_read_u8 v70, v68
	v_cmp_le_i32_e64 s[18:19], v45, v67
	v_cmp_gt_i32_e64 s[16:17], v46, v68
                                        ; implicit-def: $vgpr71
	s_waitcnt lgkmcnt(1)
	v_bfe_i32 v69, v69, 0, 8
	s_waitcnt lgkmcnt(0)
	v_bfe_i32 v70, v70, 0, 8
	v_cmp_lt_i16_e64 s[20:21], v70, v69
	s_or_b64 s[18:19], s[18:19], s[20:21]
	s_and_b64 s[16:17], s[16:17], s[18:19]
	s_xor_b64 s[18:19], s[16:17], -1
	s_and_saveexec_b64 s[20:21], s[18:19]
	s_xor_b64 s[18:19], exec, s[20:21]
	s_cbranch_execz .LBB77_104
; %bb.103:                              ;   in Loop: Header=BB77_2 Depth=1
	ds_read_u8 v71, v67 offset:1
.LBB77_104:                             ;   in Loop: Header=BB77_2 Depth=1
	s_or_saveexec_b64 s[18:19], s[18:19]
	v_mov_b32_e32 v72, v70
	s_xor_b64 exec, exec, s[18:19]
	s_cbranch_execz .LBB77_106
; %bb.105:                              ;   in Loop: Header=BB77_2 Depth=1
	ds_read_u8 v72, v68 offset:1
	s_waitcnt lgkmcnt(1)
	v_mov_b32_e32 v71, v69
.LBB77_106:                             ;   in Loop: Header=BB77_2 Depth=1
	s_or_b64 exec, exec, s[18:19]
	v_add_u32_e32 v74, 1, v67
	v_add_u32_e32 v73, 1, v68
	v_cndmask_b32_e64 v74, v74, v67, s[16:17]
	v_cndmask_b32_e64 v73, v68, v73, s[16:17]
	v_cmp_ge_i32_e64 s[20:21], v74, v45
	s_waitcnt lgkmcnt(0)
	v_cmp_lt_i16_sdwa s[22:23], sext(v72), sext(v71) src0_sel:BYTE_0 src1_sel:BYTE_0
	v_cmp_lt_i32_e64 s[18:19], v73, v46
	s_or_b64 s[20:21], s[20:21], s[22:23]
	s_and_b64 s[18:19], s[18:19], s[20:21]
	s_xor_b64 s[20:21], s[18:19], -1
                                        ; implicit-def: $vgpr75
	s_and_saveexec_b64 s[22:23], s[20:21]
	s_xor_b64 s[20:21], exec, s[22:23]
	s_cbranch_execz .LBB77_108
; %bb.107:                              ;   in Loop: Header=BB77_2 Depth=1
	ds_read_u8 v75, v74 offset:1
.LBB77_108:                             ;   in Loop: Header=BB77_2 Depth=1
	s_or_saveexec_b64 s[20:21], s[20:21]
	v_mov_b32_e32 v76, v72
	s_xor_b64 exec, exec, s[20:21]
	s_cbranch_execz .LBB77_110
; %bb.109:                              ;   in Loop: Header=BB77_2 Depth=1
	ds_read_u8 v76, v73 offset:1
	s_waitcnt lgkmcnt(1)
	v_mov_b32_e32 v75, v71
.LBB77_110:                             ;   in Loop: Header=BB77_2 Depth=1
	s_or_b64 exec, exec, s[20:21]
	v_add_u32_e32 v78, 1, v74
	v_add_u32_e32 v77, 1, v73
	v_cndmask_b32_e64 v78, v78, v74, s[18:19]
	v_cndmask_b32_e64 v77, v73, v77, s[18:19]
	v_cmp_ge_i32_e64 s[22:23], v78, v45
	s_waitcnt lgkmcnt(0)
	v_cmp_lt_i16_sdwa s[24:25], sext(v76), sext(v75) src0_sel:BYTE_0 src1_sel:BYTE_0
	v_cmp_lt_i32_e64 s[20:21], v77, v46
	s_or_b64 s[22:23], s[22:23], s[24:25]
	s_and_b64 s[20:21], s[20:21], s[22:23]
	s_xor_b64 s[22:23], s[20:21], -1
                                        ; implicit-def: $vgpr79
	s_and_saveexec_b64 s[24:25], s[22:23]
	s_xor_b64 s[22:23], exec, s[24:25]
	s_cbranch_execz .LBB77_112
; %bb.111:                              ;   in Loop: Header=BB77_2 Depth=1
	ds_read_u8 v79, v78 offset:1
.LBB77_112:                             ;   in Loop: Header=BB77_2 Depth=1
	s_or_saveexec_b64 s[22:23], s[22:23]
	v_mov_b32_e32 v80, v76
	s_xor_b64 exec, exec, s[22:23]
	s_cbranch_execz .LBB77_114
; %bb.113:                              ;   in Loop: Header=BB77_2 Depth=1
	ds_read_u8 v80, v77 offset:1
	s_waitcnt lgkmcnt(1)
	v_mov_b32_e32 v79, v75
.LBB77_114:                             ;   in Loop: Header=BB77_2 Depth=1
	s_or_b64 exec, exec, s[22:23]
	v_add_u32_e32 v81, 1, v78
	v_cndmask_b32_e64 v75, v75, v76, s[20:21]
	v_add_u32_e32 v76, 1, v77
	v_cndmask_b32_e64 v81, v81, v78, s[20:21]
	v_cndmask_b32_e64 v76, v77, v76, s[20:21]
	;; [unrolled: 1-line block ×5, first 2 shown]
	v_cmp_ge_i32_e64 s[18:19], v81, v45
	s_waitcnt lgkmcnt(0)
	v_cmp_lt_i16_sdwa s[20:21], sext(v80), sext(v79) src0_sel:BYTE_0 src1_sel:BYTE_0
	v_cndmask_b32_e64 v69, v69, v70, s[16:17]
	v_cndmask_b32_e64 v67, v67, v68, s[16:17]
	v_cmp_lt_i32_e64 s[16:17], v76, v46
	s_or_b64 s[18:19], s[18:19], s[20:21]
	s_and_b64 s[16:17], s[16:17], s[18:19]
	v_cndmask_b32_e64 v70, v81, v76, s[16:17]
	s_barrier
	ds_write_b8 v2, v64
	ds_write_b8 v2, v65 offset:1
	ds_write_b8 v2, v66 offset:2
	;; [unrolled: 1-line block ×3, first 2 shown]
	s_waitcnt lgkmcnt(0)
	s_barrier
	ds_read_u8 v63, v70
	ds_read_u8 v64, v67
	;; [unrolled: 1-line block ×4, first 2 shown]
	v_cndmask_b32_e64 v68, v79, v80, s[16:17]
	s_waitcnt lgkmcnt(0)
	s_barrier
	ds_write_b8 v2, v69
	ds_write_b8 v2, v71 offset:1
	ds_write_b8 v2, v75 offset:2
	;; [unrolled: 1-line block ×3, first 2 shown]
	v_mov_b32_e32 v68, v54
	s_waitcnt lgkmcnt(0)
	s_barrier
	s_and_saveexec_b64 s[18:19], s[12:13]
	s_cbranch_execz .LBB77_118
; %bb.115:                              ;   in Loop: Header=BB77_2 Depth=1
	s_mov_b64 s[20:21], 0
	v_mov_b32_e32 v68, v54
	v_mov_b32_e32 v67, v55
.LBB77_116:                             ;   Parent Loop BB77_2 Depth=1
                                        ; =>  This Inner Loop Header: Depth=2
	v_sub_u32_e32 v69, v67, v68
	v_lshrrev_b32_e32 v70, 31, v69
	v_add_u32_e32 v69, v69, v70
	v_ashrrev_i32_e32 v69, 1, v69
	v_add_u32_e32 v69, v69, v68
	v_not_b32_e32 v71, v69
	v_add_u32_e32 v70, v50, v69
	v_add3_u32 v71, v51, v71, v52
	ds_read_i8 v70, v70
	ds_read_i8 v71, v71
	v_add_u32_e32 v72, 1, v69
	s_waitcnt lgkmcnt(0)
	v_cmp_lt_i16_e64 s[16:17], v71, v70
	s_nop 1
	v_cndmask_b32_e64 v67, v67, v69, s[16:17]
	v_cndmask_b32_e64 v68, v72, v68, s[16:17]
	v_cmp_ge_i32_e64 s[16:17], v68, v67
	s_or_b64 s[20:21], s[16:17], s[20:21]
	s_andn2_b64 exec, exec, s[20:21]
	s_cbranch_execnz .LBB77_116
; %bb.117:                              ;   in Loop: Header=BB77_2 Depth=1
	s_or_b64 exec, exec, s[20:21]
.LBB77_118:                             ;   in Loop: Header=BB77_2 Depth=1
	s_or_b64 exec, exec, s[18:19]
	v_add_u32_e32 v67, v68, v50
	v_sub_u32_e32 v68, v61, v68
	ds_read_u8 v69, v67
	ds_read_u8 v70, v68
	v_cmp_le_i32_e64 s[18:19], v52, v67
	v_cmp_gt_i32_e64 s[16:17], v53, v68
                                        ; implicit-def: $vgpr71
	s_waitcnt lgkmcnt(1)
	v_bfe_i32 v69, v69, 0, 8
	s_waitcnt lgkmcnt(0)
	v_bfe_i32 v70, v70, 0, 8
	v_cmp_lt_i16_e64 s[20:21], v70, v69
	s_or_b64 s[18:19], s[18:19], s[20:21]
	s_and_b64 s[16:17], s[16:17], s[18:19]
	s_xor_b64 s[18:19], s[16:17], -1
	s_and_saveexec_b64 s[20:21], s[18:19]
	s_xor_b64 s[18:19], exec, s[20:21]
	s_cbranch_execz .LBB77_120
; %bb.119:                              ;   in Loop: Header=BB77_2 Depth=1
	ds_read_u8 v71, v67 offset:1
.LBB77_120:                             ;   in Loop: Header=BB77_2 Depth=1
	s_or_saveexec_b64 s[18:19], s[18:19]
	v_mov_b32_e32 v72, v70
	s_xor_b64 exec, exec, s[18:19]
	s_cbranch_execz .LBB77_122
; %bb.121:                              ;   in Loop: Header=BB77_2 Depth=1
	ds_read_u8 v72, v68 offset:1
	s_waitcnt lgkmcnt(1)
	v_mov_b32_e32 v71, v69
.LBB77_122:                             ;   in Loop: Header=BB77_2 Depth=1
	s_or_b64 exec, exec, s[18:19]
	v_add_u32_e32 v74, 1, v67
	v_add_u32_e32 v73, 1, v68
	v_cndmask_b32_e64 v74, v74, v67, s[16:17]
	v_cndmask_b32_e64 v73, v68, v73, s[16:17]
	v_cmp_ge_i32_e64 s[20:21], v74, v52
	s_waitcnt lgkmcnt(0)
	v_cmp_lt_i16_sdwa s[22:23], sext(v72), sext(v71) src0_sel:BYTE_0 src1_sel:BYTE_0
	v_cmp_lt_i32_e64 s[18:19], v73, v53
	s_or_b64 s[20:21], s[20:21], s[22:23]
	s_and_b64 s[18:19], s[18:19], s[20:21]
	s_xor_b64 s[20:21], s[18:19], -1
                                        ; implicit-def: $vgpr75
	s_and_saveexec_b64 s[22:23], s[20:21]
	s_xor_b64 s[20:21], exec, s[22:23]
	s_cbranch_execz .LBB77_124
; %bb.123:                              ;   in Loop: Header=BB77_2 Depth=1
	ds_read_u8 v75, v74 offset:1
.LBB77_124:                             ;   in Loop: Header=BB77_2 Depth=1
	s_or_saveexec_b64 s[20:21], s[20:21]
	v_mov_b32_e32 v76, v72
	s_xor_b64 exec, exec, s[20:21]
	s_cbranch_execz .LBB77_126
; %bb.125:                              ;   in Loop: Header=BB77_2 Depth=1
	ds_read_u8 v76, v73 offset:1
	s_waitcnt lgkmcnt(1)
	v_mov_b32_e32 v75, v71
.LBB77_126:                             ;   in Loop: Header=BB77_2 Depth=1
	s_or_b64 exec, exec, s[20:21]
	v_add_u32_e32 v78, 1, v74
	v_add_u32_e32 v77, 1, v73
	v_cndmask_b32_e64 v78, v78, v74, s[18:19]
	v_cndmask_b32_e64 v77, v73, v77, s[18:19]
	v_cmp_ge_i32_e64 s[22:23], v78, v52
	s_waitcnt lgkmcnt(0)
	v_cmp_lt_i16_sdwa s[24:25], sext(v76), sext(v75) src0_sel:BYTE_0 src1_sel:BYTE_0
	v_cmp_lt_i32_e64 s[20:21], v77, v53
	s_or_b64 s[22:23], s[22:23], s[24:25]
	s_and_b64 s[20:21], s[20:21], s[22:23]
	s_xor_b64 s[22:23], s[20:21], -1
                                        ; implicit-def: $vgpr79
	s_and_saveexec_b64 s[24:25], s[22:23]
	s_xor_b64 s[22:23], exec, s[24:25]
	s_cbranch_execz .LBB77_128
; %bb.127:                              ;   in Loop: Header=BB77_2 Depth=1
	ds_read_u8 v79, v78 offset:1
.LBB77_128:                             ;   in Loop: Header=BB77_2 Depth=1
	s_or_saveexec_b64 s[22:23], s[22:23]
	v_mov_b32_e32 v80, v76
	s_xor_b64 exec, exec, s[22:23]
	s_cbranch_execz .LBB77_130
; %bb.129:                              ;   in Loop: Header=BB77_2 Depth=1
	ds_read_u8 v80, v77 offset:1
	s_waitcnt lgkmcnt(1)
	v_mov_b32_e32 v79, v75
.LBB77_130:                             ;   in Loop: Header=BB77_2 Depth=1
	s_or_b64 exec, exec, s[22:23]
	v_add_u32_e32 v81, 1, v78
	v_cndmask_b32_e64 v75, v75, v76, s[20:21]
	v_add_u32_e32 v76, 1, v77
	v_cndmask_b32_e64 v81, v81, v78, s[20:21]
	v_cndmask_b32_e64 v76, v77, v76, s[20:21]
	;; [unrolled: 1-line block ×5, first 2 shown]
	v_cmp_ge_i32_e64 s[18:19], v81, v52
	s_waitcnt lgkmcnt(0)
	v_cmp_lt_i16_sdwa s[20:21], sext(v80), sext(v79) src0_sel:BYTE_0 src1_sel:BYTE_0
	v_cndmask_b32_e64 v69, v69, v70, s[16:17]
	v_cndmask_b32_e64 v67, v67, v68, s[16:17]
	v_cmp_lt_i32_e64 s[16:17], v76, v53
	s_or_b64 s[18:19], s[18:19], s[20:21]
	s_and_b64 s[16:17], s[16:17], s[18:19]
	v_cndmask_b32_e64 v70, v81, v76, s[16:17]
	s_barrier
	ds_write_b8 v2, v64
	ds_write_b8 v2, v65 offset:1
	ds_write_b8 v2, v66 offset:2
	;; [unrolled: 1-line block ×3, first 2 shown]
	s_waitcnt lgkmcnt(0)
	s_barrier
	ds_read_u8 v63, v70
	ds_read_u8 v64, v67
	;; [unrolled: 1-line block ×4, first 2 shown]
	v_mov_b32_e32 v67, v56
	v_cndmask_b32_e64 v68, v79, v80, s[16:17]
	s_waitcnt lgkmcnt(0)
	s_barrier
	ds_write_b8 v2, v69
	ds_write_b8 v2, v71 offset:1
	ds_write_b8 v2, v75 offset:2
	;; [unrolled: 1-line block ×3, first 2 shown]
	s_waitcnt lgkmcnt(0)
	s_barrier
	s_and_saveexec_b64 s[18:19], s[14:15]
	s_cbranch_execz .LBB77_134
; %bb.131:                              ;   in Loop: Header=BB77_2 Depth=1
	s_mov_b64 s[20:21], 0
	v_mov_b32_e32 v67, v56
	v_mov_b32_e32 v68, v57
.LBB77_132:                             ;   Parent Loop BB77_2 Depth=1
                                        ; =>  This Inner Loop Header: Depth=2
	v_sub_u32_e32 v69, v68, v67
	v_lshrrev_b32_e32 v70, 31, v69
	v_add_u32_e32 v69, v69, v70
	v_ashrrev_i32_e32 v69, 1, v69
	v_add_u32_e32 v69, v69, v67
	v_not_b32_e32 v70, v69
	v_add3_u32 v70, v2, v70, v49
	ds_read_i8 v71, v69
	ds_read_i8 v70, v70
	v_add_u32_e32 v72, 1, v69
	s_waitcnt lgkmcnt(0)
	v_cmp_lt_i16_e64 s[16:17], v70, v71
	s_nop 1
	v_cndmask_b32_e64 v68, v68, v69, s[16:17]
	v_cndmask_b32_e64 v67, v72, v67, s[16:17]
	v_cmp_ge_i32_e64 s[16:17], v67, v68
	s_or_b64 s[20:21], s[16:17], s[20:21]
	s_andn2_b64 exec, exec, s[20:21]
	s_cbranch_execnz .LBB77_132
; %bb.133:                              ;   in Loop: Header=BB77_2 Depth=1
	s_or_b64 exec, exec, s[20:21]
.LBB77_134:                             ;   in Loop: Header=BB77_2 Depth=1
	s_or_b64 exec, exec, s[18:19]
	v_sub_u32_e32 v68, v62, v67
	ds_read_u8 v69, v67
	ds_read_u8 v70, v68
	v_cmp_le_i32_e64 s[18:19], v49, v67
	v_cmp_gt_i32_e64 s[16:17], s47, v68
                                        ; implicit-def: $vgpr71
	s_waitcnt lgkmcnt(1)
	v_bfe_i32 v69, v69, 0, 8
	s_waitcnt lgkmcnt(0)
	v_bfe_i32 v70, v70, 0, 8
	v_cmp_lt_i16_e64 s[20:21], v70, v69
	s_or_b64 s[18:19], s[18:19], s[20:21]
	s_and_b64 s[16:17], s[16:17], s[18:19]
	s_xor_b64 s[18:19], s[16:17], -1
	s_and_saveexec_b64 s[20:21], s[18:19]
	s_xor_b64 s[18:19], exec, s[20:21]
	s_cbranch_execz .LBB77_136
; %bb.135:                              ;   in Loop: Header=BB77_2 Depth=1
	ds_read_u8 v71, v67 offset:1
.LBB77_136:                             ;   in Loop: Header=BB77_2 Depth=1
	s_or_saveexec_b64 s[18:19], s[18:19]
	v_mov_b32_e32 v72, v70
	s_xor_b64 exec, exec, s[18:19]
	s_cbranch_execz .LBB77_138
; %bb.137:                              ;   in Loop: Header=BB77_2 Depth=1
	ds_read_u8 v72, v68 offset:1
	s_waitcnt lgkmcnt(1)
	v_mov_b32_e32 v71, v69
.LBB77_138:                             ;   in Loop: Header=BB77_2 Depth=1
	s_or_b64 exec, exec, s[18:19]
	v_add_u32_e32 v74, 1, v67
	v_add_u32_e32 v73, 1, v68
	v_cndmask_b32_e64 v74, v74, v67, s[16:17]
	v_cndmask_b32_e64 v73, v68, v73, s[16:17]
	v_cmp_ge_i32_e64 s[20:21], v74, v49
	s_waitcnt lgkmcnt(0)
	v_cmp_lt_i16_sdwa s[22:23], sext(v72), sext(v71) src0_sel:BYTE_0 src1_sel:BYTE_0
	v_cmp_gt_i32_e64 s[18:19], s47, v73
	s_or_b64 s[20:21], s[20:21], s[22:23]
	s_and_b64 s[18:19], s[18:19], s[20:21]
	s_xor_b64 s[20:21], s[18:19], -1
                                        ; implicit-def: $vgpr75
	s_and_saveexec_b64 s[22:23], s[20:21]
	s_xor_b64 s[20:21], exec, s[22:23]
	s_cbranch_execz .LBB77_140
; %bb.139:                              ;   in Loop: Header=BB77_2 Depth=1
	ds_read_u8 v75, v74 offset:1
.LBB77_140:                             ;   in Loop: Header=BB77_2 Depth=1
	s_or_saveexec_b64 s[20:21], s[20:21]
	v_mov_b32_e32 v76, v72
	s_xor_b64 exec, exec, s[20:21]
	s_cbranch_execz .LBB77_142
; %bb.141:                              ;   in Loop: Header=BB77_2 Depth=1
	ds_read_u8 v76, v73 offset:1
	s_waitcnt lgkmcnt(1)
	v_mov_b32_e32 v75, v71
.LBB77_142:                             ;   in Loop: Header=BB77_2 Depth=1
	s_or_b64 exec, exec, s[20:21]
	v_add_u32_e32 v78, 1, v74
	v_add_u32_e32 v77, 1, v73
	v_cndmask_b32_e64 v81, v78, v74, s[18:19]
	v_cndmask_b32_e64 v77, v73, v77, s[18:19]
	v_cmp_ge_i32_e64 s[22:23], v81, v49
	s_waitcnt lgkmcnt(0)
	v_cmp_lt_i16_sdwa s[24:25], sext(v76), sext(v75) src0_sel:BYTE_0 src1_sel:BYTE_0
	v_cmp_gt_i32_e64 s[20:21], s47, v77
	s_or_b64 s[22:23], s[22:23], s[24:25]
	s_and_b64 s[20:21], s[20:21], s[22:23]
	s_xor_b64 s[22:23], s[20:21], -1
                                        ; implicit-def: $vgpr79
                                        ; implicit-def: $vgpr78
	s_and_saveexec_b64 s[24:25], s[22:23]
	s_xor_b64 s[22:23], exec, s[24:25]
	s_cbranch_execz .LBB77_144
; %bb.143:                              ;   in Loop: Header=BB77_2 Depth=1
	ds_read_u8 v79, v81 offset:1
	v_add_u32_e32 v78, 1, v81
.LBB77_144:                             ;   in Loop: Header=BB77_2 Depth=1
	s_or_saveexec_b64 s[22:23], s[22:23]
	v_mov_b32_e32 v80, v81
	v_mov_b32_e32 v82, v76
	s_xor_b64 exec, exec, s[22:23]
	s_cbranch_execz .LBB77_1
; %bb.145:                              ;   in Loop: Header=BB77_2 Depth=1
	ds_read_u8 v82, v77 offset:1
	s_waitcnt lgkmcnt(1)
	v_add_u32_e32 v79, 1, v77
	v_mov_b32_e32 v80, v77
	v_mov_b32_e32 v78, v81
	;; [unrolled: 1-line block ×4, first 2 shown]
	s_branch .LBB77_1
.LBB77_146:
	s_add_u32 s0, s38, s33
	s_addc_u32 s1, s39, 0
	v_add_u16_e32 v2, v69, v68
	v_lshl_add_u64 v[0:1], s[0:1], 0, v[0:1]
	v_add_u16_e32 v3, v70, v72
	v_add_u16_e32 v4, v71, v65
	v_add_u16_e32 v5, v67, v66
	global_store_byte v[0:1], v2, off
	global_store_byte v[0:1], v3, off offset:512
	global_store_byte v[0:1], v4, off offset:1024
	;; [unrolled: 1-line block ×3, first 2 shown]
	s_endpgm
	.section	.rodata,"a",@progbits
	.p2align	6, 0x0
	.amdhsa_kernel _Z17sort_pairs_kernelIaLj512ELj4EN10test_utils4lessELj10EEvPKT_PS2_T2_
		.amdhsa_group_segment_fixed_size 2049
		.amdhsa_private_segment_fixed_size 0
		.amdhsa_kernarg_size 20
		.amdhsa_user_sgpr_count 2
		.amdhsa_user_sgpr_dispatch_ptr 0
		.amdhsa_user_sgpr_queue_ptr 0
		.amdhsa_user_sgpr_kernarg_segment_ptr 1
		.amdhsa_user_sgpr_dispatch_id 0
		.amdhsa_user_sgpr_kernarg_preload_length 0
		.amdhsa_user_sgpr_kernarg_preload_offset 0
		.amdhsa_user_sgpr_private_segment_size 0
		.amdhsa_uses_dynamic_stack 0
		.amdhsa_enable_private_segment 0
		.amdhsa_system_sgpr_workgroup_id_x 1
		.amdhsa_system_sgpr_workgroup_id_y 0
		.amdhsa_system_sgpr_workgroup_id_z 0
		.amdhsa_system_sgpr_workgroup_info 0
		.amdhsa_system_vgpr_workitem_id 0
		.amdhsa_next_free_vgpr 83
		.amdhsa_next_free_sgpr 50
		.amdhsa_accum_offset 84
		.amdhsa_reserve_vcc 1
		.amdhsa_float_round_mode_32 0
		.amdhsa_float_round_mode_16_64 0
		.amdhsa_float_denorm_mode_32 3
		.amdhsa_float_denorm_mode_16_64 3
		.amdhsa_dx10_clamp 1
		.amdhsa_ieee_mode 1
		.amdhsa_fp16_overflow 0
		.amdhsa_tg_split 0
		.amdhsa_exception_fp_ieee_invalid_op 0
		.amdhsa_exception_fp_denorm_src 0
		.amdhsa_exception_fp_ieee_div_zero 0
		.amdhsa_exception_fp_ieee_overflow 0
		.amdhsa_exception_fp_ieee_underflow 0
		.amdhsa_exception_fp_ieee_inexact 0
		.amdhsa_exception_int_div_zero 0
	.end_amdhsa_kernel
	.section	.text._Z17sort_pairs_kernelIaLj512ELj4EN10test_utils4lessELj10EEvPKT_PS2_T2_,"axG",@progbits,_Z17sort_pairs_kernelIaLj512ELj4EN10test_utils4lessELj10EEvPKT_PS2_T2_,comdat
.Lfunc_end77:
	.size	_Z17sort_pairs_kernelIaLj512ELj4EN10test_utils4lessELj10EEvPKT_PS2_T2_, .Lfunc_end77-_Z17sort_pairs_kernelIaLj512ELj4EN10test_utils4lessELj10EEvPKT_PS2_T2_
                                        ; -- End function
	.section	.AMDGPU.csdata,"",@progbits
; Kernel info:
; codeLenInByte = 8208
; NumSgprs: 56
; NumVgprs: 83
; NumAgprs: 0
; TotalNumVgprs: 83
; ScratchSize: 0
; MemoryBound: 0
; FloatMode: 240
; IeeeMode: 1
; LDSByteSize: 2049 bytes/workgroup (compile time only)
; SGPRBlocks: 6
; VGPRBlocks: 10
; NumSGPRsForWavesPerEU: 56
; NumVGPRsForWavesPerEU: 83
; AccumOffset: 84
; Occupancy: 5
; WaveLimiterHint : 1
; COMPUTE_PGM_RSRC2:SCRATCH_EN: 0
; COMPUTE_PGM_RSRC2:USER_SGPR: 2
; COMPUTE_PGM_RSRC2:TRAP_HANDLER: 0
; COMPUTE_PGM_RSRC2:TGID_X_EN: 1
; COMPUTE_PGM_RSRC2:TGID_Y_EN: 0
; COMPUTE_PGM_RSRC2:TGID_Z_EN: 0
; COMPUTE_PGM_RSRC2:TIDIG_COMP_CNT: 0
; COMPUTE_PGM_RSRC3_GFX90A:ACCUM_OFFSET: 20
; COMPUTE_PGM_RSRC3_GFX90A:TG_SPLIT: 0
	.section	.text._Z16sort_keys_kernelIaLj512ELj8EN10test_utils4lessELj10EEvPKT_PS2_T2_,"axG",@progbits,_Z16sort_keys_kernelIaLj512ELj8EN10test_utils4lessELj10EEvPKT_PS2_T2_,comdat
	.protected	_Z16sort_keys_kernelIaLj512ELj8EN10test_utils4lessELj10EEvPKT_PS2_T2_ ; -- Begin function _Z16sort_keys_kernelIaLj512ELj8EN10test_utils4lessELj10EEvPKT_PS2_T2_
	.globl	_Z16sort_keys_kernelIaLj512ELj8EN10test_utils4lessELj10EEvPKT_PS2_T2_
	.p2align	8
	.type	_Z16sort_keys_kernelIaLj512ELj8EN10test_utils4lessELj10EEvPKT_PS2_T2_,@function
_Z16sort_keys_kernelIaLj512ELj8EN10test_utils4lessELj10EEvPKT_PS2_T2_: ; @_Z16sort_keys_kernelIaLj512ELj8EN10test_utils4lessELj10EEvPKT_PS2_T2_
; %bb.0:
	s_load_dwordx4 s[36:39], s[0:1], 0x0
	s_lshl_b32 s33, s2, 12
	v_lshlrev_b32_e32 v2, 3, v0
	v_and_b32_e32 v31, 0xf00, v2
	v_or_b32_e32 v33, 0x80, v31
	s_waitcnt lgkmcnt(0)
	s_add_u32 s0, s36, s33
	s_addc_u32 s1, s37, 0
	global_load_ubyte v52, v0, s[0:1]
	global_load_ubyte v53, v0, s[0:1] offset:512
	global_load_ubyte v54, v0, s[0:1] offset:1024
	;; [unrolled: 1-line block ×7, first 2 shown]
	v_add_u32_e32 v34, 0x100, v31
	v_and_b32_e32 v32, 0xf8, v2
	v_sub_u32_e32 v35, v34, v33
	v_sub_u32_e32 v37, v32, v35
	v_cmp_ge_i32_e64 s[6:7], v32, v35
	v_and_b32_e32 v38, 0x1f8, v2
	v_and_b32_e32 v50, 0x800, v2
	v_cndmask_b32_e64 v35, 0, v37, s[6:7]
	v_and_b32_e32 v37, 0xe00, v2
	v_or_b32_e32 v39, 0x100, v37
	v_add_u32_e32 v40, 0x200, v37
	v_sub_u32_e32 v41, v40, v39
	v_sub_u32_e32 v43, v38, v41
	v_cmp_ge_i32_e64 s[8:9], v38, v41
	v_and_b32_e32 v3, 0xff0, v2
	v_and_b32_e32 v10, 0xfe0, v2
	v_cndmask_b32_e64 v41, 0, v43, s[8:9]
	v_and_b32_e32 v43, 0xc00, v2
	v_and_b32_e32 v17, 0xfc0, v2
	;; [unrolled: 1-line block ×3, first 2 shown]
	v_or_b32_e32 v45, 0x200, v43
	v_add_u32_e32 v46, 0x400, v43
	v_and_b32_e32 v51, 0x7f8, v2
	v_or_b32_e32 v5, 8, v3
	v_add_u32_e32 v6, 16, v3
	v_or_b32_e32 v12, 16, v10
	v_add_u32_e32 v13, 32, v10
	;; [unrolled: 2-line block ×4, first 2 shown]
	v_and_b32_e32 v44, 0x3f8, v2
	v_sub_u32_e32 v47, v46, v45
	v_and_b32_e32 v4, 8, v2
	v_sub_u32_e32 v7, v6, v5
	;; [unrolled: 2-line block ×5, first 2 shown]
	v_sub_u32_e32 v49, v44, v47
	v_cmp_ge_i32_e64 s[10:11], v44, v47
	v_sub_u32_e32 v8, v5, v3
	v_sub_u32_e32 v9, v4, v7
	v_cmp_ge_i32_e32 vcc, v4, v7
	v_sub_u32_e32 v15, v12, v10
	v_sub_u32_e32 v16, v11, v14
	v_cmp_ge_i32_e64 s[0:1], v11, v14
	v_sub_u32_e32 v22, v19, v17
	v_sub_u32_e32 v23, v18, v21
	v_cmp_ge_i32_e64 s[2:3], v18, v21
	;; [unrolled: 3-line block ×3, first 2 shown]
	v_sub_u32_e32 v36, v33, v31
	v_sub_u32_e32 v42, v39, v37
	v_sub_u32_e32 v48, v45, v43
	v_cndmask_b32_e64 v47, 0, v49, s[10:11]
	v_mov_b32_e32 v49, 0x800
	v_cndmask_b32_e32 v7, 0, v9, vcc
	v_min_i32_e32 v8, v4, v8
	v_cndmask_b32_e64 v14, 0, v16, s[0:1]
	v_min_i32_e32 v15, v11, v15
	v_cndmask_b32_e64 v21, 0, v23, s[2:3]
	;; [unrolled: 2-line block ×3, first 2 shown]
	v_min_i32_e32 v29, v25, v29
	v_min_i32_e32 v36, v32, v36
	;; [unrolled: 1-line block ×4, first 2 shown]
	s_mov_b32 s34, 0
	v_mov_b32_e32 v1, 0
	s_waitcnt vmcnt(6)
	v_lshlrev_b16_e32 v53, 8, v53
	v_or_b32_e32 v60, v52, v53
	s_waitcnt vmcnt(4)
	v_lshlrev_b16_e32 v53, 8, v55
	v_or_b32_e32 v52, 0x400, v50
	v_or_b32_sdwa v54, v54, v53 dst_sel:WORD_1 dst_unused:UNUSED_PAD src0_sel:DWORD src1_sel:DWORD
	v_add_u32_e32 v53, 0x800, v50
	v_or_b32_sdwa v63, v60, v54 dst_sel:DWORD dst_unused:UNUSED_PAD src0_sel:WORD_0 src1_sel:DWORD
	v_sub_u32_e32 v54, v53, v52
	s_waitcnt vmcnt(2)
	v_lshlrev_b16_e32 v55, 8, v57
	v_or_b32_e32 v57, v56, v55
	v_sub_u32_e32 v55, v51, v54
	v_sub_u32_e32 v56, v52, v50
	v_cmp_ge_i32_e64 s[12:13], v51, v54
	v_cmp_lt_i32_e32 vcc, v7, v8
	v_add_u32_e32 v9, v5, v4
	v_cndmask_b32_e64 v54, 0, v55, s[12:13]
	v_min_i32_e32 v55, v51, v56
	s_waitcnt vmcnt(0)
	v_lshlrev_b16_e32 v56, 8, v59
	v_or_b32_sdwa v58, v58, v56 dst_sel:WORD_1 dst_unused:UNUSED_PAD src0_sel:DWORD src1_sel:DWORD
	v_sub_u32_e64 v56, v2, v49 clamp
	v_or_b32_sdwa v64, v57, v58 dst_sel:DWORD dst_unused:UNUSED_PAD src0_sel:WORD_0 src1_sel:DWORD
	v_min_i32_e32 v57, 0x800, v2
	v_cmp_lt_i32_e64 s[0:1], v14, v15
	v_add_u32_e32 v16, v12, v11
	v_cmp_lt_i32_e64 s[2:3], v21, v22
	v_add_u32_e32 v23, v19, v18
	;; [unrolled: 2-line block ×3, first 2 shown]
	v_cmp_lt_i32_e64 s[6:7], v35, v36
	v_cmp_lt_i32_e64 s[8:9], v41, v42
	;; [unrolled: 1-line block ×5, first 2 shown]
	s_mov_b32 s35, 0xffff
	s_mov_b32 s36, 0x7060405
	;; [unrolled: 1-line block ×4, first 2 shown]
	s_movk_i32 s41, 0xff00
	s_movk_i32 s42, 0xff
	s_mov_b32 s43, 0x3020104
	s_mov_b32 s44, 0xffff0000
	s_movk_i32 s45, 0x1000
	v_add_u32_e32 v58, v33, v32
	v_add_u32_e32 v59, v39, v38
	;; [unrolled: 1-line block ×5, first 2 shown]
	s_branch .LBB78_2
.LBB78_1:                               ;   in Loop: Header=BB78_2 Depth=1
	s_or_b64 exec, exec, s[30:31]
	v_cndmask_b32_e64 v65, v65, v66, s[18:19]
	v_cndmask_b32_e64 v66, v67, v68, s[20:21]
	v_cmp_ge_i32_e64 s[18:19], v79, v49
	s_waitcnt lgkmcnt(0)
	v_cmp_lt_i16_sdwa s[20:21], sext(v81), sext(v78) src0_sel:BYTE_0 src1_sel:BYTE_0
	v_cndmask_b32_e64 v80, v63, v64, s[16:17]
	v_cndmask_b32_e64 v67, v69, v70, s[22:23]
	v_cmp_gt_i32_e64 s[16:17], s45, v77
	s_or_b64 s[18:19], s[18:19], s[20:21]
	s_and_b64 s[16:17], s[16:17], s[18:19]
	v_lshlrev_b16_e32 v63, 8, v65
	v_lshlrev_b16_e32 v64, 8, v67
	v_cndmask_b32_e64 v68, v71, v72, s[24:25]
	v_cndmask_b32_e64 v69, v73, v74, s[26:27]
	;; [unrolled: 1-line block ×3, first 2 shown]
	v_or_b32_sdwa v63, v80, v63 dst_sel:DWORD dst_unused:UNUSED_PAD src0_sel:BYTE_0 src1_sel:DWORD
	v_or_b32_sdwa v64, v66, v64 dst_sel:WORD_1 dst_unused:UNUSED_PAD src0_sel:BYTE_0 src1_sel:DWORD
	v_cndmask_b32_e64 v70, v75, v76, s[28:29]
	v_or_b32_sdwa v63, v63, v64 dst_sel:DWORD dst_unused:UNUSED_PAD src0_sel:WORD_0 src1_sel:DWORD
	v_lshlrev_b16_e32 v64, 8, v69
	v_lshlrev_b16_e32 v72, 8, v71
	s_add_i32 s34, s34, 1
	v_or_b32_sdwa v64, v68, v64 dst_sel:DWORD dst_unused:UNUSED_PAD src0_sel:BYTE_0 src1_sel:DWORD
	v_or_b32_sdwa v72, v70, v72 dst_sel:WORD_1 dst_unused:UNUSED_PAD src0_sel:BYTE_0 src1_sel:DWORD
	s_cmp_eq_u32 s34, 10
	v_or_b32_sdwa v64, v64, v72 dst_sel:DWORD dst_unused:UNUSED_PAD src0_sel:WORD_0 src1_sel:DWORD
	s_cbranch_scc1 .LBB78_290
.LBB78_2:                               ; =>This Loop Header: Depth=1
                                        ;     Child Loop BB78_4 Depth 2
                                        ;     Child Loop BB78_36 Depth 2
	;; [unrolled: 1-line block ×9, first 2 shown]
	v_lshrrev_b32_e32 v66, 8, v63
	v_perm_b32 v65, v63, v63, s36
	v_cmp_lt_i16_sdwa s[16:17], sext(v66), sext(v63) src0_sel:BYTE_0 src1_sel:BYTE_0
	v_min_i16_sdwa v69, sext(v66), sext(v63) dst_sel:DWORD dst_unused:UNUSED_PAD src0_sel:BYTE_0 src1_sel:BYTE_0
	s_nop 0
	v_cndmask_b32_e64 v65, v63, v65, s[16:17]
	v_lshrrev_b32_e32 v67, 16, v65
	v_perm_b32 v68, 0, v67, s37
	v_max_i16_sdwa v63, sext(v66), sext(v63) dst_sel:DWORD dst_unused:UNUSED_PAD src0_sel:BYTE_0 src1_sel:BYTE_0
	v_lshrrev_b32_e32 v66, 24, v65
	v_lshlrev_b32_e32 v68, 16, v68
	v_and_or_b32 v68, v65, s35, v68
	v_cmp_lt_i16_sdwa s[16:17], sext(v66), sext(v67) src0_sel:BYTE_0 src1_sel:BYTE_0
	v_max_i16_sdwa v70, sext(v66), sext(v67) dst_sel:DWORD dst_unused:UNUSED_PAD src0_sel:BYTE_0 src1_sel:BYTE_0
	v_min_i16_sdwa v66, sext(v66), sext(v67) dst_sel:DWORD dst_unused:UNUSED_PAD src0_sel:BYTE_0 src1_sel:BYTE_0
	v_lshrrev_b32_e32 v67, 8, v64
	v_cndmask_b32_e64 v65, v65, v68, s[16:17]
	v_perm_b32 v68, v64, v64, s36
	v_cmp_lt_i16_sdwa s[16:17], sext(v67), sext(v64) src0_sel:BYTE_0 src1_sel:BYTE_0
	v_max_i16_sdwa v71, sext(v67), sext(v64) dst_sel:DWORD dst_unused:UNUSED_PAD src0_sel:BYTE_0 src1_sel:BYTE_0
	v_and_b32_sdwa v74, v65, s41 dst_sel:DWORD dst_unused:UNUSED_PAD src0_sel:WORD_1 src1_sel:DWORD
	v_cndmask_b32_e64 v68, v64, v68, s[16:17]
	v_min_i16_sdwa v64, sext(v67), sext(v64) dst_sel:DWORD dst_unused:UNUSED_PAD src0_sel:BYTE_0 src1_sel:BYTE_0
	v_lshrrev_b32_e32 v67, 24, v68
	v_lshrrev_b32_e32 v72, 16, v68
	v_perm_b32 v73, v68, v68, s40
	v_cmp_lt_i16_sdwa s[16:17], sext(v67), sext(v72) src0_sel:BYTE_0 src1_sel:BYTE_0
	v_or_b32_sdwa v74, v63, v74 dst_sel:WORD_1 dst_unused:UNUSED_PAD src0_sel:BYTE_0 src1_sel:DWORD
	v_lshlrev_b16_e32 v76, 8, v64
	v_cndmask_b32_e64 v68, v68, v73, s[16:17]
	v_max_i16_sdwa v73, sext(v67), sext(v72) dst_sel:DWORD dst_unused:UNUSED_PAD src0_sel:BYTE_0 src1_sel:BYTE_0
	v_min_i16_sdwa v67, sext(v67), sext(v72) dst_sel:DWORD dst_unused:UNUSED_PAD src0_sel:BYTE_0 src1_sel:BYTE_0
	v_lshlrev_b16_e32 v72, 8, v66
	v_or_b32_sdwa v72, v65, v72 dst_sel:DWORD dst_unused:UNUSED_PAD src0_sel:BYTE_0 src1_sel:DWORD
	v_or_b32_sdwa v72, v72, v74 dst_sel:DWORD dst_unused:UNUSED_PAD src0_sel:WORD_0 src1_sel:DWORD
	v_cmp_lt_i16_e64 s[16:17], v66, v63
	v_perm_b32 v74, v70, v68, s43
	v_max_i16_e32 v75, v66, v63
	v_cndmask_b32_e64 v65, v65, v72, s[16:17]
	v_and_b32_sdwa v72, v65, s42 dst_sel:DWORD dst_unused:UNUSED_PAD src0_sel:WORD_1 src1_sel:DWORD
	v_or_b32_sdwa v72, v72, v76 dst_sel:WORD_1 dst_unused:UNUSED_PAD src0_sel:DWORD src1_sel:DWORD
	v_cmp_lt_i16_e64 s[16:17], v64, v70
	v_and_or_b32 v72, v65, s35, v72
	v_min_i16_e32 v63, v66, v63
	v_cndmask_b32_e64 v68, v68, v74, s[16:17]
	v_cndmask_b32_e64 v65, v65, v72, s[16:17]
	v_and_b32_sdwa v72, v68, s41 dst_sel:DWORD dst_unused:UNUSED_PAD src0_sel:WORD_1 src1_sel:DWORD
	v_max_i16_e32 v74, v64, v70
	v_min_i16_e32 v64, v64, v70
	v_lshlrev_b16_e32 v70, 8, v67
	v_or_b32_sdwa v72, v71, v72 dst_sel:WORD_1 dst_unused:UNUSED_PAD src0_sel:BYTE_0 src1_sel:DWORD
	v_or_b32_sdwa v70, v68, v70 dst_sel:DWORD dst_unused:UNUSED_PAD src0_sel:BYTE_0 src1_sel:DWORD
	v_or_b32_sdwa v70, v70, v72 dst_sel:DWORD dst_unused:UNUSED_PAD src0_sel:WORD_0 src1_sel:DWORD
	v_lshlrev_b16_e32 v72, 8, v69
	v_or_b32_sdwa v72, v63, v72 dst_sel:DWORD dst_unused:UNUSED_PAD src0_sel:BYTE_0 src1_sel:DWORD
	v_cmp_lt_i16_e64 s[16:17], v67, v71
	v_and_b32_e32 v72, 0xffff, v72
	v_and_or_b32 v72, v65, s44, v72
	v_cndmask_b32_e64 v68, v68, v70, s[16:17]
	v_cmp_lt_i16_e64 s[16:17], v66, v69
	v_max_i16_e32 v70, v67, v71
	v_min_i16_e32 v67, v67, v71
	v_cndmask_b32_e64 v66, v69, v63, s[16:17]
	v_cndmask_b32_e64 v63, v63, v69, s[16:17]
	v_lshlrev_b16_e32 v69, 8, v75
	v_cndmask_b32_e64 v65, v65, v72, s[16:17]
	v_or_b32_sdwa v69, v64, v69 dst_sel:WORD_1 dst_unused:UNUSED_PAD src0_sel:BYTE_0 src1_sel:DWORD
	v_cmp_lt_i16_e64 s[16:17], v64, v75
	v_and_or_b32 v69, v65, s35, v69
	v_max_i16_e32 v72, v64, v75
	v_cndmask_b32_e64 v65, v65, v69, s[16:17]
	v_lshlrev_b16_e32 v69, 8, v74
	v_or_b32_sdwa v69, v67, v69 dst_sel:DWORD dst_unused:UNUSED_PAD src0_sel:BYTE_0 src1_sel:DWORD
	v_and_b32_e32 v69, 0xffff, v69
	v_and_or_b32 v69, v68, s44, v69
	v_cmp_lt_i16_e64 s[16:17], v67, v74
	v_min_i16_e32 v64, v64, v75
	v_and_b32_sdwa v75, v65, s41 dst_sel:DWORD dst_unused:UNUSED_PAD src0_sel:WORD_1 src1_sel:DWORD
	v_cndmask_b32_e64 v68, v68, v69, s[16:17]
	v_max_i16_e32 v69, v67, v74
	v_min_i16_e32 v67, v67, v74
	v_lshlrev_b16_e32 v74, 8, v70
	v_cmp_gt_i16_e64 s[16:17], v71, v73
	v_or_b32_sdwa v74, v73, v74 dst_sel:WORD_1 dst_unused:UNUSED_PAD src0_sel:BYTE_0 src1_sel:DWORD
	v_or_b32_sdwa v75, v63, v75 dst_sel:WORD_1 dst_unused:UNUSED_PAD src0_sel:BYTE_0 src1_sel:DWORD
	v_cndmask_b32_e64 v71, v73, v70, s[16:17]
	v_cndmask_b32_e64 v70, v70, v73, s[16:17]
	v_lshlrev_b16_e32 v73, 8, v64
	v_and_or_b32 v74, v68, s35, v74
	v_or_b32_sdwa v73, v65, v73 dst_sel:DWORD dst_unused:UNUSED_PAD src0_sel:BYTE_0 src1_sel:DWORD
	v_cndmask_b32_e64 v68, v68, v74, s[16:17]
	v_or_b32_sdwa v73, v73, v75 dst_sel:DWORD dst_unused:UNUSED_PAD src0_sel:WORD_0 src1_sel:DWORD
	v_cmp_lt_i16_e64 s[16:17], v64, v63
	v_max_i16_e32 v75, v64, v63
	v_min_i16_e32 v63, v64, v63
	v_cndmask_b32_e64 v65, v65, v73, s[16:17]
	v_and_b32_sdwa v73, v65, s42 dst_sel:DWORD dst_unused:UNUSED_PAD src0_sel:WORD_1 src1_sel:DWORD
	v_lshlrev_b16_e32 v64, 8, v67
	v_or_b32_sdwa v64, v73, v64 dst_sel:WORD_1 dst_unused:UNUSED_PAD src0_sel:DWORD src1_sel:DWORD
	v_perm_b32 v74, v72, v68, s43
	v_and_or_b32 v64, v65, s35, v64
	v_cmp_lt_i16_e64 s[16:17], v67, v72
	v_max_i16_e32 v73, v67, v72
	v_min_i16_e32 v67, v67, v72
	v_cndmask_b32_e64 v64, v65, v64, s[16:17]
	v_cndmask_b32_e64 v65, v68, v74, s[16:17]
	v_and_b32_sdwa v68, v65, s41 dst_sel:DWORD dst_unused:UNUSED_PAD src0_sel:WORD_1 src1_sel:DWORD
	v_lshlrev_b16_e32 v72, 8, v70
	v_or_b32_sdwa v68, v69, v68 dst_sel:WORD_1 dst_unused:UNUSED_PAD src0_sel:BYTE_0 src1_sel:DWORD
	v_or_b32_sdwa v72, v65, v72 dst_sel:DWORD dst_unused:UNUSED_PAD src0_sel:BYTE_0 src1_sel:DWORD
	v_or_b32_sdwa v68, v72, v68 dst_sel:DWORD dst_unused:UNUSED_PAD src0_sel:WORD_0 src1_sel:DWORD
	v_lshlrev_b16_e32 v72, 8, v66
	v_or_b32_sdwa v72, v63, v72 dst_sel:DWORD dst_unused:UNUSED_PAD src0_sel:BYTE_0 src1_sel:DWORD
	v_and_b32_e32 v72, 0xffff, v72
	v_cmp_lt_i16_e64 s[16:17], v70, v69
	v_and_or_b32 v72, v64, s44, v72
	s_barrier
	v_cndmask_b32_e64 v65, v65, v68, s[16:17]
	v_max_i16_e32 v68, v70, v69
	v_min_i16_e32 v69, v70, v69
	v_cmp_lt_i16_e64 s[16:17], v63, v66
	v_min_i16_e32 v70, v63, v66
	v_max_i16_e32 v63, v63, v66
	v_lshlrev_b16_e32 v66, 8, v75
	v_cndmask_b32_e64 v64, v64, v72, s[16:17]
	v_or_b32_sdwa v66, v67, v66 dst_sel:WORD_1 dst_unused:UNUSED_PAD src0_sel:BYTE_0 src1_sel:DWORD
	v_cmp_lt_i16_e64 s[16:17], v67, v75
	v_and_or_b32 v66, v64, s35, v66
	v_max_i16_e32 v72, v67, v75
	v_cndmask_b32_e64 v64, v64, v66, s[16:17]
	v_lshlrev_b16_e32 v66, 8, v73
	v_or_b32_sdwa v66, v69, v66 dst_sel:DWORD dst_unused:UNUSED_PAD src0_sel:BYTE_0 src1_sel:DWORD
	v_and_b32_e32 v66, 0xffff, v66
	v_and_or_b32 v66, v65, s44, v66
	v_cmp_lt_i16_e64 s[16:17], v69, v73
	v_min_i16_e32 v67, v67, v75
	v_and_b32_sdwa v74, v64, s41 dst_sel:DWORD dst_unused:UNUSED_PAD src0_sel:WORD_1 src1_sel:DWORD
	v_cndmask_b32_e64 v65, v65, v66, s[16:17]
	v_max_i16_e32 v66, v69, v73
	v_min_i16_e32 v69, v69, v73
	v_lshlrev_b16_e32 v73, 8, v68
	v_or_b32_sdwa v73, v71, v73 dst_sel:WORD_1 dst_unused:UNUSED_PAD src0_sel:BYTE_0 src1_sel:DWORD
	v_cmp_lt_i16_e64 s[16:17], v71, v68
	v_and_or_b32 v73, v65, s35, v73
	v_or_b32_sdwa v74, v63, v74 dst_sel:WORD_1 dst_unused:UNUSED_PAD src0_sel:BYTE_0 src1_sel:DWORD
	v_cndmask_b32_e64 v65, v65, v73, s[16:17]
	v_max_i16_e32 v73, v71, v68
	v_min_i16_e32 v68, v71, v68
	v_lshlrev_b16_e32 v71, 8, v67
	v_or_b32_sdwa v71, v64, v71 dst_sel:DWORD dst_unused:UNUSED_PAD src0_sel:BYTE_0 src1_sel:DWORD
	v_or_b32_sdwa v71, v71, v74 dst_sel:DWORD dst_unused:UNUSED_PAD src0_sel:WORD_0 src1_sel:DWORD
	v_cmp_lt_i16_e64 s[16:17], v67, v63
	v_lshlrev_b16_e32 v76, 8, v69
	v_perm_b32 v74, v72, v65, s43
	v_cndmask_b32_e64 v64, v64, v71, s[16:17]
	v_and_b32_sdwa v71, v64, s42 dst_sel:DWORD dst_unused:UNUSED_PAD src0_sel:WORD_1 src1_sel:DWORD
	v_or_b32_sdwa v71, v71, v76 dst_sel:WORD_1 dst_unused:UNUSED_PAD src0_sel:DWORD src1_sel:DWORD
	v_cmp_lt_i16_e64 s[16:17], v69, v72
	v_and_or_b32 v71, v64, s35, v71
	v_max_i16_e32 v75, v67, v63
	v_cndmask_b32_e64 v65, v65, v74, s[16:17]
	v_cndmask_b32_e64 v64, v64, v71, s[16:17]
	v_and_b32_sdwa v71, v65, s41 dst_sel:DWORD dst_unused:UNUSED_PAD src0_sel:WORD_1 src1_sel:DWORD
	v_max_i16_e32 v74, v69, v72
	v_min_i16_e32 v69, v69, v72
	v_lshlrev_b16_e32 v72, 8, v68
	v_or_b32_sdwa v71, v66, v71 dst_sel:WORD_1 dst_unused:UNUSED_PAD src0_sel:BYTE_0 src1_sel:DWORD
	v_or_b32_sdwa v72, v65, v72 dst_sel:DWORD dst_unused:UNUSED_PAD src0_sel:BYTE_0 src1_sel:DWORD
	v_min_i16_e32 v63, v67, v63
	v_or_b32_sdwa v71, v72, v71 dst_sel:DWORD dst_unused:UNUSED_PAD src0_sel:WORD_0 src1_sel:DWORD
	v_lshlrev_b16_e32 v72, 8, v70
	v_or_b32_sdwa v72, v63, v72 dst_sel:DWORD dst_unused:UNUSED_PAD src0_sel:BYTE_0 src1_sel:DWORD
	v_and_b32_e32 v72, 0xffff, v72
	v_cmp_lt_i16_e64 s[16:17], v68, v66
	v_and_or_b32 v72, v64, s44, v72
	s_nop 0
	v_cndmask_b32_e64 v65, v65, v71, s[16:17]
	v_cmp_lt_i16_e64 s[16:17], v67, v70
	v_lshlrev_b16_e32 v67, 8, v75
	v_or_b32_sdwa v67, v69, v67 dst_sel:WORD_1 dst_unused:UNUSED_PAD src0_sel:BYTE_0 src1_sel:DWORD
	v_cndmask_b32_e64 v64, v64, v72, s[16:17]
	v_cndmask_b32_e64 v63, v63, v70, s[16:17]
	v_and_or_b32 v67, v64, s35, v67
	v_cmp_lt_i16_e64 s[16:17], v69, v75
	v_max_i16_e32 v71, v68, v66
	v_min_i16_e32 v68, v68, v66
	v_cndmask_b32_e64 v64, v64, v67, s[16:17]
	v_lshlrev_b16_e32 v67, 8, v74
	v_or_b32_sdwa v67, v68, v67 dst_sel:DWORD dst_unused:UNUSED_PAD src0_sel:BYTE_0 src1_sel:DWORD
	v_and_b32_e32 v67, 0xffff, v67
	v_and_or_b32 v67, v65, s44, v67
	v_cmp_lt_i16_e64 s[16:17], v68, v74
	v_max_i16_e32 v70, v69, v75
	v_min_i16_e32 v69, v69, v75
	v_cndmask_b32_e64 v65, v65, v67, s[16:17]
	v_lshlrev_b16_e32 v72, 8, v71
	v_cmp_gt_i16_e64 s[16:17], v66, v73
	v_max_i16_e32 v67, v68, v74
	v_min_i16_e32 v68, v68, v74
	v_or_b32_sdwa v72, v73, v72 dst_sel:WORD_1 dst_unused:UNUSED_PAD src0_sel:BYTE_0 src1_sel:DWORD
	v_and_b32_sdwa v74, v64, s41 dst_sel:DWORD dst_unused:UNUSED_PAD src0_sel:WORD_1 src1_sel:DWORD
	v_cndmask_b32_e64 v66, v71, v73, s[16:17]
	v_lshlrev_b16_e32 v71, 8, v69
	v_and_or_b32 v72, v65, s35, v72
	v_or_b32_sdwa v74, v63, v74 dst_sel:WORD_1 dst_unused:UNUSED_PAD src0_sel:BYTE_0 src1_sel:DWORD
	v_or_b32_sdwa v71, v64, v71 dst_sel:DWORD dst_unused:UNUSED_PAD src0_sel:BYTE_0 src1_sel:DWORD
	v_cndmask_b32_e64 v65, v65, v72, s[16:17]
	v_or_b32_sdwa v71, v71, v74 dst_sel:DWORD dst_unused:UNUSED_PAD src0_sel:WORD_0 src1_sel:DWORD
	v_cmp_lt_i16_e64 s[16:17], v69, v63
	v_perm_b32 v69, v70, v65, s43
	s_nop 0
	v_cndmask_b32_e64 v63, v64, v71, s[16:17]
	v_and_b32_sdwa v64, v63, s42 dst_sel:DWORD dst_unused:UNUSED_PAD src0_sel:WORD_1 src1_sel:DWORD
	v_lshlrev_b16_e32 v71, 8, v68
	v_or_b32_sdwa v64, v64, v71 dst_sel:WORD_1 dst_unused:UNUSED_PAD src0_sel:DWORD src1_sel:DWORD
	v_cmp_lt_i16_e64 s[16:17], v68, v70
	v_and_or_b32 v64, v63, s35, v64
	v_lshlrev_b16_e32 v68, 8, v66
	v_cndmask_b32_e64 v64, v63, v64, s[16:17]
	v_cndmask_b32_e64 v63, v65, v69, s[16:17]
	v_and_b32_sdwa v65, v63, s41 dst_sel:DWORD dst_unused:UNUSED_PAD src0_sel:WORD_1 src1_sel:DWORD
	v_or_b32_sdwa v65, v67, v65 dst_sel:WORD_1 dst_unused:UNUSED_PAD src0_sel:BYTE_0 src1_sel:DWORD
	v_or_b32_sdwa v68, v63, v68 dst_sel:DWORD dst_unused:UNUSED_PAD src0_sel:BYTE_0 src1_sel:DWORD
	v_or_b32_sdwa v65, v68, v65 dst_sel:DWORD dst_unused:UNUSED_PAD src0_sel:WORD_0 src1_sel:DWORD
	v_cmp_lt_i16_e64 s[16:17], v66, v67
	s_nop 1
	v_cndmask_b32_e64 v65, v63, v65, s[16:17]
	v_mov_b32_e32 v63, v7
	ds_write_b64 v2, v[64:65]
	s_waitcnt lgkmcnt(0)
	s_barrier
	s_and_saveexec_b64 s[18:19], vcc
	s_cbranch_execz .LBB78_6
; %bb.3:                                ;   in Loop: Header=BB78_2 Depth=1
	s_mov_b64 s[20:21], 0
	v_mov_b32_e32 v63, v7
	v_mov_b32_e32 v64, v8
.LBB78_4:                               ;   Parent Loop BB78_2 Depth=1
                                        ; =>  This Inner Loop Header: Depth=2
	v_sub_u32_e32 v65, v64, v63
	v_lshrrev_b32_e32 v66, 31, v65
	v_add_u32_e32 v65, v65, v66
	v_ashrrev_i32_e32 v65, 1, v65
	v_add_u32_e32 v65, v65, v63
	v_not_b32_e32 v67, v65
	v_add_u32_e32 v66, v3, v65
	v_add3_u32 v67, v4, v67, v5
	ds_read_i8 v66, v66
	ds_read_i8 v67, v67
	v_add_u32_e32 v68, 1, v65
	s_waitcnt lgkmcnt(0)
	v_cmp_lt_i16_e64 s[16:17], v67, v66
	s_nop 1
	v_cndmask_b32_e64 v64, v64, v65, s[16:17]
	v_cndmask_b32_e64 v63, v68, v63, s[16:17]
	v_cmp_ge_i32_e64 s[16:17], v63, v64
	s_or_b64 s[20:21], s[16:17], s[20:21]
	s_andn2_b64 exec, exec, s[20:21]
	s_cbranch_execnz .LBB78_4
; %bb.5:                                ;   in Loop: Header=BB78_2 Depth=1
	s_or_b64 exec, exec, s[20:21]
.LBB78_6:                               ;   in Loop: Header=BB78_2 Depth=1
	s_or_b64 exec, exec, s[18:19]
	v_add_u32_e32 v67, v63, v3
	v_sub_u32_e32 v68, v9, v63
	ds_read_u8 v63, v67
	ds_read_u8 v64, v68
	v_cmp_le_i32_e64 s[18:19], v5, v67
	v_cmp_gt_i32_e64 s[16:17], v6, v68
                                        ; implicit-def: $vgpr65
	s_waitcnt lgkmcnt(1)
	v_bfe_i32 v63, v63, 0, 8
	s_waitcnt lgkmcnt(0)
	v_bfe_i32 v64, v64, 0, 8
	v_cmp_lt_i16_e64 s[20:21], v64, v63
	s_or_b64 s[18:19], s[18:19], s[20:21]
	s_and_b64 s[16:17], s[16:17], s[18:19]
	s_xor_b64 s[18:19], s[16:17], -1
	s_and_saveexec_b64 s[20:21], s[18:19]
	s_xor_b64 s[18:19], exec, s[20:21]
	s_cbranch_execz .LBB78_8
; %bb.7:                                ;   in Loop: Header=BB78_2 Depth=1
	ds_read_u8 v65, v67 offset:1
.LBB78_8:                               ;   in Loop: Header=BB78_2 Depth=1
	s_or_saveexec_b64 s[18:19], s[18:19]
	v_mov_b32_e32 v66, v64
	s_xor_b64 exec, exec, s[18:19]
	s_cbranch_execz .LBB78_10
; %bb.9:                                ;   in Loop: Header=BB78_2 Depth=1
	ds_read_u8 v66, v68 offset:1
	s_waitcnt lgkmcnt(1)
	v_mov_b32_e32 v65, v63
.LBB78_10:                              ;   in Loop: Header=BB78_2 Depth=1
	s_or_b64 exec, exec, s[18:19]
	v_add_u32_e32 v70, 1, v67
	v_add_u32_e32 v69, 1, v68
	v_cndmask_b32_e64 v70, v70, v67, s[16:17]
	v_cndmask_b32_e64 v69, v68, v69, s[16:17]
	v_cmp_ge_i32_e64 s[20:21], v70, v5
	s_waitcnt lgkmcnt(0)
	v_cmp_lt_i16_sdwa s[22:23], sext(v66), sext(v65) src0_sel:BYTE_0 src1_sel:BYTE_0
	v_cmp_lt_i32_e64 s[18:19], v69, v6
	s_or_b64 s[20:21], s[20:21], s[22:23]
	s_and_b64 s[18:19], s[18:19], s[20:21]
	s_xor_b64 s[20:21], s[18:19], -1
                                        ; implicit-def: $vgpr67
	s_and_saveexec_b64 s[22:23], s[20:21]
	s_xor_b64 s[20:21], exec, s[22:23]
	s_cbranch_execz .LBB78_12
; %bb.11:                               ;   in Loop: Header=BB78_2 Depth=1
	ds_read_u8 v67, v70 offset:1
.LBB78_12:                              ;   in Loop: Header=BB78_2 Depth=1
	s_or_saveexec_b64 s[20:21], s[20:21]
	v_mov_b32_e32 v68, v66
	s_xor_b64 exec, exec, s[20:21]
	s_cbranch_execz .LBB78_14
; %bb.13:                               ;   in Loop: Header=BB78_2 Depth=1
	ds_read_u8 v68, v69 offset:1
	s_waitcnt lgkmcnt(1)
	v_mov_b32_e32 v67, v65
.LBB78_14:                              ;   in Loop: Header=BB78_2 Depth=1
	s_or_b64 exec, exec, s[20:21]
	v_add_u32_e32 v72, 1, v70
	v_add_u32_e32 v71, 1, v69
	v_cndmask_b32_e64 v72, v72, v70, s[18:19]
	v_cndmask_b32_e64 v71, v69, v71, s[18:19]
	v_cmp_ge_i32_e64 s[22:23], v72, v5
	s_waitcnt lgkmcnt(0)
	v_cmp_lt_i16_sdwa s[24:25], sext(v68), sext(v67) src0_sel:BYTE_0 src1_sel:BYTE_0
	v_cmp_lt_i32_e64 s[20:21], v71, v6
	s_or_b64 s[22:23], s[22:23], s[24:25]
	s_and_b64 s[20:21], s[20:21], s[22:23]
	s_xor_b64 s[22:23], s[20:21], -1
                                        ; implicit-def: $vgpr69
	s_and_saveexec_b64 s[24:25], s[22:23]
	s_xor_b64 s[22:23], exec, s[24:25]
	s_cbranch_execz .LBB78_16
; %bb.15:                               ;   in Loop: Header=BB78_2 Depth=1
	ds_read_u8 v69, v72 offset:1
.LBB78_16:                              ;   in Loop: Header=BB78_2 Depth=1
	s_or_saveexec_b64 s[22:23], s[22:23]
	v_mov_b32_e32 v70, v68
	s_xor_b64 exec, exec, s[22:23]
	s_cbranch_execz .LBB78_18
; %bb.17:                               ;   in Loop: Header=BB78_2 Depth=1
	ds_read_u8 v70, v71 offset:1
	s_waitcnt lgkmcnt(1)
	v_mov_b32_e32 v69, v67
.LBB78_18:                              ;   in Loop: Header=BB78_2 Depth=1
	s_or_b64 exec, exec, s[22:23]
	v_add_u32_e32 v74, 1, v72
	v_add_u32_e32 v73, 1, v71
	v_cndmask_b32_e64 v74, v74, v72, s[20:21]
	v_cndmask_b32_e64 v73, v71, v73, s[20:21]
	v_cmp_ge_i32_e64 s[24:25], v74, v5
	s_waitcnt lgkmcnt(0)
	v_cmp_lt_i16_sdwa s[26:27], sext(v70), sext(v69) src0_sel:BYTE_0 src1_sel:BYTE_0
	v_cmp_lt_i32_e64 s[22:23], v73, v6
	s_or_b64 s[24:25], s[24:25], s[26:27]
	s_and_b64 s[22:23], s[22:23], s[24:25]
	s_xor_b64 s[24:25], s[22:23], -1
                                        ; implicit-def: $vgpr71
	s_and_saveexec_b64 s[26:27], s[24:25]
	s_xor_b64 s[24:25], exec, s[26:27]
	s_cbranch_execz .LBB78_20
; %bb.19:                               ;   in Loop: Header=BB78_2 Depth=1
	ds_read_u8 v71, v74 offset:1
.LBB78_20:                              ;   in Loop: Header=BB78_2 Depth=1
	s_or_saveexec_b64 s[24:25], s[24:25]
	v_mov_b32_e32 v72, v70
	s_xor_b64 exec, exec, s[24:25]
	s_cbranch_execz .LBB78_22
; %bb.21:                               ;   in Loop: Header=BB78_2 Depth=1
	ds_read_u8 v72, v73 offset:1
	s_waitcnt lgkmcnt(1)
	v_mov_b32_e32 v71, v69
.LBB78_22:                              ;   in Loop: Header=BB78_2 Depth=1
	s_or_b64 exec, exec, s[24:25]
	v_add_u32_e32 v76, 1, v74
	v_add_u32_e32 v75, 1, v73
	v_cndmask_b32_e64 v76, v76, v74, s[22:23]
	v_cndmask_b32_e64 v75, v73, v75, s[22:23]
	v_cmp_ge_i32_e64 s[26:27], v76, v5
	s_waitcnt lgkmcnt(0)
	v_cmp_lt_i16_sdwa s[28:29], sext(v72), sext(v71) src0_sel:BYTE_0 src1_sel:BYTE_0
	v_cmp_lt_i32_e64 s[24:25], v75, v6
	s_or_b64 s[26:27], s[26:27], s[28:29]
	s_and_b64 s[24:25], s[24:25], s[26:27]
	s_xor_b64 s[26:27], s[24:25], -1
                                        ; implicit-def: $vgpr73
	s_and_saveexec_b64 s[28:29], s[26:27]
	s_xor_b64 s[26:27], exec, s[28:29]
	s_cbranch_execz .LBB78_24
; %bb.23:                               ;   in Loop: Header=BB78_2 Depth=1
	ds_read_u8 v73, v76 offset:1
.LBB78_24:                              ;   in Loop: Header=BB78_2 Depth=1
	s_or_saveexec_b64 s[26:27], s[26:27]
	v_mov_b32_e32 v74, v72
	s_xor_b64 exec, exec, s[26:27]
	s_cbranch_execz .LBB78_26
; %bb.25:                               ;   in Loop: Header=BB78_2 Depth=1
	ds_read_u8 v74, v75 offset:1
	s_waitcnt lgkmcnt(1)
	v_mov_b32_e32 v73, v71
.LBB78_26:                              ;   in Loop: Header=BB78_2 Depth=1
	s_or_b64 exec, exec, s[26:27]
	v_add_u32_e32 v78, 1, v76
	v_add_u32_e32 v77, 1, v75
	v_cndmask_b32_e64 v79, v78, v76, s[24:25]
	v_cndmask_b32_e64 v77, v75, v77, s[24:25]
	v_cmp_ge_i32_e64 s[28:29], v79, v5
	s_waitcnt lgkmcnt(0)
	v_cmp_lt_i16_sdwa s[30:31], sext(v74), sext(v73) src0_sel:BYTE_0 src1_sel:BYTE_0
	v_cmp_lt_i32_e64 s[26:27], v77, v6
	s_or_b64 s[28:29], s[28:29], s[30:31]
	s_and_b64 s[26:27], s[26:27], s[28:29]
	s_xor_b64 s[28:29], s[26:27], -1
                                        ; implicit-def: $vgpr75
	s_and_saveexec_b64 s[30:31], s[28:29]
	s_xor_b64 s[28:29], exec, s[30:31]
	s_cbranch_execz .LBB78_28
; %bb.27:                               ;   in Loop: Header=BB78_2 Depth=1
	ds_read_u8 v75, v79 offset:1
.LBB78_28:                              ;   in Loop: Header=BB78_2 Depth=1
	s_or_saveexec_b64 s[28:29], s[28:29]
	v_mov_b32_e32 v76, v74
	s_xor_b64 exec, exec, s[28:29]
	s_cbranch_execz .LBB78_30
; %bb.29:                               ;   in Loop: Header=BB78_2 Depth=1
	ds_read_u8 v76, v77 offset:1
	s_waitcnt lgkmcnt(1)
	v_mov_b32_e32 v75, v73
.LBB78_30:                              ;   in Loop: Header=BB78_2 Depth=1
	s_or_b64 exec, exec, s[28:29]
	v_add_u32_e32 v80, 1, v79
	v_add_u32_e32 v78, 1, v77
	v_cndmask_b32_e64 v79, v80, v79, s[26:27]
	v_cndmask_b32_e64 v78, v77, v78, s[26:27]
	v_cmp_ge_i32_e64 s[30:31], v79, v5
	s_waitcnt lgkmcnt(0)
	v_cmp_lt_i16_sdwa s[46:47], sext(v76), sext(v75) src0_sel:BYTE_0 src1_sel:BYTE_0
	v_cmp_lt_i32_e64 s[28:29], v78, v6
	s_or_b64 s[30:31], s[30:31], s[46:47]
	s_and_b64 s[28:29], s[28:29], s[30:31]
	s_xor_b64 s[30:31], s[28:29], -1
                                        ; implicit-def: $vgpr77
	s_and_saveexec_b64 s[46:47], s[30:31]
	s_xor_b64 s[30:31], exec, s[46:47]
	s_cbranch_execz .LBB78_32
; %bb.31:                               ;   in Loop: Header=BB78_2 Depth=1
	ds_read_u8 v77, v79 offset:1
.LBB78_32:                              ;   in Loop: Header=BB78_2 Depth=1
	s_or_saveexec_b64 s[30:31], s[30:31]
	v_mov_b32_e32 v80, v76
	s_xor_b64 exec, exec, s[30:31]
	s_cbranch_execz .LBB78_34
; %bb.33:                               ;   in Loop: Header=BB78_2 Depth=1
	ds_read_u8 v80, v78 offset:1
	s_waitcnt lgkmcnt(1)
	v_mov_b32_e32 v77, v75
.LBB78_34:                              ;   in Loop: Header=BB78_2 Depth=1
	s_or_b64 exec, exec, s[30:31]
	v_cndmask_b32_e64 v75, v75, v76, s[28:29]
	v_add_u32_e32 v76, 1, v78
	v_add_u32_e32 v81, 1, v79
	v_cndmask_b32_e64 v76, v78, v76, s[28:29]
	v_cndmask_b32_e64 v78, v81, v79, s[28:29]
	;; [unrolled: 1-line block ×4, first 2 shown]
	v_cmp_ge_i32_e64 s[18:19], v78, v5
	s_waitcnt lgkmcnt(0)
	v_cmp_lt_i16_sdwa s[20:21], sext(v80), sext(v77) src0_sel:BYTE_0 src1_sel:BYTE_0
	v_cndmask_b32_e64 v69, v69, v70, s[22:23]
	v_cndmask_b32_e64 v63, v63, v64, s[16:17]
	v_cmp_lt_i32_e64 s[16:17], v76, v6
	s_or_b64 s[18:19], s[18:19], s[20:21]
	v_lshlrev_b16_e32 v64, 8, v65
	s_and_b64 s[16:17], s[16:17], s[18:19]
	v_or_b32_sdwa v63, v63, v64 dst_sel:DWORD dst_unused:UNUSED_PAD src0_sel:BYTE_0 src1_sel:DWORD
	v_lshlrev_b16_e32 v64, 8, v69
	v_cndmask_b32_e64 v73, v73, v74, s[26:27]
	v_cndmask_b32_e64 v66, v77, v80, s[16:17]
	v_or_b32_sdwa v64, v67, v64 dst_sel:WORD_1 dst_unused:UNUSED_PAD src0_sel:BYTE_0 src1_sel:DWORD
	v_cndmask_b32_e64 v71, v71, v72, s[24:25]
	v_or_b32_sdwa v64, v63, v64 dst_sel:DWORD dst_unused:UNUSED_PAD src0_sel:WORD_0 src1_sel:DWORD
	v_lshlrev_b16_e32 v63, 8, v73
	v_lshlrev_b16_e32 v65, 8, v66
	v_or_b32_sdwa v63, v71, v63 dst_sel:DWORD dst_unused:UNUSED_PAD src0_sel:BYTE_0 src1_sel:DWORD
	v_or_b32_sdwa v65, v75, v65 dst_sel:WORD_1 dst_unused:UNUSED_PAD src0_sel:BYTE_0 src1_sel:DWORD
	s_nop 0
	v_or_b32_sdwa v65, v63, v65 dst_sel:DWORD dst_unused:UNUSED_PAD src0_sel:WORD_0 src1_sel:DWORD
	v_mov_b32_e32 v63, v14
	s_barrier
	ds_write_b64 v2, v[64:65]
	s_waitcnt lgkmcnt(0)
	s_barrier
	s_and_saveexec_b64 s[18:19], s[0:1]
	s_cbranch_execz .LBB78_38
; %bb.35:                               ;   in Loop: Header=BB78_2 Depth=1
	s_mov_b64 s[20:21], 0
	v_mov_b32_e32 v63, v14
	v_mov_b32_e32 v64, v15
.LBB78_36:                              ;   Parent Loop BB78_2 Depth=1
                                        ; =>  This Inner Loop Header: Depth=2
	v_sub_u32_e32 v65, v64, v63
	v_lshrrev_b32_e32 v66, 31, v65
	v_add_u32_e32 v65, v65, v66
	v_ashrrev_i32_e32 v65, 1, v65
	v_add_u32_e32 v65, v65, v63
	v_not_b32_e32 v67, v65
	v_add_u32_e32 v66, v10, v65
	v_add3_u32 v67, v11, v67, v12
	ds_read_i8 v66, v66
	ds_read_i8 v67, v67
	v_add_u32_e32 v68, 1, v65
	s_waitcnt lgkmcnt(0)
	v_cmp_lt_i16_e64 s[16:17], v67, v66
	s_nop 1
	v_cndmask_b32_e64 v64, v64, v65, s[16:17]
	v_cndmask_b32_e64 v63, v68, v63, s[16:17]
	v_cmp_ge_i32_e64 s[16:17], v63, v64
	s_or_b64 s[20:21], s[16:17], s[20:21]
	s_andn2_b64 exec, exec, s[20:21]
	s_cbranch_execnz .LBB78_36
; %bb.37:                               ;   in Loop: Header=BB78_2 Depth=1
	s_or_b64 exec, exec, s[20:21]
.LBB78_38:                              ;   in Loop: Header=BB78_2 Depth=1
	s_or_b64 exec, exec, s[18:19]
	v_add_u32_e32 v67, v63, v10
	v_sub_u32_e32 v68, v16, v63
	ds_read_u8 v63, v67
	ds_read_u8 v64, v68
	v_cmp_le_i32_e64 s[18:19], v12, v67
	v_cmp_gt_i32_e64 s[16:17], v13, v68
                                        ; implicit-def: $vgpr65
	s_waitcnt lgkmcnt(1)
	v_bfe_i32 v63, v63, 0, 8
	s_waitcnt lgkmcnt(0)
	v_bfe_i32 v64, v64, 0, 8
	v_cmp_lt_i16_e64 s[20:21], v64, v63
	s_or_b64 s[18:19], s[18:19], s[20:21]
	s_and_b64 s[16:17], s[16:17], s[18:19]
	s_xor_b64 s[18:19], s[16:17], -1
	s_and_saveexec_b64 s[20:21], s[18:19]
	s_xor_b64 s[18:19], exec, s[20:21]
	s_cbranch_execz .LBB78_40
; %bb.39:                               ;   in Loop: Header=BB78_2 Depth=1
	ds_read_u8 v65, v67 offset:1
.LBB78_40:                              ;   in Loop: Header=BB78_2 Depth=1
	s_or_saveexec_b64 s[18:19], s[18:19]
	v_mov_b32_e32 v66, v64
	s_xor_b64 exec, exec, s[18:19]
	s_cbranch_execz .LBB78_42
; %bb.41:                               ;   in Loop: Header=BB78_2 Depth=1
	ds_read_u8 v66, v68 offset:1
	s_waitcnt lgkmcnt(1)
	v_mov_b32_e32 v65, v63
.LBB78_42:                              ;   in Loop: Header=BB78_2 Depth=1
	s_or_b64 exec, exec, s[18:19]
	v_add_u32_e32 v70, 1, v67
	v_add_u32_e32 v69, 1, v68
	v_cndmask_b32_e64 v70, v70, v67, s[16:17]
	v_cndmask_b32_e64 v69, v68, v69, s[16:17]
	v_cmp_ge_i32_e64 s[20:21], v70, v12
	s_waitcnt lgkmcnt(0)
	v_cmp_lt_i16_sdwa s[22:23], sext(v66), sext(v65) src0_sel:BYTE_0 src1_sel:BYTE_0
	v_cmp_lt_i32_e64 s[18:19], v69, v13
	s_or_b64 s[20:21], s[20:21], s[22:23]
	s_and_b64 s[18:19], s[18:19], s[20:21]
	s_xor_b64 s[20:21], s[18:19], -1
                                        ; implicit-def: $vgpr67
	s_and_saveexec_b64 s[22:23], s[20:21]
	s_xor_b64 s[20:21], exec, s[22:23]
	s_cbranch_execz .LBB78_44
; %bb.43:                               ;   in Loop: Header=BB78_2 Depth=1
	ds_read_u8 v67, v70 offset:1
.LBB78_44:                              ;   in Loop: Header=BB78_2 Depth=1
	s_or_saveexec_b64 s[20:21], s[20:21]
	v_mov_b32_e32 v68, v66
	s_xor_b64 exec, exec, s[20:21]
	s_cbranch_execz .LBB78_46
; %bb.45:                               ;   in Loop: Header=BB78_2 Depth=1
	ds_read_u8 v68, v69 offset:1
	s_waitcnt lgkmcnt(1)
	v_mov_b32_e32 v67, v65
.LBB78_46:                              ;   in Loop: Header=BB78_2 Depth=1
	s_or_b64 exec, exec, s[20:21]
	v_add_u32_e32 v72, 1, v70
	v_add_u32_e32 v71, 1, v69
	v_cndmask_b32_e64 v72, v72, v70, s[18:19]
	v_cndmask_b32_e64 v71, v69, v71, s[18:19]
	v_cmp_ge_i32_e64 s[22:23], v72, v12
	s_waitcnt lgkmcnt(0)
	v_cmp_lt_i16_sdwa s[24:25], sext(v68), sext(v67) src0_sel:BYTE_0 src1_sel:BYTE_0
	v_cmp_lt_i32_e64 s[20:21], v71, v13
	s_or_b64 s[22:23], s[22:23], s[24:25]
	s_and_b64 s[20:21], s[20:21], s[22:23]
	s_xor_b64 s[22:23], s[20:21], -1
                                        ; implicit-def: $vgpr69
	s_and_saveexec_b64 s[24:25], s[22:23]
	s_xor_b64 s[22:23], exec, s[24:25]
	s_cbranch_execz .LBB78_48
; %bb.47:                               ;   in Loop: Header=BB78_2 Depth=1
	ds_read_u8 v69, v72 offset:1
.LBB78_48:                              ;   in Loop: Header=BB78_2 Depth=1
	s_or_saveexec_b64 s[22:23], s[22:23]
	v_mov_b32_e32 v70, v68
	s_xor_b64 exec, exec, s[22:23]
	s_cbranch_execz .LBB78_50
; %bb.49:                               ;   in Loop: Header=BB78_2 Depth=1
	ds_read_u8 v70, v71 offset:1
	s_waitcnt lgkmcnt(1)
	v_mov_b32_e32 v69, v67
.LBB78_50:                              ;   in Loop: Header=BB78_2 Depth=1
	s_or_b64 exec, exec, s[22:23]
	v_add_u32_e32 v74, 1, v72
	v_add_u32_e32 v73, 1, v71
	v_cndmask_b32_e64 v74, v74, v72, s[20:21]
	v_cndmask_b32_e64 v73, v71, v73, s[20:21]
	v_cmp_ge_i32_e64 s[24:25], v74, v12
	s_waitcnt lgkmcnt(0)
	v_cmp_lt_i16_sdwa s[26:27], sext(v70), sext(v69) src0_sel:BYTE_0 src1_sel:BYTE_0
	v_cmp_lt_i32_e64 s[22:23], v73, v13
	s_or_b64 s[24:25], s[24:25], s[26:27]
	s_and_b64 s[22:23], s[22:23], s[24:25]
	s_xor_b64 s[24:25], s[22:23], -1
                                        ; implicit-def: $vgpr71
	s_and_saveexec_b64 s[26:27], s[24:25]
	s_xor_b64 s[24:25], exec, s[26:27]
	s_cbranch_execz .LBB78_52
; %bb.51:                               ;   in Loop: Header=BB78_2 Depth=1
	ds_read_u8 v71, v74 offset:1
.LBB78_52:                              ;   in Loop: Header=BB78_2 Depth=1
	s_or_saveexec_b64 s[24:25], s[24:25]
	v_mov_b32_e32 v72, v70
	s_xor_b64 exec, exec, s[24:25]
	s_cbranch_execz .LBB78_54
; %bb.53:                               ;   in Loop: Header=BB78_2 Depth=1
	ds_read_u8 v72, v73 offset:1
	s_waitcnt lgkmcnt(1)
	v_mov_b32_e32 v71, v69
.LBB78_54:                              ;   in Loop: Header=BB78_2 Depth=1
	s_or_b64 exec, exec, s[24:25]
	v_add_u32_e32 v76, 1, v74
	v_add_u32_e32 v75, 1, v73
	v_cndmask_b32_e64 v76, v76, v74, s[22:23]
	v_cndmask_b32_e64 v75, v73, v75, s[22:23]
	v_cmp_ge_i32_e64 s[26:27], v76, v12
	s_waitcnt lgkmcnt(0)
	v_cmp_lt_i16_sdwa s[28:29], sext(v72), sext(v71) src0_sel:BYTE_0 src1_sel:BYTE_0
	v_cmp_lt_i32_e64 s[24:25], v75, v13
	s_or_b64 s[26:27], s[26:27], s[28:29]
	s_and_b64 s[24:25], s[24:25], s[26:27]
	s_xor_b64 s[26:27], s[24:25], -1
                                        ; implicit-def: $vgpr73
	s_and_saveexec_b64 s[28:29], s[26:27]
	s_xor_b64 s[26:27], exec, s[28:29]
	s_cbranch_execz .LBB78_56
; %bb.55:                               ;   in Loop: Header=BB78_2 Depth=1
	ds_read_u8 v73, v76 offset:1
.LBB78_56:                              ;   in Loop: Header=BB78_2 Depth=1
	s_or_saveexec_b64 s[26:27], s[26:27]
	v_mov_b32_e32 v74, v72
	s_xor_b64 exec, exec, s[26:27]
	s_cbranch_execz .LBB78_58
; %bb.57:                               ;   in Loop: Header=BB78_2 Depth=1
	ds_read_u8 v74, v75 offset:1
	s_waitcnt lgkmcnt(1)
	v_mov_b32_e32 v73, v71
.LBB78_58:                              ;   in Loop: Header=BB78_2 Depth=1
	s_or_b64 exec, exec, s[26:27]
	v_add_u32_e32 v78, 1, v76
	v_add_u32_e32 v77, 1, v75
	v_cndmask_b32_e64 v79, v78, v76, s[24:25]
	v_cndmask_b32_e64 v77, v75, v77, s[24:25]
	v_cmp_ge_i32_e64 s[28:29], v79, v12
	s_waitcnt lgkmcnt(0)
	v_cmp_lt_i16_sdwa s[30:31], sext(v74), sext(v73) src0_sel:BYTE_0 src1_sel:BYTE_0
	v_cmp_lt_i32_e64 s[26:27], v77, v13
	s_or_b64 s[28:29], s[28:29], s[30:31]
	s_and_b64 s[26:27], s[26:27], s[28:29]
	s_xor_b64 s[28:29], s[26:27], -1
                                        ; implicit-def: $vgpr75
	s_and_saveexec_b64 s[30:31], s[28:29]
	s_xor_b64 s[28:29], exec, s[30:31]
	s_cbranch_execz .LBB78_60
; %bb.59:                               ;   in Loop: Header=BB78_2 Depth=1
	ds_read_u8 v75, v79 offset:1
.LBB78_60:                              ;   in Loop: Header=BB78_2 Depth=1
	s_or_saveexec_b64 s[28:29], s[28:29]
	v_mov_b32_e32 v76, v74
	s_xor_b64 exec, exec, s[28:29]
	s_cbranch_execz .LBB78_62
; %bb.61:                               ;   in Loop: Header=BB78_2 Depth=1
	ds_read_u8 v76, v77 offset:1
	s_waitcnt lgkmcnt(1)
	v_mov_b32_e32 v75, v73
.LBB78_62:                              ;   in Loop: Header=BB78_2 Depth=1
	s_or_b64 exec, exec, s[28:29]
	v_add_u32_e32 v80, 1, v79
	v_add_u32_e32 v78, 1, v77
	v_cndmask_b32_e64 v79, v80, v79, s[26:27]
	v_cndmask_b32_e64 v78, v77, v78, s[26:27]
	v_cmp_ge_i32_e64 s[30:31], v79, v12
	s_waitcnt lgkmcnt(0)
	v_cmp_lt_i16_sdwa s[46:47], sext(v76), sext(v75) src0_sel:BYTE_0 src1_sel:BYTE_0
	v_cmp_lt_i32_e64 s[28:29], v78, v13
	s_or_b64 s[30:31], s[30:31], s[46:47]
	s_and_b64 s[28:29], s[28:29], s[30:31]
	s_xor_b64 s[30:31], s[28:29], -1
                                        ; implicit-def: $vgpr77
	s_and_saveexec_b64 s[46:47], s[30:31]
	s_xor_b64 s[30:31], exec, s[46:47]
	s_cbranch_execz .LBB78_64
; %bb.63:                               ;   in Loop: Header=BB78_2 Depth=1
	ds_read_u8 v77, v79 offset:1
.LBB78_64:                              ;   in Loop: Header=BB78_2 Depth=1
	s_or_saveexec_b64 s[30:31], s[30:31]
	v_mov_b32_e32 v80, v76
	s_xor_b64 exec, exec, s[30:31]
	s_cbranch_execz .LBB78_66
; %bb.65:                               ;   in Loop: Header=BB78_2 Depth=1
	ds_read_u8 v80, v78 offset:1
	s_waitcnt lgkmcnt(1)
	v_mov_b32_e32 v77, v75
.LBB78_66:                              ;   in Loop: Header=BB78_2 Depth=1
	s_or_b64 exec, exec, s[30:31]
	v_cndmask_b32_e64 v75, v75, v76, s[28:29]
	v_add_u32_e32 v76, 1, v78
	v_add_u32_e32 v81, 1, v79
	v_cndmask_b32_e64 v76, v78, v76, s[28:29]
	v_cndmask_b32_e64 v78, v81, v79, s[28:29]
	;; [unrolled: 1-line block ×4, first 2 shown]
	v_cmp_ge_i32_e64 s[18:19], v78, v12
	s_waitcnt lgkmcnt(0)
	v_cmp_lt_i16_sdwa s[20:21], sext(v80), sext(v77) src0_sel:BYTE_0 src1_sel:BYTE_0
	v_cndmask_b32_e64 v69, v69, v70, s[22:23]
	v_cndmask_b32_e64 v63, v63, v64, s[16:17]
	v_cmp_lt_i32_e64 s[16:17], v76, v13
	s_or_b64 s[18:19], s[18:19], s[20:21]
	v_lshlrev_b16_e32 v64, 8, v65
	s_and_b64 s[16:17], s[16:17], s[18:19]
	v_or_b32_sdwa v63, v63, v64 dst_sel:DWORD dst_unused:UNUSED_PAD src0_sel:BYTE_0 src1_sel:DWORD
	v_lshlrev_b16_e32 v64, 8, v69
	v_cndmask_b32_e64 v73, v73, v74, s[26:27]
	v_cndmask_b32_e64 v66, v77, v80, s[16:17]
	v_or_b32_sdwa v64, v67, v64 dst_sel:WORD_1 dst_unused:UNUSED_PAD src0_sel:BYTE_0 src1_sel:DWORD
	v_cndmask_b32_e64 v71, v71, v72, s[24:25]
	v_or_b32_sdwa v64, v63, v64 dst_sel:DWORD dst_unused:UNUSED_PAD src0_sel:WORD_0 src1_sel:DWORD
	v_lshlrev_b16_e32 v63, 8, v73
	v_lshlrev_b16_e32 v65, 8, v66
	v_or_b32_sdwa v63, v71, v63 dst_sel:DWORD dst_unused:UNUSED_PAD src0_sel:BYTE_0 src1_sel:DWORD
	v_or_b32_sdwa v65, v75, v65 dst_sel:WORD_1 dst_unused:UNUSED_PAD src0_sel:BYTE_0 src1_sel:DWORD
	s_nop 0
	v_or_b32_sdwa v65, v63, v65 dst_sel:DWORD dst_unused:UNUSED_PAD src0_sel:WORD_0 src1_sel:DWORD
	v_mov_b32_e32 v63, v21
	s_barrier
	ds_write_b64 v2, v[64:65]
	s_waitcnt lgkmcnt(0)
	s_barrier
	s_and_saveexec_b64 s[18:19], s[2:3]
	s_cbranch_execz .LBB78_70
; %bb.67:                               ;   in Loop: Header=BB78_2 Depth=1
	s_mov_b64 s[20:21], 0
	v_mov_b32_e32 v63, v21
	v_mov_b32_e32 v64, v22
.LBB78_68:                              ;   Parent Loop BB78_2 Depth=1
                                        ; =>  This Inner Loop Header: Depth=2
	v_sub_u32_e32 v65, v64, v63
	v_lshrrev_b32_e32 v66, 31, v65
	v_add_u32_e32 v65, v65, v66
	v_ashrrev_i32_e32 v65, 1, v65
	v_add_u32_e32 v65, v65, v63
	v_not_b32_e32 v67, v65
	v_add_u32_e32 v66, v17, v65
	v_add3_u32 v67, v18, v67, v19
	ds_read_i8 v66, v66
	ds_read_i8 v67, v67
	v_add_u32_e32 v68, 1, v65
	s_waitcnt lgkmcnt(0)
	v_cmp_lt_i16_e64 s[16:17], v67, v66
	s_nop 1
	v_cndmask_b32_e64 v64, v64, v65, s[16:17]
	v_cndmask_b32_e64 v63, v68, v63, s[16:17]
	v_cmp_ge_i32_e64 s[16:17], v63, v64
	s_or_b64 s[20:21], s[16:17], s[20:21]
	s_andn2_b64 exec, exec, s[20:21]
	s_cbranch_execnz .LBB78_68
; %bb.69:                               ;   in Loop: Header=BB78_2 Depth=1
	s_or_b64 exec, exec, s[20:21]
.LBB78_70:                              ;   in Loop: Header=BB78_2 Depth=1
	s_or_b64 exec, exec, s[18:19]
	v_add_u32_e32 v67, v63, v17
	v_sub_u32_e32 v68, v23, v63
	ds_read_u8 v63, v67
	ds_read_u8 v64, v68
	v_cmp_le_i32_e64 s[18:19], v19, v67
	v_cmp_gt_i32_e64 s[16:17], v20, v68
                                        ; implicit-def: $vgpr65
	s_waitcnt lgkmcnt(1)
	v_bfe_i32 v63, v63, 0, 8
	s_waitcnt lgkmcnt(0)
	v_bfe_i32 v64, v64, 0, 8
	v_cmp_lt_i16_e64 s[20:21], v64, v63
	s_or_b64 s[18:19], s[18:19], s[20:21]
	s_and_b64 s[16:17], s[16:17], s[18:19]
	s_xor_b64 s[18:19], s[16:17], -1
	s_and_saveexec_b64 s[20:21], s[18:19]
	s_xor_b64 s[18:19], exec, s[20:21]
	s_cbranch_execz .LBB78_72
; %bb.71:                               ;   in Loop: Header=BB78_2 Depth=1
	ds_read_u8 v65, v67 offset:1
.LBB78_72:                              ;   in Loop: Header=BB78_2 Depth=1
	s_or_saveexec_b64 s[18:19], s[18:19]
	v_mov_b32_e32 v66, v64
	s_xor_b64 exec, exec, s[18:19]
	s_cbranch_execz .LBB78_74
; %bb.73:                               ;   in Loop: Header=BB78_2 Depth=1
	ds_read_u8 v66, v68 offset:1
	s_waitcnt lgkmcnt(1)
	v_mov_b32_e32 v65, v63
.LBB78_74:                              ;   in Loop: Header=BB78_2 Depth=1
	s_or_b64 exec, exec, s[18:19]
	v_add_u32_e32 v70, 1, v67
	v_add_u32_e32 v69, 1, v68
	v_cndmask_b32_e64 v70, v70, v67, s[16:17]
	v_cndmask_b32_e64 v69, v68, v69, s[16:17]
	v_cmp_ge_i32_e64 s[20:21], v70, v19
	s_waitcnt lgkmcnt(0)
	v_cmp_lt_i16_sdwa s[22:23], sext(v66), sext(v65) src0_sel:BYTE_0 src1_sel:BYTE_0
	v_cmp_lt_i32_e64 s[18:19], v69, v20
	s_or_b64 s[20:21], s[20:21], s[22:23]
	s_and_b64 s[18:19], s[18:19], s[20:21]
	s_xor_b64 s[20:21], s[18:19], -1
                                        ; implicit-def: $vgpr67
	s_and_saveexec_b64 s[22:23], s[20:21]
	s_xor_b64 s[20:21], exec, s[22:23]
	s_cbranch_execz .LBB78_76
; %bb.75:                               ;   in Loop: Header=BB78_2 Depth=1
	ds_read_u8 v67, v70 offset:1
.LBB78_76:                              ;   in Loop: Header=BB78_2 Depth=1
	s_or_saveexec_b64 s[20:21], s[20:21]
	v_mov_b32_e32 v68, v66
	s_xor_b64 exec, exec, s[20:21]
	s_cbranch_execz .LBB78_78
; %bb.77:                               ;   in Loop: Header=BB78_2 Depth=1
	ds_read_u8 v68, v69 offset:1
	s_waitcnt lgkmcnt(1)
	v_mov_b32_e32 v67, v65
.LBB78_78:                              ;   in Loop: Header=BB78_2 Depth=1
	s_or_b64 exec, exec, s[20:21]
	v_add_u32_e32 v72, 1, v70
	v_add_u32_e32 v71, 1, v69
	v_cndmask_b32_e64 v72, v72, v70, s[18:19]
	v_cndmask_b32_e64 v71, v69, v71, s[18:19]
	v_cmp_ge_i32_e64 s[22:23], v72, v19
	s_waitcnt lgkmcnt(0)
	v_cmp_lt_i16_sdwa s[24:25], sext(v68), sext(v67) src0_sel:BYTE_0 src1_sel:BYTE_0
	v_cmp_lt_i32_e64 s[20:21], v71, v20
	s_or_b64 s[22:23], s[22:23], s[24:25]
	s_and_b64 s[20:21], s[20:21], s[22:23]
	s_xor_b64 s[22:23], s[20:21], -1
                                        ; implicit-def: $vgpr69
	s_and_saveexec_b64 s[24:25], s[22:23]
	s_xor_b64 s[22:23], exec, s[24:25]
	s_cbranch_execz .LBB78_80
; %bb.79:                               ;   in Loop: Header=BB78_2 Depth=1
	ds_read_u8 v69, v72 offset:1
.LBB78_80:                              ;   in Loop: Header=BB78_2 Depth=1
	s_or_saveexec_b64 s[22:23], s[22:23]
	v_mov_b32_e32 v70, v68
	s_xor_b64 exec, exec, s[22:23]
	s_cbranch_execz .LBB78_82
; %bb.81:                               ;   in Loop: Header=BB78_2 Depth=1
	ds_read_u8 v70, v71 offset:1
	s_waitcnt lgkmcnt(1)
	v_mov_b32_e32 v69, v67
.LBB78_82:                              ;   in Loop: Header=BB78_2 Depth=1
	s_or_b64 exec, exec, s[22:23]
	v_add_u32_e32 v74, 1, v72
	v_add_u32_e32 v73, 1, v71
	v_cndmask_b32_e64 v74, v74, v72, s[20:21]
	v_cndmask_b32_e64 v73, v71, v73, s[20:21]
	v_cmp_ge_i32_e64 s[24:25], v74, v19
	s_waitcnt lgkmcnt(0)
	v_cmp_lt_i16_sdwa s[26:27], sext(v70), sext(v69) src0_sel:BYTE_0 src1_sel:BYTE_0
	v_cmp_lt_i32_e64 s[22:23], v73, v20
	s_or_b64 s[24:25], s[24:25], s[26:27]
	s_and_b64 s[22:23], s[22:23], s[24:25]
	s_xor_b64 s[24:25], s[22:23], -1
                                        ; implicit-def: $vgpr71
	s_and_saveexec_b64 s[26:27], s[24:25]
	s_xor_b64 s[24:25], exec, s[26:27]
	s_cbranch_execz .LBB78_84
; %bb.83:                               ;   in Loop: Header=BB78_2 Depth=1
	ds_read_u8 v71, v74 offset:1
.LBB78_84:                              ;   in Loop: Header=BB78_2 Depth=1
	s_or_saveexec_b64 s[24:25], s[24:25]
	v_mov_b32_e32 v72, v70
	s_xor_b64 exec, exec, s[24:25]
	s_cbranch_execz .LBB78_86
; %bb.85:                               ;   in Loop: Header=BB78_2 Depth=1
	ds_read_u8 v72, v73 offset:1
	s_waitcnt lgkmcnt(1)
	v_mov_b32_e32 v71, v69
.LBB78_86:                              ;   in Loop: Header=BB78_2 Depth=1
	s_or_b64 exec, exec, s[24:25]
	v_add_u32_e32 v76, 1, v74
	v_add_u32_e32 v75, 1, v73
	v_cndmask_b32_e64 v76, v76, v74, s[22:23]
	v_cndmask_b32_e64 v75, v73, v75, s[22:23]
	v_cmp_ge_i32_e64 s[26:27], v76, v19
	s_waitcnt lgkmcnt(0)
	v_cmp_lt_i16_sdwa s[28:29], sext(v72), sext(v71) src0_sel:BYTE_0 src1_sel:BYTE_0
	v_cmp_lt_i32_e64 s[24:25], v75, v20
	s_or_b64 s[26:27], s[26:27], s[28:29]
	s_and_b64 s[24:25], s[24:25], s[26:27]
	s_xor_b64 s[26:27], s[24:25], -1
                                        ; implicit-def: $vgpr73
	s_and_saveexec_b64 s[28:29], s[26:27]
	s_xor_b64 s[26:27], exec, s[28:29]
	s_cbranch_execz .LBB78_88
; %bb.87:                               ;   in Loop: Header=BB78_2 Depth=1
	ds_read_u8 v73, v76 offset:1
.LBB78_88:                              ;   in Loop: Header=BB78_2 Depth=1
	s_or_saveexec_b64 s[26:27], s[26:27]
	v_mov_b32_e32 v74, v72
	s_xor_b64 exec, exec, s[26:27]
	s_cbranch_execz .LBB78_90
; %bb.89:                               ;   in Loop: Header=BB78_2 Depth=1
	ds_read_u8 v74, v75 offset:1
	s_waitcnt lgkmcnt(1)
	v_mov_b32_e32 v73, v71
.LBB78_90:                              ;   in Loop: Header=BB78_2 Depth=1
	s_or_b64 exec, exec, s[26:27]
	v_add_u32_e32 v78, 1, v76
	v_add_u32_e32 v77, 1, v75
	v_cndmask_b32_e64 v79, v78, v76, s[24:25]
	v_cndmask_b32_e64 v77, v75, v77, s[24:25]
	v_cmp_ge_i32_e64 s[28:29], v79, v19
	s_waitcnt lgkmcnt(0)
	v_cmp_lt_i16_sdwa s[30:31], sext(v74), sext(v73) src0_sel:BYTE_0 src1_sel:BYTE_0
	v_cmp_lt_i32_e64 s[26:27], v77, v20
	s_or_b64 s[28:29], s[28:29], s[30:31]
	s_and_b64 s[26:27], s[26:27], s[28:29]
	s_xor_b64 s[28:29], s[26:27], -1
                                        ; implicit-def: $vgpr75
	s_and_saveexec_b64 s[30:31], s[28:29]
	s_xor_b64 s[28:29], exec, s[30:31]
	s_cbranch_execz .LBB78_92
; %bb.91:                               ;   in Loop: Header=BB78_2 Depth=1
	ds_read_u8 v75, v79 offset:1
.LBB78_92:                              ;   in Loop: Header=BB78_2 Depth=1
	s_or_saveexec_b64 s[28:29], s[28:29]
	v_mov_b32_e32 v76, v74
	s_xor_b64 exec, exec, s[28:29]
	s_cbranch_execz .LBB78_94
; %bb.93:                               ;   in Loop: Header=BB78_2 Depth=1
	ds_read_u8 v76, v77 offset:1
	s_waitcnt lgkmcnt(1)
	v_mov_b32_e32 v75, v73
.LBB78_94:                              ;   in Loop: Header=BB78_2 Depth=1
	s_or_b64 exec, exec, s[28:29]
	v_add_u32_e32 v80, 1, v79
	v_add_u32_e32 v78, 1, v77
	v_cndmask_b32_e64 v79, v80, v79, s[26:27]
	v_cndmask_b32_e64 v78, v77, v78, s[26:27]
	v_cmp_ge_i32_e64 s[30:31], v79, v19
	s_waitcnt lgkmcnt(0)
	v_cmp_lt_i16_sdwa s[46:47], sext(v76), sext(v75) src0_sel:BYTE_0 src1_sel:BYTE_0
	v_cmp_lt_i32_e64 s[28:29], v78, v20
	s_or_b64 s[30:31], s[30:31], s[46:47]
	s_and_b64 s[28:29], s[28:29], s[30:31]
	s_xor_b64 s[30:31], s[28:29], -1
                                        ; implicit-def: $vgpr77
	s_and_saveexec_b64 s[46:47], s[30:31]
	s_xor_b64 s[30:31], exec, s[46:47]
	s_cbranch_execz .LBB78_96
; %bb.95:                               ;   in Loop: Header=BB78_2 Depth=1
	ds_read_u8 v77, v79 offset:1
.LBB78_96:                              ;   in Loop: Header=BB78_2 Depth=1
	s_or_saveexec_b64 s[30:31], s[30:31]
	v_mov_b32_e32 v80, v76
	s_xor_b64 exec, exec, s[30:31]
	s_cbranch_execz .LBB78_98
; %bb.97:                               ;   in Loop: Header=BB78_2 Depth=1
	ds_read_u8 v80, v78 offset:1
	s_waitcnt lgkmcnt(1)
	v_mov_b32_e32 v77, v75
.LBB78_98:                              ;   in Loop: Header=BB78_2 Depth=1
	s_or_b64 exec, exec, s[30:31]
	v_cndmask_b32_e64 v75, v75, v76, s[28:29]
	v_add_u32_e32 v76, 1, v78
	v_add_u32_e32 v81, 1, v79
	v_cndmask_b32_e64 v76, v78, v76, s[28:29]
	v_cndmask_b32_e64 v78, v81, v79, s[28:29]
	v_cndmask_b32_e64 v67, v67, v68, s[20:21]
	v_cndmask_b32_e64 v65, v65, v66, s[18:19]
	v_cmp_ge_i32_e64 s[18:19], v78, v19
	s_waitcnt lgkmcnt(0)
	v_cmp_lt_i16_sdwa s[20:21], sext(v80), sext(v77) src0_sel:BYTE_0 src1_sel:BYTE_0
	v_cndmask_b32_e64 v69, v69, v70, s[22:23]
	v_cndmask_b32_e64 v63, v63, v64, s[16:17]
	v_cmp_lt_i32_e64 s[16:17], v76, v20
	s_or_b64 s[18:19], s[18:19], s[20:21]
	v_lshlrev_b16_e32 v64, 8, v65
	s_and_b64 s[16:17], s[16:17], s[18:19]
	v_or_b32_sdwa v63, v63, v64 dst_sel:DWORD dst_unused:UNUSED_PAD src0_sel:BYTE_0 src1_sel:DWORD
	v_lshlrev_b16_e32 v64, 8, v69
	v_cndmask_b32_e64 v73, v73, v74, s[26:27]
	v_cndmask_b32_e64 v66, v77, v80, s[16:17]
	v_or_b32_sdwa v64, v67, v64 dst_sel:WORD_1 dst_unused:UNUSED_PAD src0_sel:BYTE_0 src1_sel:DWORD
	v_cndmask_b32_e64 v71, v71, v72, s[24:25]
	v_or_b32_sdwa v64, v63, v64 dst_sel:DWORD dst_unused:UNUSED_PAD src0_sel:WORD_0 src1_sel:DWORD
	v_lshlrev_b16_e32 v63, 8, v73
	v_lshlrev_b16_e32 v65, 8, v66
	v_or_b32_sdwa v63, v71, v63 dst_sel:DWORD dst_unused:UNUSED_PAD src0_sel:BYTE_0 src1_sel:DWORD
	v_or_b32_sdwa v65, v75, v65 dst_sel:WORD_1 dst_unused:UNUSED_PAD src0_sel:BYTE_0 src1_sel:DWORD
	s_nop 0
	v_or_b32_sdwa v65, v63, v65 dst_sel:DWORD dst_unused:UNUSED_PAD src0_sel:WORD_0 src1_sel:DWORD
	v_mov_b32_e32 v63, v28
	s_barrier
	ds_write_b64 v2, v[64:65]
	s_waitcnt lgkmcnt(0)
	s_barrier
	s_and_saveexec_b64 s[18:19], s[4:5]
	s_cbranch_execz .LBB78_102
; %bb.99:                               ;   in Loop: Header=BB78_2 Depth=1
	s_mov_b64 s[20:21], 0
	v_mov_b32_e32 v63, v28
	v_mov_b32_e32 v64, v29
.LBB78_100:                             ;   Parent Loop BB78_2 Depth=1
                                        ; =>  This Inner Loop Header: Depth=2
	v_sub_u32_e32 v65, v64, v63
	v_lshrrev_b32_e32 v66, 31, v65
	v_add_u32_e32 v65, v65, v66
	v_ashrrev_i32_e32 v65, 1, v65
	v_add_u32_e32 v65, v65, v63
	v_not_b32_e32 v67, v65
	v_add_u32_e32 v66, v24, v65
	v_add3_u32 v67, v25, v67, v26
	ds_read_i8 v66, v66
	ds_read_i8 v67, v67
	v_add_u32_e32 v68, 1, v65
	s_waitcnt lgkmcnt(0)
	v_cmp_lt_i16_e64 s[16:17], v67, v66
	s_nop 1
	v_cndmask_b32_e64 v64, v64, v65, s[16:17]
	v_cndmask_b32_e64 v63, v68, v63, s[16:17]
	v_cmp_ge_i32_e64 s[16:17], v63, v64
	s_or_b64 s[20:21], s[16:17], s[20:21]
	s_andn2_b64 exec, exec, s[20:21]
	s_cbranch_execnz .LBB78_100
; %bb.101:                              ;   in Loop: Header=BB78_2 Depth=1
	s_or_b64 exec, exec, s[20:21]
.LBB78_102:                             ;   in Loop: Header=BB78_2 Depth=1
	s_or_b64 exec, exec, s[18:19]
	v_add_u32_e32 v67, v63, v24
	v_sub_u32_e32 v68, v30, v63
	ds_read_u8 v63, v67
	ds_read_u8 v64, v68
	v_cmp_le_i32_e64 s[18:19], v26, v67
	v_cmp_gt_i32_e64 s[16:17], v27, v68
                                        ; implicit-def: $vgpr65
	s_waitcnt lgkmcnt(1)
	v_bfe_i32 v63, v63, 0, 8
	s_waitcnt lgkmcnt(0)
	v_bfe_i32 v64, v64, 0, 8
	v_cmp_lt_i16_e64 s[20:21], v64, v63
	s_or_b64 s[18:19], s[18:19], s[20:21]
	s_and_b64 s[16:17], s[16:17], s[18:19]
	s_xor_b64 s[18:19], s[16:17], -1
	s_and_saveexec_b64 s[20:21], s[18:19]
	s_xor_b64 s[18:19], exec, s[20:21]
	s_cbranch_execz .LBB78_104
; %bb.103:                              ;   in Loop: Header=BB78_2 Depth=1
	ds_read_u8 v65, v67 offset:1
.LBB78_104:                             ;   in Loop: Header=BB78_2 Depth=1
	s_or_saveexec_b64 s[18:19], s[18:19]
	v_mov_b32_e32 v66, v64
	s_xor_b64 exec, exec, s[18:19]
	s_cbranch_execz .LBB78_106
; %bb.105:                              ;   in Loop: Header=BB78_2 Depth=1
	ds_read_u8 v66, v68 offset:1
	s_waitcnt lgkmcnt(1)
	v_mov_b32_e32 v65, v63
.LBB78_106:                             ;   in Loop: Header=BB78_2 Depth=1
	s_or_b64 exec, exec, s[18:19]
	v_add_u32_e32 v70, 1, v67
	v_add_u32_e32 v69, 1, v68
	v_cndmask_b32_e64 v70, v70, v67, s[16:17]
	v_cndmask_b32_e64 v69, v68, v69, s[16:17]
	v_cmp_ge_i32_e64 s[20:21], v70, v26
	s_waitcnt lgkmcnt(0)
	v_cmp_lt_i16_sdwa s[22:23], sext(v66), sext(v65) src0_sel:BYTE_0 src1_sel:BYTE_0
	v_cmp_lt_i32_e64 s[18:19], v69, v27
	s_or_b64 s[20:21], s[20:21], s[22:23]
	s_and_b64 s[18:19], s[18:19], s[20:21]
	s_xor_b64 s[20:21], s[18:19], -1
                                        ; implicit-def: $vgpr67
	s_and_saveexec_b64 s[22:23], s[20:21]
	s_xor_b64 s[20:21], exec, s[22:23]
	s_cbranch_execz .LBB78_108
; %bb.107:                              ;   in Loop: Header=BB78_2 Depth=1
	ds_read_u8 v67, v70 offset:1
.LBB78_108:                             ;   in Loop: Header=BB78_2 Depth=1
	s_or_saveexec_b64 s[20:21], s[20:21]
	v_mov_b32_e32 v68, v66
	s_xor_b64 exec, exec, s[20:21]
	s_cbranch_execz .LBB78_110
; %bb.109:                              ;   in Loop: Header=BB78_2 Depth=1
	ds_read_u8 v68, v69 offset:1
	s_waitcnt lgkmcnt(1)
	v_mov_b32_e32 v67, v65
.LBB78_110:                             ;   in Loop: Header=BB78_2 Depth=1
	s_or_b64 exec, exec, s[20:21]
	v_add_u32_e32 v72, 1, v70
	v_add_u32_e32 v71, 1, v69
	v_cndmask_b32_e64 v72, v72, v70, s[18:19]
	v_cndmask_b32_e64 v71, v69, v71, s[18:19]
	v_cmp_ge_i32_e64 s[22:23], v72, v26
	s_waitcnt lgkmcnt(0)
	v_cmp_lt_i16_sdwa s[24:25], sext(v68), sext(v67) src0_sel:BYTE_0 src1_sel:BYTE_0
	v_cmp_lt_i32_e64 s[20:21], v71, v27
	s_or_b64 s[22:23], s[22:23], s[24:25]
	s_and_b64 s[20:21], s[20:21], s[22:23]
	s_xor_b64 s[22:23], s[20:21], -1
                                        ; implicit-def: $vgpr69
	s_and_saveexec_b64 s[24:25], s[22:23]
	s_xor_b64 s[22:23], exec, s[24:25]
	s_cbranch_execz .LBB78_112
; %bb.111:                              ;   in Loop: Header=BB78_2 Depth=1
	ds_read_u8 v69, v72 offset:1
.LBB78_112:                             ;   in Loop: Header=BB78_2 Depth=1
	s_or_saveexec_b64 s[22:23], s[22:23]
	v_mov_b32_e32 v70, v68
	s_xor_b64 exec, exec, s[22:23]
	s_cbranch_execz .LBB78_114
; %bb.113:                              ;   in Loop: Header=BB78_2 Depth=1
	ds_read_u8 v70, v71 offset:1
	s_waitcnt lgkmcnt(1)
	v_mov_b32_e32 v69, v67
.LBB78_114:                             ;   in Loop: Header=BB78_2 Depth=1
	s_or_b64 exec, exec, s[22:23]
	v_add_u32_e32 v74, 1, v72
	v_add_u32_e32 v73, 1, v71
	v_cndmask_b32_e64 v74, v74, v72, s[20:21]
	v_cndmask_b32_e64 v73, v71, v73, s[20:21]
	v_cmp_ge_i32_e64 s[24:25], v74, v26
	s_waitcnt lgkmcnt(0)
	v_cmp_lt_i16_sdwa s[26:27], sext(v70), sext(v69) src0_sel:BYTE_0 src1_sel:BYTE_0
	v_cmp_lt_i32_e64 s[22:23], v73, v27
	s_or_b64 s[24:25], s[24:25], s[26:27]
	s_and_b64 s[22:23], s[22:23], s[24:25]
	s_xor_b64 s[24:25], s[22:23], -1
                                        ; implicit-def: $vgpr71
	s_and_saveexec_b64 s[26:27], s[24:25]
	s_xor_b64 s[24:25], exec, s[26:27]
	s_cbranch_execz .LBB78_116
; %bb.115:                              ;   in Loop: Header=BB78_2 Depth=1
	ds_read_u8 v71, v74 offset:1
.LBB78_116:                             ;   in Loop: Header=BB78_2 Depth=1
	s_or_saveexec_b64 s[24:25], s[24:25]
	v_mov_b32_e32 v72, v70
	s_xor_b64 exec, exec, s[24:25]
	s_cbranch_execz .LBB78_118
; %bb.117:                              ;   in Loop: Header=BB78_2 Depth=1
	ds_read_u8 v72, v73 offset:1
	s_waitcnt lgkmcnt(1)
	v_mov_b32_e32 v71, v69
.LBB78_118:                             ;   in Loop: Header=BB78_2 Depth=1
	s_or_b64 exec, exec, s[24:25]
	v_add_u32_e32 v76, 1, v74
	v_add_u32_e32 v75, 1, v73
	v_cndmask_b32_e64 v76, v76, v74, s[22:23]
	v_cndmask_b32_e64 v75, v73, v75, s[22:23]
	v_cmp_ge_i32_e64 s[26:27], v76, v26
	s_waitcnt lgkmcnt(0)
	v_cmp_lt_i16_sdwa s[28:29], sext(v72), sext(v71) src0_sel:BYTE_0 src1_sel:BYTE_0
	v_cmp_lt_i32_e64 s[24:25], v75, v27
	s_or_b64 s[26:27], s[26:27], s[28:29]
	s_and_b64 s[24:25], s[24:25], s[26:27]
	s_xor_b64 s[26:27], s[24:25], -1
                                        ; implicit-def: $vgpr73
	s_and_saveexec_b64 s[28:29], s[26:27]
	s_xor_b64 s[26:27], exec, s[28:29]
	s_cbranch_execz .LBB78_120
; %bb.119:                              ;   in Loop: Header=BB78_2 Depth=1
	ds_read_u8 v73, v76 offset:1
.LBB78_120:                             ;   in Loop: Header=BB78_2 Depth=1
	s_or_saveexec_b64 s[26:27], s[26:27]
	v_mov_b32_e32 v74, v72
	s_xor_b64 exec, exec, s[26:27]
	s_cbranch_execz .LBB78_122
; %bb.121:                              ;   in Loop: Header=BB78_2 Depth=1
	ds_read_u8 v74, v75 offset:1
	s_waitcnt lgkmcnt(1)
	v_mov_b32_e32 v73, v71
.LBB78_122:                             ;   in Loop: Header=BB78_2 Depth=1
	s_or_b64 exec, exec, s[26:27]
	v_add_u32_e32 v78, 1, v76
	v_add_u32_e32 v77, 1, v75
	v_cndmask_b32_e64 v79, v78, v76, s[24:25]
	v_cndmask_b32_e64 v77, v75, v77, s[24:25]
	v_cmp_ge_i32_e64 s[28:29], v79, v26
	s_waitcnt lgkmcnt(0)
	v_cmp_lt_i16_sdwa s[30:31], sext(v74), sext(v73) src0_sel:BYTE_0 src1_sel:BYTE_0
	v_cmp_lt_i32_e64 s[26:27], v77, v27
	s_or_b64 s[28:29], s[28:29], s[30:31]
	s_and_b64 s[26:27], s[26:27], s[28:29]
	s_xor_b64 s[28:29], s[26:27], -1
                                        ; implicit-def: $vgpr75
	s_and_saveexec_b64 s[30:31], s[28:29]
	s_xor_b64 s[28:29], exec, s[30:31]
	s_cbranch_execz .LBB78_124
; %bb.123:                              ;   in Loop: Header=BB78_2 Depth=1
	ds_read_u8 v75, v79 offset:1
.LBB78_124:                             ;   in Loop: Header=BB78_2 Depth=1
	s_or_saveexec_b64 s[28:29], s[28:29]
	v_mov_b32_e32 v76, v74
	s_xor_b64 exec, exec, s[28:29]
	s_cbranch_execz .LBB78_126
; %bb.125:                              ;   in Loop: Header=BB78_2 Depth=1
	ds_read_u8 v76, v77 offset:1
	s_waitcnt lgkmcnt(1)
	v_mov_b32_e32 v75, v73
.LBB78_126:                             ;   in Loop: Header=BB78_2 Depth=1
	s_or_b64 exec, exec, s[28:29]
	v_add_u32_e32 v80, 1, v79
	v_add_u32_e32 v78, 1, v77
	v_cndmask_b32_e64 v79, v80, v79, s[26:27]
	v_cndmask_b32_e64 v78, v77, v78, s[26:27]
	v_cmp_ge_i32_e64 s[30:31], v79, v26
	s_waitcnt lgkmcnt(0)
	v_cmp_lt_i16_sdwa s[46:47], sext(v76), sext(v75) src0_sel:BYTE_0 src1_sel:BYTE_0
	v_cmp_lt_i32_e64 s[28:29], v78, v27
	s_or_b64 s[30:31], s[30:31], s[46:47]
	s_and_b64 s[28:29], s[28:29], s[30:31]
	s_xor_b64 s[30:31], s[28:29], -1
                                        ; implicit-def: $vgpr77
	s_and_saveexec_b64 s[46:47], s[30:31]
	s_xor_b64 s[30:31], exec, s[46:47]
	s_cbranch_execz .LBB78_128
; %bb.127:                              ;   in Loop: Header=BB78_2 Depth=1
	ds_read_u8 v77, v79 offset:1
.LBB78_128:                             ;   in Loop: Header=BB78_2 Depth=1
	s_or_saveexec_b64 s[30:31], s[30:31]
	v_mov_b32_e32 v80, v76
	s_xor_b64 exec, exec, s[30:31]
	s_cbranch_execz .LBB78_130
; %bb.129:                              ;   in Loop: Header=BB78_2 Depth=1
	ds_read_u8 v80, v78 offset:1
	s_waitcnt lgkmcnt(1)
	v_mov_b32_e32 v77, v75
.LBB78_130:                             ;   in Loop: Header=BB78_2 Depth=1
	s_or_b64 exec, exec, s[30:31]
	v_cndmask_b32_e64 v75, v75, v76, s[28:29]
	v_add_u32_e32 v76, 1, v78
	v_add_u32_e32 v81, 1, v79
	v_cndmask_b32_e64 v76, v78, v76, s[28:29]
	v_cndmask_b32_e64 v78, v81, v79, s[28:29]
	;; [unrolled: 1-line block ×4, first 2 shown]
	v_cmp_ge_i32_e64 s[18:19], v78, v26
	s_waitcnt lgkmcnt(0)
	v_cmp_lt_i16_sdwa s[20:21], sext(v80), sext(v77) src0_sel:BYTE_0 src1_sel:BYTE_0
	v_cndmask_b32_e64 v69, v69, v70, s[22:23]
	v_cndmask_b32_e64 v63, v63, v64, s[16:17]
	v_cmp_lt_i32_e64 s[16:17], v76, v27
	s_or_b64 s[18:19], s[18:19], s[20:21]
	v_lshlrev_b16_e32 v64, 8, v65
	s_and_b64 s[16:17], s[16:17], s[18:19]
	v_or_b32_sdwa v63, v63, v64 dst_sel:DWORD dst_unused:UNUSED_PAD src0_sel:BYTE_0 src1_sel:DWORD
	v_lshlrev_b16_e32 v64, 8, v69
	v_cndmask_b32_e64 v73, v73, v74, s[26:27]
	v_cndmask_b32_e64 v66, v77, v80, s[16:17]
	v_or_b32_sdwa v64, v67, v64 dst_sel:WORD_1 dst_unused:UNUSED_PAD src0_sel:BYTE_0 src1_sel:DWORD
	v_cndmask_b32_e64 v71, v71, v72, s[24:25]
	v_or_b32_sdwa v64, v63, v64 dst_sel:DWORD dst_unused:UNUSED_PAD src0_sel:WORD_0 src1_sel:DWORD
	v_lshlrev_b16_e32 v63, 8, v73
	v_lshlrev_b16_e32 v65, 8, v66
	v_or_b32_sdwa v63, v71, v63 dst_sel:DWORD dst_unused:UNUSED_PAD src0_sel:BYTE_0 src1_sel:DWORD
	v_or_b32_sdwa v65, v75, v65 dst_sel:WORD_1 dst_unused:UNUSED_PAD src0_sel:BYTE_0 src1_sel:DWORD
	s_nop 0
	v_or_b32_sdwa v65, v63, v65 dst_sel:DWORD dst_unused:UNUSED_PAD src0_sel:WORD_0 src1_sel:DWORD
	v_mov_b32_e32 v63, v35
	s_barrier
	ds_write_b64 v2, v[64:65]
	s_waitcnt lgkmcnt(0)
	s_barrier
	s_and_saveexec_b64 s[18:19], s[6:7]
	s_cbranch_execz .LBB78_134
; %bb.131:                              ;   in Loop: Header=BB78_2 Depth=1
	s_mov_b64 s[20:21], 0
	v_mov_b32_e32 v63, v35
	v_mov_b32_e32 v64, v36
.LBB78_132:                             ;   Parent Loop BB78_2 Depth=1
                                        ; =>  This Inner Loop Header: Depth=2
	v_sub_u32_e32 v65, v64, v63
	v_lshrrev_b32_e32 v66, 31, v65
	v_add_u32_e32 v65, v65, v66
	v_ashrrev_i32_e32 v65, 1, v65
	v_add_u32_e32 v65, v65, v63
	v_not_b32_e32 v67, v65
	v_add_u32_e32 v66, v31, v65
	v_add3_u32 v67, v32, v67, v33
	ds_read_i8 v66, v66
	ds_read_i8 v67, v67
	v_add_u32_e32 v68, 1, v65
	s_waitcnt lgkmcnt(0)
	v_cmp_lt_i16_e64 s[16:17], v67, v66
	s_nop 1
	v_cndmask_b32_e64 v64, v64, v65, s[16:17]
	v_cndmask_b32_e64 v63, v68, v63, s[16:17]
	v_cmp_ge_i32_e64 s[16:17], v63, v64
	s_or_b64 s[20:21], s[16:17], s[20:21]
	s_andn2_b64 exec, exec, s[20:21]
	s_cbranch_execnz .LBB78_132
; %bb.133:                              ;   in Loop: Header=BB78_2 Depth=1
	s_or_b64 exec, exec, s[20:21]
.LBB78_134:                             ;   in Loop: Header=BB78_2 Depth=1
	s_or_b64 exec, exec, s[18:19]
	v_add_u32_e32 v67, v63, v31
	v_sub_u32_e32 v68, v58, v63
	ds_read_u8 v63, v67
	ds_read_u8 v64, v68
	v_cmp_le_i32_e64 s[18:19], v33, v67
	v_cmp_gt_i32_e64 s[16:17], v34, v68
                                        ; implicit-def: $vgpr65
	s_waitcnt lgkmcnt(1)
	v_bfe_i32 v63, v63, 0, 8
	s_waitcnt lgkmcnt(0)
	v_bfe_i32 v64, v64, 0, 8
	v_cmp_lt_i16_e64 s[20:21], v64, v63
	s_or_b64 s[18:19], s[18:19], s[20:21]
	s_and_b64 s[16:17], s[16:17], s[18:19]
	s_xor_b64 s[18:19], s[16:17], -1
	s_and_saveexec_b64 s[20:21], s[18:19]
	s_xor_b64 s[18:19], exec, s[20:21]
	s_cbranch_execz .LBB78_136
; %bb.135:                              ;   in Loop: Header=BB78_2 Depth=1
	ds_read_u8 v65, v67 offset:1
.LBB78_136:                             ;   in Loop: Header=BB78_2 Depth=1
	s_or_saveexec_b64 s[18:19], s[18:19]
	v_mov_b32_e32 v66, v64
	s_xor_b64 exec, exec, s[18:19]
	s_cbranch_execz .LBB78_138
; %bb.137:                              ;   in Loop: Header=BB78_2 Depth=1
	ds_read_u8 v66, v68 offset:1
	s_waitcnt lgkmcnt(1)
	v_mov_b32_e32 v65, v63
.LBB78_138:                             ;   in Loop: Header=BB78_2 Depth=1
	s_or_b64 exec, exec, s[18:19]
	v_add_u32_e32 v70, 1, v67
	v_add_u32_e32 v69, 1, v68
	v_cndmask_b32_e64 v70, v70, v67, s[16:17]
	v_cndmask_b32_e64 v69, v68, v69, s[16:17]
	v_cmp_ge_i32_e64 s[20:21], v70, v33
	s_waitcnt lgkmcnt(0)
	v_cmp_lt_i16_sdwa s[22:23], sext(v66), sext(v65) src0_sel:BYTE_0 src1_sel:BYTE_0
	v_cmp_lt_i32_e64 s[18:19], v69, v34
	s_or_b64 s[20:21], s[20:21], s[22:23]
	s_and_b64 s[18:19], s[18:19], s[20:21]
	s_xor_b64 s[20:21], s[18:19], -1
                                        ; implicit-def: $vgpr67
	s_and_saveexec_b64 s[22:23], s[20:21]
	s_xor_b64 s[20:21], exec, s[22:23]
	s_cbranch_execz .LBB78_140
; %bb.139:                              ;   in Loop: Header=BB78_2 Depth=1
	ds_read_u8 v67, v70 offset:1
.LBB78_140:                             ;   in Loop: Header=BB78_2 Depth=1
	s_or_saveexec_b64 s[20:21], s[20:21]
	v_mov_b32_e32 v68, v66
	s_xor_b64 exec, exec, s[20:21]
	s_cbranch_execz .LBB78_142
; %bb.141:                              ;   in Loop: Header=BB78_2 Depth=1
	ds_read_u8 v68, v69 offset:1
	s_waitcnt lgkmcnt(1)
	v_mov_b32_e32 v67, v65
.LBB78_142:                             ;   in Loop: Header=BB78_2 Depth=1
	s_or_b64 exec, exec, s[20:21]
	v_add_u32_e32 v72, 1, v70
	v_add_u32_e32 v71, 1, v69
	v_cndmask_b32_e64 v72, v72, v70, s[18:19]
	v_cndmask_b32_e64 v71, v69, v71, s[18:19]
	v_cmp_ge_i32_e64 s[22:23], v72, v33
	s_waitcnt lgkmcnt(0)
	v_cmp_lt_i16_sdwa s[24:25], sext(v68), sext(v67) src0_sel:BYTE_0 src1_sel:BYTE_0
	v_cmp_lt_i32_e64 s[20:21], v71, v34
	s_or_b64 s[22:23], s[22:23], s[24:25]
	s_and_b64 s[20:21], s[20:21], s[22:23]
	s_xor_b64 s[22:23], s[20:21], -1
                                        ; implicit-def: $vgpr69
	s_and_saveexec_b64 s[24:25], s[22:23]
	s_xor_b64 s[22:23], exec, s[24:25]
	s_cbranch_execz .LBB78_144
; %bb.143:                              ;   in Loop: Header=BB78_2 Depth=1
	ds_read_u8 v69, v72 offset:1
.LBB78_144:                             ;   in Loop: Header=BB78_2 Depth=1
	s_or_saveexec_b64 s[22:23], s[22:23]
	v_mov_b32_e32 v70, v68
	s_xor_b64 exec, exec, s[22:23]
	s_cbranch_execz .LBB78_146
; %bb.145:                              ;   in Loop: Header=BB78_2 Depth=1
	ds_read_u8 v70, v71 offset:1
	s_waitcnt lgkmcnt(1)
	v_mov_b32_e32 v69, v67
.LBB78_146:                             ;   in Loop: Header=BB78_2 Depth=1
	s_or_b64 exec, exec, s[22:23]
	v_add_u32_e32 v74, 1, v72
	v_add_u32_e32 v73, 1, v71
	v_cndmask_b32_e64 v74, v74, v72, s[20:21]
	v_cndmask_b32_e64 v73, v71, v73, s[20:21]
	v_cmp_ge_i32_e64 s[24:25], v74, v33
	s_waitcnt lgkmcnt(0)
	v_cmp_lt_i16_sdwa s[26:27], sext(v70), sext(v69) src0_sel:BYTE_0 src1_sel:BYTE_0
	v_cmp_lt_i32_e64 s[22:23], v73, v34
	s_or_b64 s[24:25], s[24:25], s[26:27]
	s_and_b64 s[22:23], s[22:23], s[24:25]
	s_xor_b64 s[24:25], s[22:23], -1
                                        ; implicit-def: $vgpr71
	s_and_saveexec_b64 s[26:27], s[24:25]
	s_xor_b64 s[24:25], exec, s[26:27]
	s_cbranch_execz .LBB78_148
; %bb.147:                              ;   in Loop: Header=BB78_2 Depth=1
	ds_read_u8 v71, v74 offset:1
.LBB78_148:                             ;   in Loop: Header=BB78_2 Depth=1
	s_or_saveexec_b64 s[24:25], s[24:25]
	v_mov_b32_e32 v72, v70
	s_xor_b64 exec, exec, s[24:25]
	s_cbranch_execz .LBB78_150
; %bb.149:                              ;   in Loop: Header=BB78_2 Depth=1
	ds_read_u8 v72, v73 offset:1
	s_waitcnt lgkmcnt(1)
	v_mov_b32_e32 v71, v69
.LBB78_150:                             ;   in Loop: Header=BB78_2 Depth=1
	s_or_b64 exec, exec, s[24:25]
	v_add_u32_e32 v76, 1, v74
	v_add_u32_e32 v75, 1, v73
	v_cndmask_b32_e64 v76, v76, v74, s[22:23]
	v_cndmask_b32_e64 v75, v73, v75, s[22:23]
	v_cmp_ge_i32_e64 s[26:27], v76, v33
	s_waitcnt lgkmcnt(0)
	v_cmp_lt_i16_sdwa s[28:29], sext(v72), sext(v71) src0_sel:BYTE_0 src1_sel:BYTE_0
	v_cmp_lt_i32_e64 s[24:25], v75, v34
	s_or_b64 s[26:27], s[26:27], s[28:29]
	s_and_b64 s[24:25], s[24:25], s[26:27]
	s_xor_b64 s[26:27], s[24:25], -1
                                        ; implicit-def: $vgpr73
	s_and_saveexec_b64 s[28:29], s[26:27]
	s_xor_b64 s[26:27], exec, s[28:29]
	s_cbranch_execz .LBB78_152
; %bb.151:                              ;   in Loop: Header=BB78_2 Depth=1
	ds_read_u8 v73, v76 offset:1
.LBB78_152:                             ;   in Loop: Header=BB78_2 Depth=1
	s_or_saveexec_b64 s[26:27], s[26:27]
	v_mov_b32_e32 v74, v72
	s_xor_b64 exec, exec, s[26:27]
	s_cbranch_execz .LBB78_154
; %bb.153:                              ;   in Loop: Header=BB78_2 Depth=1
	ds_read_u8 v74, v75 offset:1
	s_waitcnt lgkmcnt(1)
	v_mov_b32_e32 v73, v71
.LBB78_154:                             ;   in Loop: Header=BB78_2 Depth=1
	s_or_b64 exec, exec, s[26:27]
	v_add_u32_e32 v78, 1, v76
	v_add_u32_e32 v77, 1, v75
	v_cndmask_b32_e64 v79, v78, v76, s[24:25]
	v_cndmask_b32_e64 v77, v75, v77, s[24:25]
	v_cmp_ge_i32_e64 s[28:29], v79, v33
	s_waitcnt lgkmcnt(0)
	v_cmp_lt_i16_sdwa s[30:31], sext(v74), sext(v73) src0_sel:BYTE_0 src1_sel:BYTE_0
	v_cmp_lt_i32_e64 s[26:27], v77, v34
	s_or_b64 s[28:29], s[28:29], s[30:31]
	s_and_b64 s[26:27], s[26:27], s[28:29]
	s_xor_b64 s[28:29], s[26:27], -1
                                        ; implicit-def: $vgpr75
	s_and_saveexec_b64 s[30:31], s[28:29]
	s_xor_b64 s[28:29], exec, s[30:31]
	s_cbranch_execz .LBB78_156
; %bb.155:                              ;   in Loop: Header=BB78_2 Depth=1
	ds_read_u8 v75, v79 offset:1
.LBB78_156:                             ;   in Loop: Header=BB78_2 Depth=1
	s_or_saveexec_b64 s[28:29], s[28:29]
	v_mov_b32_e32 v76, v74
	s_xor_b64 exec, exec, s[28:29]
	s_cbranch_execz .LBB78_158
; %bb.157:                              ;   in Loop: Header=BB78_2 Depth=1
	ds_read_u8 v76, v77 offset:1
	s_waitcnt lgkmcnt(1)
	v_mov_b32_e32 v75, v73
.LBB78_158:                             ;   in Loop: Header=BB78_2 Depth=1
	s_or_b64 exec, exec, s[28:29]
	v_add_u32_e32 v80, 1, v79
	v_add_u32_e32 v78, 1, v77
	v_cndmask_b32_e64 v79, v80, v79, s[26:27]
	v_cndmask_b32_e64 v78, v77, v78, s[26:27]
	v_cmp_ge_i32_e64 s[30:31], v79, v33
	s_waitcnt lgkmcnt(0)
	v_cmp_lt_i16_sdwa s[46:47], sext(v76), sext(v75) src0_sel:BYTE_0 src1_sel:BYTE_0
	v_cmp_lt_i32_e64 s[28:29], v78, v34
	s_or_b64 s[30:31], s[30:31], s[46:47]
	s_and_b64 s[28:29], s[28:29], s[30:31]
	s_xor_b64 s[30:31], s[28:29], -1
                                        ; implicit-def: $vgpr77
	s_and_saveexec_b64 s[46:47], s[30:31]
	s_xor_b64 s[30:31], exec, s[46:47]
	s_cbranch_execz .LBB78_160
; %bb.159:                              ;   in Loop: Header=BB78_2 Depth=1
	ds_read_u8 v77, v79 offset:1
.LBB78_160:                             ;   in Loop: Header=BB78_2 Depth=1
	s_or_saveexec_b64 s[30:31], s[30:31]
	v_mov_b32_e32 v80, v76
	s_xor_b64 exec, exec, s[30:31]
	s_cbranch_execz .LBB78_162
; %bb.161:                              ;   in Loop: Header=BB78_2 Depth=1
	ds_read_u8 v80, v78 offset:1
	s_waitcnt lgkmcnt(1)
	v_mov_b32_e32 v77, v75
.LBB78_162:                             ;   in Loop: Header=BB78_2 Depth=1
	s_or_b64 exec, exec, s[30:31]
	v_cndmask_b32_e64 v75, v75, v76, s[28:29]
	v_add_u32_e32 v76, 1, v78
	v_add_u32_e32 v81, 1, v79
	v_cndmask_b32_e64 v76, v78, v76, s[28:29]
	v_cndmask_b32_e64 v78, v81, v79, s[28:29]
	;; [unrolled: 1-line block ×4, first 2 shown]
	v_cmp_ge_i32_e64 s[18:19], v78, v33
	s_waitcnt lgkmcnt(0)
	v_cmp_lt_i16_sdwa s[20:21], sext(v80), sext(v77) src0_sel:BYTE_0 src1_sel:BYTE_0
	v_cndmask_b32_e64 v69, v69, v70, s[22:23]
	v_cndmask_b32_e64 v63, v63, v64, s[16:17]
	v_cmp_lt_i32_e64 s[16:17], v76, v34
	s_or_b64 s[18:19], s[18:19], s[20:21]
	v_lshlrev_b16_e32 v64, 8, v65
	s_and_b64 s[16:17], s[16:17], s[18:19]
	v_or_b32_sdwa v63, v63, v64 dst_sel:DWORD dst_unused:UNUSED_PAD src0_sel:BYTE_0 src1_sel:DWORD
	v_lshlrev_b16_e32 v64, 8, v69
	v_cndmask_b32_e64 v73, v73, v74, s[26:27]
	v_cndmask_b32_e64 v66, v77, v80, s[16:17]
	v_or_b32_sdwa v64, v67, v64 dst_sel:WORD_1 dst_unused:UNUSED_PAD src0_sel:BYTE_0 src1_sel:DWORD
	v_cndmask_b32_e64 v71, v71, v72, s[24:25]
	v_or_b32_sdwa v64, v63, v64 dst_sel:DWORD dst_unused:UNUSED_PAD src0_sel:WORD_0 src1_sel:DWORD
	v_lshlrev_b16_e32 v63, 8, v73
	v_lshlrev_b16_e32 v65, 8, v66
	v_or_b32_sdwa v63, v71, v63 dst_sel:DWORD dst_unused:UNUSED_PAD src0_sel:BYTE_0 src1_sel:DWORD
	v_or_b32_sdwa v65, v75, v65 dst_sel:WORD_1 dst_unused:UNUSED_PAD src0_sel:BYTE_0 src1_sel:DWORD
	s_nop 0
	v_or_b32_sdwa v65, v63, v65 dst_sel:DWORD dst_unused:UNUSED_PAD src0_sel:WORD_0 src1_sel:DWORD
	v_mov_b32_e32 v63, v41
	s_barrier
	ds_write_b64 v2, v[64:65]
	s_waitcnt lgkmcnt(0)
	s_barrier
	s_and_saveexec_b64 s[18:19], s[8:9]
	s_cbranch_execz .LBB78_166
; %bb.163:                              ;   in Loop: Header=BB78_2 Depth=1
	s_mov_b64 s[20:21], 0
	v_mov_b32_e32 v63, v41
	v_mov_b32_e32 v64, v42
.LBB78_164:                             ;   Parent Loop BB78_2 Depth=1
                                        ; =>  This Inner Loop Header: Depth=2
	v_sub_u32_e32 v65, v64, v63
	v_lshrrev_b32_e32 v66, 31, v65
	v_add_u32_e32 v65, v65, v66
	v_ashrrev_i32_e32 v65, 1, v65
	v_add_u32_e32 v65, v65, v63
	v_not_b32_e32 v67, v65
	v_add_u32_e32 v66, v37, v65
	v_add3_u32 v67, v38, v67, v39
	ds_read_i8 v66, v66
	ds_read_i8 v67, v67
	v_add_u32_e32 v68, 1, v65
	s_waitcnt lgkmcnt(0)
	v_cmp_lt_i16_e64 s[16:17], v67, v66
	s_nop 1
	v_cndmask_b32_e64 v64, v64, v65, s[16:17]
	v_cndmask_b32_e64 v63, v68, v63, s[16:17]
	v_cmp_ge_i32_e64 s[16:17], v63, v64
	s_or_b64 s[20:21], s[16:17], s[20:21]
	s_andn2_b64 exec, exec, s[20:21]
	s_cbranch_execnz .LBB78_164
; %bb.165:                              ;   in Loop: Header=BB78_2 Depth=1
	s_or_b64 exec, exec, s[20:21]
.LBB78_166:                             ;   in Loop: Header=BB78_2 Depth=1
	s_or_b64 exec, exec, s[18:19]
	v_add_u32_e32 v67, v63, v37
	v_sub_u32_e32 v68, v59, v63
	ds_read_u8 v63, v67
	ds_read_u8 v64, v68
	v_cmp_le_i32_e64 s[18:19], v39, v67
	v_cmp_gt_i32_e64 s[16:17], v40, v68
                                        ; implicit-def: $vgpr65
	s_waitcnt lgkmcnt(1)
	v_bfe_i32 v63, v63, 0, 8
	s_waitcnt lgkmcnt(0)
	v_bfe_i32 v64, v64, 0, 8
	v_cmp_lt_i16_e64 s[20:21], v64, v63
	s_or_b64 s[18:19], s[18:19], s[20:21]
	s_and_b64 s[16:17], s[16:17], s[18:19]
	s_xor_b64 s[18:19], s[16:17], -1
	s_and_saveexec_b64 s[20:21], s[18:19]
	s_xor_b64 s[18:19], exec, s[20:21]
	s_cbranch_execz .LBB78_168
; %bb.167:                              ;   in Loop: Header=BB78_2 Depth=1
	ds_read_u8 v65, v67 offset:1
.LBB78_168:                             ;   in Loop: Header=BB78_2 Depth=1
	s_or_saveexec_b64 s[18:19], s[18:19]
	v_mov_b32_e32 v66, v64
	s_xor_b64 exec, exec, s[18:19]
	s_cbranch_execz .LBB78_170
; %bb.169:                              ;   in Loop: Header=BB78_2 Depth=1
	ds_read_u8 v66, v68 offset:1
	s_waitcnt lgkmcnt(1)
	v_mov_b32_e32 v65, v63
.LBB78_170:                             ;   in Loop: Header=BB78_2 Depth=1
	s_or_b64 exec, exec, s[18:19]
	v_add_u32_e32 v70, 1, v67
	v_add_u32_e32 v69, 1, v68
	v_cndmask_b32_e64 v70, v70, v67, s[16:17]
	v_cndmask_b32_e64 v69, v68, v69, s[16:17]
	v_cmp_ge_i32_e64 s[20:21], v70, v39
	s_waitcnt lgkmcnt(0)
	v_cmp_lt_i16_sdwa s[22:23], sext(v66), sext(v65) src0_sel:BYTE_0 src1_sel:BYTE_0
	v_cmp_lt_i32_e64 s[18:19], v69, v40
	s_or_b64 s[20:21], s[20:21], s[22:23]
	s_and_b64 s[18:19], s[18:19], s[20:21]
	s_xor_b64 s[20:21], s[18:19], -1
                                        ; implicit-def: $vgpr67
	s_and_saveexec_b64 s[22:23], s[20:21]
	s_xor_b64 s[20:21], exec, s[22:23]
	s_cbranch_execz .LBB78_172
; %bb.171:                              ;   in Loop: Header=BB78_2 Depth=1
	ds_read_u8 v67, v70 offset:1
.LBB78_172:                             ;   in Loop: Header=BB78_2 Depth=1
	s_or_saveexec_b64 s[20:21], s[20:21]
	v_mov_b32_e32 v68, v66
	s_xor_b64 exec, exec, s[20:21]
	s_cbranch_execz .LBB78_174
; %bb.173:                              ;   in Loop: Header=BB78_2 Depth=1
	ds_read_u8 v68, v69 offset:1
	s_waitcnt lgkmcnt(1)
	v_mov_b32_e32 v67, v65
.LBB78_174:                             ;   in Loop: Header=BB78_2 Depth=1
	s_or_b64 exec, exec, s[20:21]
	v_add_u32_e32 v72, 1, v70
	v_add_u32_e32 v71, 1, v69
	v_cndmask_b32_e64 v72, v72, v70, s[18:19]
	v_cndmask_b32_e64 v71, v69, v71, s[18:19]
	v_cmp_ge_i32_e64 s[22:23], v72, v39
	s_waitcnt lgkmcnt(0)
	v_cmp_lt_i16_sdwa s[24:25], sext(v68), sext(v67) src0_sel:BYTE_0 src1_sel:BYTE_0
	v_cmp_lt_i32_e64 s[20:21], v71, v40
	s_or_b64 s[22:23], s[22:23], s[24:25]
	s_and_b64 s[20:21], s[20:21], s[22:23]
	s_xor_b64 s[22:23], s[20:21], -1
                                        ; implicit-def: $vgpr69
	s_and_saveexec_b64 s[24:25], s[22:23]
	s_xor_b64 s[22:23], exec, s[24:25]
	s_cbranch_execz .LBB78_176
; %bb.175:                              ;   in Loop: Header=BB78_2 Depth=1
	ds_read_u8 v69, v72 offset:1
.LBB78_176:                             ;   in Loop: Header=BB78_2 Depth=1
	s_or_saveexec_b64 s[22:23], s[22:23]
	v_mov_b32_e32 v70, v68
	s_xor_b64 exec, exec, s[22:23]
	s_cbranch_execz .LBB78_178
; %bb.177:                              ;   in Loop: Header=BB78_2 Depth=1
	ds_read_u8 v70, v71 offset:1
	s_waitcnt lgkmcnt(1)
	v_mov_b32_e32 v69, v67
.LBB78_178:                             ;   in Loop: Header=BB78_2 Depth=1
	s_or_b64 exec, exec, s[22:23]
	v_add_u32_e32 v74, 1, v72
	v_add_u32_e32 v73, 1, v71
	v_cndmask_b32_e64 v74, v74, v72, s[20:21]
	v_cndmask_b32_e64 v73, v71, v73, s[20:21]
	v_cmp_ge_i32_e64 s[24:25], v74, v39
	s_waitcnt lgkmcnt(0)
	v_cmp_lt_i16_sdwa s[26:27], sext(v70), sext(v69) src0_sel:BYTE_0 src1_sel:BYTE_0
	v_cmp_lt_i32_e64 s[22:23], v73, v40
	s_or_b64 s[24:25], s[24:25], s[26:27]
	s_and_b64 s[22:23], s[22:23], s[24:25]
	s_xor_b64 s[24:25], s[22:23], -1
                                        ; implicit-def: $vgpr71
	s_and_saveexec_b64 s[26:27], s[24:25]
	s_xor_b64 s[24:25], exec, s[26:27]
	s_cbranch_execz .LBB78_180
; %bb.179:                              ;   in Loop: Header=BB78_2 Depth=1
	ds_read_u8 v71, v74 offset:1
.LBB78_180:                             ;   in Loop: Header=BB78_2 Depth=1
	s_or_saveexec_b64 s[24:25], s[24:25]
	v_mov_b32_e32 v72, v70
	s_xor_b64 exec, exec, s[24:25]
	s_cbranch_execz .LBB78_182
; %bb.181:                              ;   in Loop: Header=BB78_2 Depth=1
	ds_read_u8 v72, v73 offset:1
	s_waitcnt lgkmcnt(1)
	v_mov_b32_e32 v71, v69
.LBB78_182:                             ;   in Loop: Header=BB78_2 Depth=1
	s_or_b64 exec, exec, s[24:25]
	v_add_u32_e32 v76, 1, v74
	v_add_u32_e32 v75, 1, v73
	v_cndmask_b32_e64 v76, v76, v74, s[22:23]
	v_cndmask_b32_e64 v75, v73, v75, s[22:23]
	v_cmp_ge_i32_e64 s[26:27], v76, v39
	s_waitcnt lgkmcnt(0)
	v_cmp_lt_i16_sdwa s[28:29], sext(v72), sext(v71) src0_sel:BYTE_0 src1_sel:BYTE_0
	v_cmp_lt_i32_e64 s[24:25], v75, v40
	s_or_b64 s[26:27], s[26:27], s[28:29]
	s_and_b64 s[24:25], s[24:25], s[26:27]
	s_xor_b64 s[26:27], s[24:25], -1
                                        ; implicit-def: $vgpr73
	s_and_saveexec_b64 s[28:29], s[26:27]
	s_xor_b64 s[26:27], exec, s[28:29]
	s_cbranch_execz .LBB78_184
; %bb.183:                              ;   in Loop: Header=BB78_2 Depth=1
	ds_read_u8 v73, v76 offset:1
.LBB78_184:                             ;   in Loop: Header=BB78_2 Depth=1
	s_or_saveexec_b64 s[26:27], s[26:27]
	v_mov_b32_e32 v74, v72
	s_xor_b64 exec, exec, s[26:27]
	s_cbranch_execz .LBB78_186
; %bb.185:                              ;   in Loop: Header=BB78_2 Depth=1
	ds_read_u8 v74, v75 offset:1
	s_waitcnt lgkmcnt(1)
	v_mov_b32_e32 v73, v71
.LBB78_186:                             ;   in Loop: Header=BB78_2 Depth=1
	s_or_b64 exec, exec, s[26:27]
	v_add_u32_e32 v78, 1, v76
	v_add_u32_e32 v77, 1, v75
	v_cndmask_b32_e64 v79, v78, v76, s[24:25]
	v_cndmask_b32_e64 v77, v75, v77, s[24:25]
	v_cmp_ge_i32_e64 s[28:29], v79, v39
	s_waitcnt lgkmcnt(0)
	v_cmp_lt_i16_sdwa s[30:31], sext(v74), sext(v73) src0_sel:BYTE_0 src1_sel:BYTE_0
	v_cmp_lt_i32_e64 s[26:27], v77, v40
	s_or_b64 s[28:29], s[28:29], s[30:31]
	s_and_b64 s[26:27], s[26:27], s[28:29]
	s_xor_b64 s[28:29], s[26:27], -1
                                        ; implicit-def: $vgpr75
	s_and_saveexec_b64 s[30:31], s[28:29]
	s_xor_b64 s[28:29], exec, s[30:31]
	s_cbranch_execz .LBB78_188
; %bb.187:                              ;   in Loop: Header=BB78_2 Depth=1
	ds_read_u8 v75, v79 offset:1
.LBB78_188:                             ;   in Loop: Header=BB78_2 Depth=1
	s_or_saveexec_b64 s[28:29], s[28:29]
	v_mov_b32_e32 v76, v74
	s_xor_b64 exec, exec, s[28:29]
	s_cbranch_execz .LBB78_190
; %bb.189:                              ;   in Loop: Header=BB78_2 Depth=1
	ds_read_u8 v76, v77 offset:1
	s_waitcnt lgkmcnt(1)
	v_mov_b32_e32 v75, v73
.LBB78_190:                             ;   in Loop: Header=BB78_2 Depth=1
	s_or_b64 exec, exec, s[28:29]
	v_add_u32_e32 v80, 1, v79
	v_add_u32_e32 v78, 1, v77
	v_cndmask_b32_e64 v79, v80, v79, s[26:27]
	v_cndmask_b32_e64 v78, v77, v78, s[26:27]
	v_cmp_ge_i32_e64 s[30:31], v79, v39
	s_waitcnt lgkmcnt(0)
	v_cmp_lt_i16_sdwa s[46:47], sext(v76), sext(v75) src0_sel:BYTE_0 src1_sel:BYTE_0
	v_cmp_lt_i32_e64 s[28:29], v78, v40
	s_or_b64 s[30:31], s[30:31], s[46:47]
	s_and_b64 s[28:29], s[28:29], s[30:31]
	s_xor_b64 s[30:31], s[28:29], -1
                                        ; implicit-def: $vgpr77
	s_and_saveexec_b64 s[46:47], s[30:31]
	s_xor_b64 s[30:31], exec, s[46:47]
	s_cbranch_execz .LBB78_192
; %bb.191:                              ;   in Loop: Header=BB78_2 Depth=1
	ds_read_u8 v77, v79 offset:1
.LBB78_192:                             ;   in Loop: Header=BB78_2 Depth=1
	s_or_saveexec_b64 s[30:31], s[30:31]
	v_mov_b32_e32 v80, v76
	s_xor_b64 exec, exec, s[30:31]
	s_cbranch_execz .LBB78_194
; %bb.193:                              ;   in Loop: Header=BB78_2 Depth=1
	ds_read_u8 v80, v78 offset:1
	s_waitcnt lgkmcnt(1)
	v_mov_b32_e32 v77, v75
.LBB78_194:                             ;   in Loop: Header=BB78_2 Depth=1
	s_or_b64 exec, exec, s[30:31]
	v_cndmask_b32_e64 v75, v75, v76, s[28:29]
	v_add_u32_e32 v76, 1, v78
	v_add_u32_e32 v81, 1, v79
	v_cndmask_b32_e64 v76, v78, v76, s[28:29]
	v_cndmask_b32_e64 v78, v81, v79, s[28:29]
	v_cndmask_b32_e64 v67, v67, v68, s[20:21]
	v_cndmask_b32_e64 v65, v65, v66, s[18:19]
	v_cmp_ge_i32_e64 s[18:19], v78, v39
	s_waitcnt lgkmcnt(0)
	v_cmp_lt_i16_sdwa s[20:21], sext(v80), sext(v77) src0_sel:BYTE_0 src1_sel:BYTE_0
	v_cndmask_b32_e64 v69, v69, v70, s[22:23]
	v_cndmask_b32_e64 v63, v63, v64, s[16:17]
	v_cmp_lt_i32_e64 s[16:17], v76, v40
	s_or_b64 s[18:19], s[18:19], s[20:21]
	v_lshlrev_b16_e32 v64, 8, v65
	s_and_b64 s[16:17], s[16:17], s[18:19]
	v_or_b32_sdwa v63, v63, v64 dst_sel:DWORD dst_unused:UNUSED_PAD src0_sel:BYTE_0 src1_sel:DWORD
	v_lshlrev_b16_e32 v64, 8, v69
	v_cndmask_b32_e64 v73, v73, v74, s[26:27]
	v_cndmask_b32_e64 v66, v77, v80, s[16:17]
	v_or_b32_sdwa v64, v67, v64 dst_sel:WORD_1 dst_unused:UNUSED_PAD src0_sel:BYTE_0 src1_sel:DWORD
	v_cndmask_b32_e64 v71, v71, v72, s[24:25]
	v_or_b32_sdwa v64, v63, v64 dst_sel:DWORD dst_unused:UNUSED_PAD src0_sel:WORD_0 src1_sel:DWORD
	v_lshlrev_b16_e32 v63, 8, v73
	v_lshlrev_b16_e32 v65, 8, v66
	v_or_b32_sdwa v63, v71, v63 dst_sel:DWORD dst_unused:UNUSED_PAD src0_sel:BYTE_0 src1_sel:DWORD
	v_or_b32_sdwa v65, v75, v65 dst_sel:WORD_1 dst_unused:UNUSED_PAD src0_sel:BYTE_0 src1_sel:DWORD
	s_nop 0
	v_or_b32_sdwa v65, v63, v65 dst_sel:DWORD dst_unused:UNUSED_PAD src0_sel:WORD_0 src1_sel:DWORD
	v_mov_b32_e32 v63, v47
	s_barrier
	ds_write_b64 v2, v[64:65]
	s_waitcnt lgkmcnt(0)
	s_barrier
	s_and_saveexec_b64 s[18:19], s[10:11]
	s_cbranch_execz .LBB78_198
; %bb.195:                              ;   in Loop: Header=BB78_2 Depth=1
	s_mov_b64 s[20:21], 0
	v_mov_b32_e32 v63, v47
	v_mov_b32_e32 v64, v48
.LBB78_196:                             ;   Parent Loop BB78_2 Depth=1
                                        ; =>  This Inner Loop Header: Depth=2
	v_sub_u32_e32 v65, v64, v63
	v_lshrrev_b32_e32 v66, 31, v65
	v_add_u32_e32 v65, v65, v66
	v_ashrrev_i32_e32 v65, 1, v65
	v_add_u32_e32 v65, v65, v63
	v_not_b32_e32 v67, v65
	v_add_u32_e32 v66, v43, v65
	v_add3_u32 v67, v44, v67, v45
	ds_read_i8 v66, v66
	ds_read_i8 v67, v67
	v_add_u32_e32 v68, 1, v65
	s_waitcnt lgkmcnt(0)
	v_cmp_lt_i16_e64 s[16:17], v67, v66
	s_nop 1
	v_cndmask_b32_e64 v64, v64, v65, s[16:17]
	v_cndmask_b32_e64 v63, v68, v63, s[16:17]
	v_cmp_ge_i32_e64 s[16:17], v63, v64
	s_or_b64 s[20:21], s[16:17], s[20:21]
	s_andn2_b64 exec, exec, s[20:21]
	s_cbranch_execnz .LBB78_196
; %bb.197:                              ;   in Loop: Header=BB78_2 Depth=1
	s_or_b64 exec, exec, s[20:21]
.LBB78_198:                             ;   in Loop: Header=BB78_2 Depth=1
	s_or_b64 exec, exec, s[18:19]
	v_add_u32_e32 v67, v63, v43
	v_sub_u32_e32 v68, v60, v63
	ds_read_u8 v63, v67
	ds_read_u8 v64, v68
	v_cmp_le_i32_e64 s[18:19], v45, v67
	v_cmp_gt_i32_e64 s[16:17], v46, v68
                                        ; implicit-def: $vgpr65
	s_waitcnt lgkmcnt(1)
	v_bfe_i32 v63, v63, 0, 8
	s_waitcnt lgkmcnt(0)
	v_bfe_i32 v64, v64, 0, 8
	v_cmp_lt_i16_e64 s[20:21], v64, v63
	s_or_b64 s[18:19], s[18:19], s[20:21]
	s_and_b64 s[16:17], s[16:17], s[18:19]
	s_xor_b64 s[18:19], s[16:17], -1
	s_and_saveexec_b64 s[20:21], s[18:19]
	s_xor_b64 s[18:19], exec, s[20:21]
	s_cbranch_execz .LBB78_200
; %bb.199:                              ;   in Loop: Header=BB78_2 Depth=1
	ds_read_u8 v65, v67 offset:1
.LBB78_200:                             ;   in Loop: Header=BB78_2 Depth=1
	s_or_saveexec_b64 s[18:19], s[18:19]
	v_mov_b32_e32 v66, v64
	s_xor_b64 exec, exec, s[18:19]
	s_cbranch_execz .LBB78_202
; %bb.201:                              ;   in Loop: Header=BB78_2 Depth=1
	ds_read_u8 v66, v68 offset:1
	s_waitcnt lgkmcnt(1)
	v_mov_b32_e32 v65, v63
.LBB78_202:                             ;   in Loop: Header=BB78_2 Depth=1
	s_or_b64 exec, exec, s[18:19]
	v_add_u32_e32 v70, 1, v67
	v_add_u32_e32 v69, 1, v68
	v_cndmask_b32_e64 v70, v70, v67, s[16:17]
	v_cndmask_b32_e64 v69, v68, v69, s[16:17]
	v_cmp_ge_i32_e64 s[20:21], v70, v45
	s_waitcnt lgkmcnt(0)
	v_cmp_lt_i16_sdwa s[22:23], sext(v66), sext(v65) src0_sel:BYTE_0 src1_sel:BYTE_0
	v_cmp_lt_i32_e64 s[18:19], v69, v46
	s_or_b64 s[20:21], s[20:21], s[22:23]
	s_and_b64 s[18:19], s[18:19], s[20:21]
	s_xor_b64 s[20:21], s[18:19], -1
                                        ; implicit-def: $vgpr67
	s_and_saveexec_b64 s[22:23], s[20:21]
	s_xor_b64 s[20:21], exec, s[22:23]
	s_cbranch_execz .LBB78_204
; %bb.203:                              ;   in Loop: Header=BB78_2 Depth=1
	ds_read_u8 v67, v70 offset:1
.LBB78_204:                             ;   in Loop: Header=BB78_2 Depth=1
	s_or_saveexec_b64 s[20:21], s[20:21]
	v_mov_b32_e32 v68, v66
	s_xor_b64 exec, exec, s[20:21]
	s_cbranch_execz .LBB78_206
; %bb.205:                              ;   in Loop: Header=BB78_2 Depth=1
	ds_read_u8 v68, v69 offset:1
	s_waitcnt lgkmcnt(1)
	v_mov_b32_e32 v67, v65
.LBB78_206:                             ;   in Loop: Header=BB78_2 Depth=1
	s_or_b64 exec, exec, s[20:21]
	v_add_u32_e32 v72, 1, v70
	v_add_u32_e32 v71, 1, v69
	v_cndmask_b32_e64 v72, v72, v70, s[18:19]
	v_cndmask_b32_e64 v71, v69, v71, s[18:19]
	v_cmp_ge_i32_e64 s[22:23], v72, v45
	s_waitcnt lgkmcnt(0)
	v_cmp_lt_i16_sdwa s[24:25], sext(v68), sext(v67) src0_sel:BYTE_0 src1_sel:BYTE_0
	v_cmp_lt_i32_e64 s[20:21], v71, v46
	s_or_b64 s[22:23], s[22:23], s[24:25]
	s_and_b64 s[20:21], s[20:21], s[22:23]
	s_xor_b64 s[22:23], s[20:21], -1
                                        ; implicit-def: $vgpr69
	s_and_saveexec_b64 s[24:25], s[22:23]
	s_xor_b64 s[22:23], exec, s[24:25]
	s_cbranch_execz .LBB78_208
; %bb.207:                              ;   in Loop: Header=BB78_2 Depth=1
	ds_read_u8 v69, v72 offset:1
.LBB78_208:                             ;   in Loop: Header=BB78_2 Depth=1
	s_or_saveexec_b64 s[22:23], s[22:23]
	v_mov_b32_e32 v70, v68
	s_xor_b64 exec, exec, s[22:23]
	s_cbranch_execz .LBB78_210
; %bb.209:                              ;   in Loop: Header=BB78_2 Depth=1
	ds_read_u8 v70, v71 offset:1
	s_waitcnt lgkmcnt(1)
	v_mov_b32_e32 v69, v67
.LBB78_210:                             ;   in Loop: Header=BB78_2 Depth=1
	s_or_b64 exec, exec, s[22:23]
	v_add_u32_e32 v74, 1, v72
	v_add_u32_e32 v73, 1, v71
	v_cndmask_b32_e64 v74, v74, v72, s[20:21]
	v_cndmask_b32_e64 v73, v71, v73, s[20:21]
	v_cmp_ge_i32_e64 s[24:25], v74, v45
	s_waitcnt lgkmcnt(0)
	v_cmp_lt_i16_sdwa s[26:27], sext(v70), sext(v69) src0_sel:BYTE_0 src1_sel:BYTE_0
	v_cmp_lt_i32_e64 s[22:23], v73, v46
	s_or_b64 s[24:25], s[24:25], s[26:27]
	s_and_b64 s[22:23], s[22:23], s[24:25]
	s_xor_b64 s[24:25], s[22:23], -1
                                        ; implicit-def: $vgpr71
	s_and_saveexec_b64 s[26:27], s[24:25]
	s_xor_b64 s[24:25], exec, s[26:27]
	s_cbranch_execz .LBB78_212
; %bb.211:                              ;   in Loop: Header=BB78_2 Depth=1
	ds_read_u8 v71, v74 offset:1
.LBB78_212:                             ;   in Loop: Header=BB78_2 Depth=1
	s_or_saveexec_b64 s[24:25], s[24:25]
	v_mov_b32_e32 v72, v70
	s_xor_b64 exec, exec, s[24:25]
	s_cbranch_execz .LBB78_214
; %bb.213:                              ;   in Loop: Header=BB78_2 Depth=1
	ds_read_u8 v72, v73 offset:1
	s_waitcnt lgkmcnt(1)
	v_mov_b32_e32 v71, v69
.LBB78_214:                             ;   in Loop: Header=BB78_2 Depth=1
	s_or_b64 exec, exec, s[24:25]
	v_add_u32_e32 v76, 1, v74
	v_add_u32_e32 v75, 1, v73
	v_cndmask_b32_e64 v76, v76, v74, s[22:23]
	v_cndmask_b32_e64 v75, v73, v75, s[22:23]
	v_cmp_ge_i32_e64 s[26:27], v76, v45
	s_waitcnt lgkmcnt(0)
	v_cmp_lt_i16_sdwa s[28:29], sext(v72), sext(v71) src0_sel:BYTE_0 src1_sel:BYTE_0
	v_cmp_lt_i32_e64 s[24:25], v75, v46
	s_or_b64 s[26:27], s[26:27], s[28:29]
	s_and_b64 s[24:25], s[24:25], s[26:27]
	s_xor_b64 s[26:27], s[24:25], -1
                                        ; implicit-def: $vgpr73
	s_and_saveexec_b64 s[28:29], s[26:27]
	s_xor_b64 s[26:27], exec, s[28:29]
	s_cbranch_execz .LBB78_216
; %bb.215:                              ;   in Loop: Header=BB78_2 Depth=1
	ds_read_u8 v73, v76 offset:1
.LBB78_216:                             ;   in Loop: Header=BB78_2 Depth=1
	s_or_saveexec_b64 s[26:27], s[26:27]
	v_mov_b32_e32 v74, v72
	s_xor_b64 exec, exec, s[26:27]
	s_cbranch_execz .LBB78_218
; %bb.217:                              ;   in Loop: Header=BB78_2 Depth=1
	ds_read_u8 v74, v75 offset:1
	s_waitcnt lgkmcnt(1)
	v_mov_b32_e32 v73, v71
.LBB78_218:                             ;   in Loop: Header=BB78_2 Depth=1
	s_or_b64 exec, exec, s[26:27]
	v_add_u32_e32 v78, 1, v76
	v_add_u32_e32 v77, 1, v75
	v_cndmask_b32_e64 v79, v78, v76, s[24:25]
	v_cndmask_b32_e64 v77, v75, v77, s[24:25]
	v_cmp_ge_i32_e64 s[28:29], v79, v45
	s_waitcnt lgkmcnt(0)
	v_cmp_lt_i16_sdwa s[30:31], sext(v74), sext(v73) src0_sel:BYTE_0 src1_sel:BYTE_0
	v_cmp_lt_i32_e64 s[26:27], v77, v46
	s_or_b64 s[28:29], s[28:29], s[30:31]
	s_and_b64 s[26:27], s[26:27], s[28:29]
	s_xor_b64 s[28:29], s[26:27], -1
                                        ; implicit-def: $vgpr75
	s_and_saveexec_b64 s[30:31], s[28:29]
	s_xor_b64 s[28:29], exec, s[30:31]
	s_cbranch_execz .LBB78_220
; %bb.219:                              ;   in Loop: Header=BB78_2 Depth=1
	ds_read_u8 v75, v79 offset:1
.LBB78_220:                             ;   in Loop: Header=BB78_2 Depth=1
	s_or_saveexec_b64 s[28:29], s[28:29]
	v_mov_b32_e32 v76, v74
	s_xor_b64 exec, exec, s[28:29]
	s_cbranch_execz .LBB78_222
; %bb.221:                              ;   in Loop: Header=BB78_2 Depth=1
	ds_read_u8 v76, v77 offset:1
	s_waitcnt lgkmcnt(1)
	v_mov_b32_e32 v75, v73
.LBB78_222:                             ;   in Loop: Header=BB78_2 Depth=1
	s_or_b64 exec, exec, s[28:29]
	v_add_u32_e32 v80, 1, v79
	v_add_u32_e32 v78, 1, v77
	v_cndmask_b32_e64 v79, v80, v79, s[26:27]
	v_cndmask_b32_e64 v78, v77, v78, s[26:27]
	v_cmp_ge_i32_e64 s[30:31], v79, v45
	s_waitcnt lgkmcnt(0)
	v_cmp_lt_i16_sdwa s[46:47], sext(v76), sext(v75) src0_sel:BYTE_0 src1_sel:BYTE_0
	v_cmp_lt_i32_e64 s[28:29], v78, v46
	s_or_b64 s[30:31], s[30:31], s[46:47]
	s_and_b64 s[28:29], s[28:29], s[30:31]
	s_xor_b64 s[30:31], s[28:29], -1
                                        ; implicit-def: $vgpr77
	s_and_saveexec_b64 s[46:47], s[30:31]
	s_xor_b64 s[30:31], exec, s[46:47]
	s_cbranch_execz .LBB78_224
; %bb.223:                              ;   in Loop: Header=BB78_2 Depth=1
	ds_read_u8 v77, v79 offset:1
.LBB78_224:                             ;   in Loop: Header=BB78_2 Depth=1
	s_or_saveexec_b64 s[30:31], s[30:31]
	v_mov_b32_e32 v80, v76
	s_xor_b64 exec, exec, s[30:31]
	s_cbranch_execz .LBB78_226
; %bb.225:                              ;   in Loop: Header=BB78_2 Depth=1
	ds_read_u8 v80, v78 offset:1
	s_waitcnt lgkmcnt(1)
	v_mov_b32_e32 v77, v75
.LBB78_226:                             ;   in Loop: Header=BB78_2 Depth=1
	s_or_b64 exec, exec, s[30:31]
	v_cndmask_b32_e64 v75, v75, v76, s[28:29]
	v_add_u32_e32 v76, 1, v78
	v_add_u32_e32 v81, 1, v79
	v_cndmask_b32_e64 v76, v78, v76, s[28:29]
	v_cndmask_b32_e64 v78, v81, v79, s[28:29]
	;; [unrolled: 1-line block ×4, first 2 shown]
	v_cmp_ge_i32_e64 s[18:19], v78, v45
	s_waitcnt lgkmcnt(0)
	v_cmp_lt_i16_sdwa s[20:21], sext(v80), sext(v77) src0_sel:BYTE_0 src1_sel:BYTE_0
	v_cndmask_b32_e64 v69, v69, v70, s[22:23]
	v_cndmask_b32_e64 v63, v63, v64, s[16:17]
	v_cmp_lt_i32_e64 s[16:17], v76, v46
	s_or_b64 s[18:19], s[18:19], s[20:21]
	v_lshlrev_b16_e32 v64, 8, v65
	s_and_b64 s[16:17], s[16:17], s[18:19]
	v_or_b32_sdwa v63, v63, v64 dst_sel:DWORD dst_unused:UNUSED_PAD src0_sel:BYTE_0 src1_sel:DWORD
	v_lshlrev_b16_e32 v64, 8, v69
	v_cndmask_b32_e64 v73, v73, v74, s[26:27]
	v_cndmask_b32_e64 v66, v77, v80, s[16:17]
	v_or_b32_sdwa v64, v67, v64 dst_sel:WORD_1 dst_unused:UNUSED_PAD src0_sel:BYTE_0 src1_sel:DWORD
	v_cndmask_b32_e64 v71, v71, v72, s[24:25]
	v_or_b32_sdwa v64, v63, v64 dst_sel:DWORD dst_unused:UNUSED_PAD src0_sel:WORD_0 src1_sel:DWORD
	v_lshlrev_b16_e32 v63, 8, v73
	v_lshlrev_b16_e32 v65, 8, v66
	v_or_b32_sdwa v63, v71, v63 dst_sel:DWORD dst_unused:UNUSED_PAD src0_sel:BYTE_0 src1_sel:DWORD
	v_or_b32_sdwa v65, v75, v65 dst_sel:WORD_1 dst_unused:UNUSED_PAD src0_sel:BYTE_0 src1_sel:DWORD
	s_nop 0
	v_or_b32_sdwa v65, v63, v65 dst_sel:DWORD dst_unused:UNUSED_PAD src0_sel:WORD_0 src1_sel:DWORD
	v_mov_b32_e32 v63, v54
	s_barrier
	ds_write_b64 v2, v[64:65]
	s_waitcnt lgkmcnt(0)
	s_barrier
	s_and_saveexec_b64 s[18:19], s[12:13]
	s_cbranch_execz .LBB78_230
; %bb.227:                              ;   in Loop: Header=BB78_2 Depth=1
	s_mov_b64 s[20:21], 0
	v_mov_b32_e32 v63, v54
	v_mov_b32_e32 v64, v55
.LBB78_228:                             ;   Parent Loop BB78_2 Depth=1
                                        ; =>  This Inner Loop Header: Depth=2
	v_sub_u32_e32 v65, v64, v63
	v_lshrrev_b32_e32 v66, 31, v65
	v_add_u32_e32 v65, v65, v66
	v_ashrrev_i32_e32 v65, 1, v65
	v_add_u32_e32 v65, v65, v63
	v_not_b32_e32 v67, v65
	v_add_u32_e32 v66, v50, v65
	v_add3_u32 v67, v51, v67, v52
	ds_read_i8 v66, v66
	ds_read_i8 v67, v67
	v_add_u32_e32 v68, 1, v65
	s_waitcnt lgkmcnt(0)
	v_cmp_lt_i16_e64 s[16:17], v67, v66
	s_nop 1
	v_cndmask_b32_e64 v64, v64, v65, s[16:17]
	v_cndmask_b32_e64 v63, v68, v63, s[16:17]
	v_cmp_ge_i32_e64 s[16:17], v63, v64
	s_or_b64 s[20:21], s[16:17], s[20:21]
	s_andn2_b64 exec, exec, s[20:21]
	s_cbranch_execnz .LBB78_228
; %bb.229:                              ;   in Loop: Header=BB78_2 Depth=1
	s_or_b64 exec, exec, s[20:21]
.LBB78_230:                             ;   in Loop: Header=BB78_2 Depth=1
	s_or_b64 exec, exec, s[18:19]
	v_add_u32_e32 v67, v63, v50
	v_sub_u32_e32 v68, v61, v63
	ds_read_u8 v63, v67
	ds_read_u8 v64, v68
	v_cmp_le_i32_e64 s[18:19], v52, v67
	v_cmp_gt_i32_e64 s[16:17], v53, v68
                                        ; implicit-def: $vgpr65
	s_waitcnt lgkmcnt(1)
	v_bfe_i32 v63, v63, 0, 8
	s_waitcnt lgkmcnt(0)
	v_bfe_i32 v64, v64, 0, 8
	v_cmp_lt_i16_e64 s[20:21], v64, v63
	s_or_b64 s[18:19], s[18:19], s[20:21]
	s_and_b64 s[16:17], s[16:17], s[18:19]
	s_xor_b64 s[18:19], s[16:17], -1
	s_and_saveexec_b64 s[20:21], s[18:19]
	s_xor_b64 s[18:19], exec, s[20:21]
	s_cbranch_execz .LBB78_232
; %bb.231:                              ;   in Loop: Header=BB78_2 Depth=1
	ds_read_u8 v65, v67 offset:1
.LBB78_232:                             ;   in Loop: Header=BB78_2 Depth=1
	s_or_saveexec_b64 s[18:19], s[18:19]
	v_mov_b32_e32 v66, v64
	s_xor_b64 exec, exec, s[18:19]
	s_cbranch_execz .LBB78_234
; %bb.233:                              ;   in Loop: Header=BB78_2 Depth=1
	ds_read_u8 v66, v68 offset:1
	s_waitcnt lgkmcnt(1)
	v_mov_b32_e32 v65, v63
.LBB78_234:                             ;   in Loop: Header=BB78_2 Depth=1
	s_or_b64 exec, exec, s[18:19]
	v_add_u32_e32 v70, 1, v67
	v_add_u32_e32 v69, 1, v68
	v_cndmask_b32_e64 v70, v70, v67, s[16:17]
	v_cndmask_b32_e64 v69, v68, v69, s[16:17]
	v_cmp_ge_i32_e64 s[20:21], v70, v52
	s_waitcnt lgkmcnt(0)
	v_cmp_lt_i16_sdwa s[22:23], sext(v66), sext(v65) src0_sel:BYTE_0 src1_sel:BYTE_0
	v_cmp_lt_i32_e64 s[18:19], v69, v53
	s_or_b64 s[20:21], s[20:21], s[22:23]
	s_and_b64 s[18:19], s[18:19], s[20:21]
	s_xor_b64 s[20:21], s[18:19], -1
                                        ; implicit-def: $vgpr67
	s_and_saveexec_b64 s[22:23], s[20:21]
	s_xor_b64 s[20:21], exec, s[22:23]
	s_cbranch_execz .LBB78_236
; %bb.235:                              ;   in Loop: Header=BB78_2 Depth=1
	ds_read_u8 v67, v70 offset:1
.LBB78_236:                             ;   in Loop: Header=BB78_2 Depth=1
	s_or_saveexec_b64 s[20:21], s[20:21]
	v_mov_b32_e32 v68, v66
	s_xor_b64 exec, exec, s[20:21]
	s_cbranch_execz .LBB78_238
; %bb.237:                              ;   in Loop: Header=BB78_2 Depth=1
	ds_read_u8 v68, v69 offset:1
	s_waitcnt lgkmcnt(1)
	v_mov_b32_e32 v67, v65
.LBB78_238:                             ;   in Loop: Header=BB78_2 Depth=1
	s_or_b64 exec, exec, s[20:21]
	v_add_u32_e32 v72, 1, v70
	v_add_u32_e32 v71, 1, v69
	v_cndmask_b32_e64 v72, v72, v70, s[18:19]
	v_cndmask_b32_e64 v71, v69, v71, s[18:19]
	v_cmp_ge_i32_e64 s[22:23], v72, v52
	s_waitcnt lgkmcnt(0)
	v_cmp_lt_i16_sdwa s[24:25], sext(v68), sext(v67) src0_sel:BYTE_0 src1_sel:BYTE_0
	v_cmp_lt_i32_e64 s[20:21], v71, v53
	s_or_b64 s[22:23], s[22:23], s[24:25]
	s_and_b64 s[20:21], s[20:21], s[22:23]
	s_xor_b64 s[22:23], s[20:21], -1
                                        ; implicit-def: $vgpr69
	s_and_saveexec_b64 s[24:25], s[22:23]
	s_xor_b64 s[22:23], exec, s[24:25]
	s_cbranch_execz .LBB78_240
; %bb.239:                              ;   in Loop: Header=BB78_2 Depth=1
	ds_read_u8 v69, v72 offset:1
.LBB78_240:                             ;   in Loop: Header=BB78_2 Depth=1
	s_or_saveexec_b64 s[22:23], s[22:23]
	v_mov_b32_e32 v70, v68
	s_xor_b64 exec, exec, s[22:23]
	s_cbranch_execz .LBB78_242
; %bb.241:                              ;   in Loop: Header=BB78_2 Depth=1
	ds_read_u8 v70, v71 offset:1
	s_waitcnt lgkmcnt(1)
	v_mov_b32_e32 v69, v67
.LBB78_242:                             ;   in Loop: Header=BB78_2 Depth=1
	s_or_b64 exec, exec, s[22:23]
	v_add_u32_e32 v74, 1, v72
	v_add_u32_e32 v73, 1, v71
	v_cndmask_b32_e64 v74, v74, v72, s[20:21]
	v_cndmask_b32_e64 v73, v71, v73, s[20:21]
	v_cmp_ge_i32_e64 s[24:25], v74, v52
	s_waitcnt lgkmcnt(0)
	v_cmp_lt_i16_sdwa s[26:27], sext(v70), sext(v69) src0_sel:BYTE_0 src1_sel:BYTE_0
	v_cmp_lt_i32_e64 s[22:23], v73, v53
	s_or_b64 s[24:25], s[24:25], s[26:27]
	s_and_b64 s[22:23], s[22:23], s[24:25]
	s_xor_b64 s[24:25], s[22:23], -1
                                        ; implicit-def: $vgpr71
	s_and_saveexec_b64 s[26:27], s[24:25]
	s_xor_b64 s[24:25], exec, s[26:27]
	s_cbranch_execz .LBB78_244
; %bb.243:                              ;   in Loop: Header=BB78_2 Depth=1
	ds_read_u8 v71, v74 offset:1
.LBB78_244:                             ;   in Loop: Header=BB78_2 Depth=1
	s_or_saveexec_b64 s[24:25], s[24:25]
	v_mov_b32_e32 v72, v70
	s_xor_b64 exec, exec, s[24:25]
	s_cbranch_execz .LBB78_246
; %bb.245:                              ;   in Loop: Header=BB78_2 Depth=1
	ds_read_u8 v72, v73 offset:1
	s_waitcnt lgkmcnt(1)
	v_mov_b32_e32 v71, v69
.LBB78_246:                             ;   in Loop: Header=BB78_2 Depth=1
	s_or_b64 exec, exec, s[24:25]
	v_add_u32_e32 v76, 1, v74
	v_add_u32_e32 v75, 1, v73
	v_cndmask_b32_e64 v76, v76, v74, s[22:23]
	v_cndmask_b32_e64 v75, v73, v75, s[22:23]
	v_cmp_ge_i32_e64 s[26:27], v76, v52
	s_waitcnt lgkmcnt(0)
	v_cmp_lt_i16_sdwa s[28:29], sext(v72), sext(v71) src0_sel:BYTE_0 src1_sel:BYTE_0
	v_cmp_lt_i32_e64 s[24:25], v75, v53
	s_or_b64 s[26:27], s[26:27], s[28:29]
	s_and_b64 s[24:25], s[24:25], s[26:27]
	s_xor_b64 s[26:27], s[24:25], -1
                                        ; implicit-def: $vgpr73
	s_and_saveexec_b64 s[28:29], s[26:27]
	s_xor_b64 s[26:27], exec, s[28:29]
	s_cbranch_execz .LBB78_248
; %bb.247:                              ;   in Loop: Header=BB78_2 Depth=1
	ds_read_u8 v73, v76 offset:1
.LBB78_248:                             ;   in Loop: Header=BB78_2 Depth=1
	s_or_saveexec_b64 s[26:27], s[26:27]
	v_mov_b32_e32 v74, v72
	s_xor_b64 exec, exec, s[26:27]
	s_cbranch_execz .LBB78_250
; %bb.249:                              ;   in Loop: Header=BB78_2 Depth=1
	ds_read_u8 v74, v75 offset:1
	s_waitcnt lgkmcnt(1)
	v_mov_b32_e32 v73, v71
.LBB78_250:                             ;   in Loop: Header=BB78_2 Depth=1
	s_or_b64 exec, exec, s[26:27]
	v_add_u32_e32 v78, 1, v76
	v_add_u32_e32 v77, 1, v75
	v_cndmask_b32_e64 v79, v78, v76, s[24:25]
	v_cndmask_b32_e64 v77, v75, v77, s[24:25]
	v_cmp_ge_i32_e64 s[28:29], v79, v52
	s_waitcnt lgkmcnt(0)
	v_cmp_lt_i16_sdwa s[30:31], sext(v74), sext(v73) src0_sel:BYTE_0 src1_sel:BYTE_0
	v_cmp_lt_i32_e64 s[26:27], v77, v53
	s_or_b64 s[28:29], s[28:29], s[30:31]
	s_and_b64 s[26:27], s[26:27], s[28:29]
	s_xor_b64 s[28:29], s[26:27], -1
                                        ; implicit-def: $vgpr75
	s_and_saveexec_b64 s[30:31], s[28:29]
	s_xor_b64 s[28:29], exec, s[30:31]
	s_cbranch_execz .LBB78_252
; %bb.251:                              ;   in Loop: Header=BB78_2 Depth=1
	ds_read_u8 v75, v79 offset:1
.LBB78_252:                             ;   in Loop: Header=BB78_2 Depth=1
	s_or_saveexec_b64 s[28:29], s[28:29]
	v_mov_b32_e32 v76, v74
	s_xor_b64 exec, exec, s[28:29]
	s_cbranch_execz .LBB78_254
; %bb.253:                              ;   in Loop: Header=BB78_2 Depth=1
	ds_read_u8 v76, v77 offset:1
	s_waitcnt lgkmcnt(1)
	v_mov_b32_e32 v75, v73
.LBB78_254:                             ;   in Loop: Header=BB78_2 Depth=1
	s_or_b64 exec, exec, s[28:29]
	v_add_u32_e32 v80, 1, v79
	v_add_u32_e32 v78, 1, v77
	v_cndmask_b32_e64 v79, v80, v79, s[26:27]
	v_cndmask_b32_e64 v78, v77, v78, s[26:27]
	v_cmp_ge_i32_e64 s[30:31], v79, v52
	s_waitcnt lgkmcnt(0)
	v_cmp_lt_i16_sdwa s[46:47], sext(v76), sext(v75) src0_sel:BYTE_0 src1_sel:BYTE_0
	v_cmp_lt_i32_e64 s[28:29], v78, v53
	s_or_b64 s[30:31], s[30:31], s[46:47]
	s_and_b64 s[28:29], s[28:29], s[30:31]
	s_xor_b64 s[30:31], s[28:29], -1
                                        ; implicit-def: $vgpr77
	s_and_saveexec_b64 s[46:47], s[30:31]
	s_xor_b64 s[30:31], exec, s[46:47]
	s_cbranch_execz .LBB78_256
; %bb.255:                              ;   in Loop: Header=BB78_2 Depth=1
	ds_read_u8 v77, v79 offset:1
.LBB78_256:                             ;   in Loop: Header=BB78_2 Depth=1
	s_or_saveexec_b64 s[30:31], s[30:31]
	v_mov_b32_e32 v80, v76
	s_xor_b64 exec, exec, s[30:31]
	s_cbranch_execz .LBB78_258
; %bb.257:                              ;   in Loop: Header=BB78_2 Depth=1
	ds_read_u8 v80, v78 offset:1
	s_waitcnt lgkmcnt(1)
	v_mov_b32_e32 v77, v75
.LBB78_258:                             ;   in Loop: Header=BB78_2 Depth=1
	s_or_b64 exec, exec, s[30:31]
	v_cndmask_b32_e64 v75, v75, v76, s[28:29]
	v_add_u32_e32 v76, 1, v78
	v_add_u32_e32 v81, 1, v79
	v_cndmask_b32_e64 v76, v78, v76, s[28:29]
	v_cndmask_b32_e64 v78, v81, v79, s[28:29]
	;; [unrolled: 1-line block ×4, first 2 shown]
	v_cmp_ge_i32_e64 s[18:19], v78, v52
	s_waitcnt lgkmcnt(0)
	v_cmp_lt_i16_sdwa s[20:21], sext(v80), sext(v77) src0_sel:BYTE_0 src1_sel:BYTE_0
	v_cndmask_b32_e64 v69, v69, v70, s[22:23]
	v_cndmask_b32_e64 v63, v63, v64, s[16:17]
	v_cmp_lt_i32_e64 s[16:17], v76, v53
	s_or_b64 s[18:19], s[18:19], s[20:21]
	v_lshlrev_b16_e32 v64, 8, v65
	s_and_b64 s[16:17], s[16:17], s[18:19]
	v_or_b32_sdwa v63, v63, v64 dst_sel:DWORD dst_unused:UNUSED_PAD src0_sel:BYTE_0 src1_sel:DWORD
	v_lshlrev_b16_e32 v64, 8, v69
	v_cndmask_b32_e64 v73, v73, v74, s[26:27]
	v_cndmask_b32_e64 v66, v77, v80, s[16:17]
	v_or_b32_sdwa v64, v67, v64 dst_sel:WORD_1 dst_unused:UNUSED_PAD src0_sel:BYTE_0 src1_sel:DWORD
	v_cndmask_b32_e64 v71, v71, v72, s[24:25]
	v_or_b32_sdwa v64, v63, v64 dst_sel:DWORD dst_unused:UNUSED_PAD src0_sel:WORD_0 src1_sel:DWORD
	v_lshlrev_b16_e32 v63, 8, v73
	v_lshlrev_b16_e32 v65, 8, v66
	v_or_b32_sdwa v63, v71, v63 dst_sel:DWORD dst_unused:UNUSED_PAD src0_sel:BYTE_0 src1_sel:DWORD
	v_or_b32_sdwa v65, v75, v65 dst_sel:WORD_1 dst_unused:UNUSED_PAD src0_sel:BYTE_0 src1_sel:DWORD
	v_mov_b32_e32 v67, v56
	v_or_b32_sdwa v65, v63, v65 dst_sel:DWORD dst_unused:UNUSED_PAD src0_sel:WORD_0 src1_sel:DWORD
	s_barrier
	ds_write_b64 v2, v[64:65]
	s_waitcnt lgkmcnt(0)
	s_barrier
	s_and_saveexec_b64 s[18:19], s[14:15]
	s_cbranch_execz .LBB78_262
; %bb.259:                              ;   in Loop: Header=BB78_2 Depth=1
	s_mov_b64 s[20:21], 0
	v_mov_b32_e32 v67, v56
	v_mov_b32_e32 v63, v57
.LBB78_260:                             ;   Parent Loop BB78_2 Depth=1
                                        ; =>  This Inner Loop Header: Depth=2
	v_sub_u32_e32 v64, v63, v67
	v_lshrrev_b32_e32 v65, 31, v64
	v_add_u32_e32 v64, v64, v65
	v_ashrrev_i32_e32 v64, 1, v64
	v_add_u32_e32 v64, v64, v67
	v_not_b32_e32 v65, v64
	v_add3_u32 v65, v2, v65, v49
	ds_read_i8 v66, v64
	ds_read_i8 v65, v65
	v_add_u32_e32 v68, 1, v64
	s_waitcnt lgkmcnt(0)
	v_cmp_lt_i16_e64 s[16:17], v65, v66
	s_nop 1
	v_cndmask_b32_e64 v63, v63, v64, s[16:17]
	v_cndmask_b32_e64 v67, v68, v67, s[16:17]
	v_cmp_ge_i32_e64 s[16:17], v67, v63
	s_or_b64 s[20:21], s[16:17], s[20:21]
	s_andn2_b64 exec, exec, s[20:21]
	s_cbranch_execnz .LBB78_260
; %bb.261:                              ;   in Loop: Header=BB78_2 Depth=1
	s_or_b64 exec, exec, s[20:21]
.LBB78_262:                             ;   in Loop: Header=BB78_2 Depth=1
	s_or_b64 exec, exec, s[18:19]
	v_sub_u32_e32 v68, v62, v67
	ds_read_u8 v63, v67
	ds_read_u8 v64, v68
	v_cmp_le_i32_e64 s[18:19], v49, v67
	v_cmp_gt_i32_e64 s[16:17], s45, v68
                                        ; implicit-def: $vgpr65
	s_waitcnt lgkmcnt(1)
	v_bfe_i32 v63, v63, 0, 8
	s_waitcnt lgkmcnt(0)
	v_bfe_i32 v64, v64, 0, 8
	v_cmp_lt_i16_e64 s[20:21], v64, v63
	s_or_b64 s[18:19], s[18:19], s[20:21]
	s_and_b64 s[16:17], s[16:17], s[18:19]
	s_xor_b64 s[18:19], s[16:17], -1
	s_and_saveexec_b64 s[20:21], s[18:19]
	s_xor_b64 s[18:19], exec, s[20:21]
	s_cbranch_execz .LBB78_264
; %bb.263:                              ;   in Loop: Header=BB78_2 Depth=1
	ds_read_u8 v65, v67 offset:1
.LBB78_264:                             ;   in Loop: Header=BB78_2 Depth=1
	s_or_saveexec_b64 s[18:19], s[18:19]
	v_mov_b32_e32 v66, v64
	s_xor_b64 exec, exec, s[18:19]
	s_cbranch_execz .LBB78_266
; %bb.265:                              ;   in Loop: Header=BB78_2 Depth=1
	ds_read_u8 v66, v68 offset:1
	s_waitcnt lgkmcnt(1)
	v_mov_b32_e32 v65, v63
.LBB78_266:                             ;   in Loop: Header=BB78_2 Depth=1
	s_or_b64 exec, exec, s[18:19]
	v_add_u32_e32 v70, 1, v67
	v_add_u32_e32 v69, 1, v68
	v_cndmask_b32_e64 v70, v70, v67, s[16:17]
	v_cndmask_b32_e64 v69, v68, v69, s[16:17]
	v_cmp_ge_i32_e64 s[20:21], v70, v49
	s_waitcnt lgkmcnt(0)
	v_cmp_lt_i16_sdwa s[22:23], sext(v66), sext(v65) src0_sel:BYTE_0 src1_sel:BYTE_0
	v_cmp_gt_i32_e64 s[18:19], s45, v69
	s_or_b64 s[20:21], s[20:21], s[22:23]
	s_and_b64 s[18:19], s[18:19], s[20:21]
	s_xor_b64 s[20:21], s[18:19], -1
                                        ; implicit-def: $vgpr67
	s_and_saveexec_b64 s[22:23], s[20:21]
	s_xor_b64 s[20:21], exec, s[22:23]
	s_cbranch_execz .LBB78_268
; %bb.267:                              ;   in Loop: Header=BB78_2 Depth=1
	ds_read_u8 v67, v70 offset:1
.LBB78_268:                             ;   in Loop: Header=BB78_2 Depth=1
	s_or_saveexec_b64 s[20:21], s[20:21]
	v_mov_b32_e32 v68, v66
	s_xor_b64 exec, exec, s[20:21]
	s_cbranch_execz .LBB78_270
; %bb.269:                              ;   in Loop: Header=BB78_2 Depth=1
	ds_read_u8 v68, v69 offset:1
	s_waitcnt lgkmcnt(1)
	v_mov_b32_e32 v67, v65
.LBB78_270:                             ;   in Loop: Header=BB78_2 Depth=1
	s_or_b64 exec, exec, s[20:21]
	v_add_u32_e32 v72, 1, v70
	v_add_u32_e32 v71, 1, v69
	v_cndmask_b32_e64 v72, v72, v70, s[18:19]
	v_cndmask_b32_e64 v71, v69, v71, s[18:19]
	v_cmp_ge_i32_e64 s[22:23], v72, v49
	s_waitcnt lgkmcnt(0)
	v_cmp_lt_i16_sdwa s[24:25], sext(v68), sext(v67) src0_sel:BYTE_0 src1_sel:BYTE_0
	v_cmp_gt_i32_e64 s[20:21], s45, v71
	s_or_b64 s[22:23], s[22:23], s[24:25]
	s_and_b64 s[20:21], s[20:21], s[22:23]
	s_xor_b64 s[22:23], s[20:21], -1
                                        ; implicit-def: $vgpr69
	s_and_saveexec_b64 s[24:25], s[22:23]
	s_xor_b64 s[22:23], exec, s[24:25]
	s_cbranch_execz .LBB78_272
; %bb.271:                              ;   in Loop: Header=BB78_2 Depth=1
	ds_read_u8 v69, v72 offset:1
.LBB78_272:                             ;   in Loop: Header=BB78_2 Depth=1
	s_or_saveexec_b64 s[22:23], s[22:23]
	v_mov_b32_e32 v70, v68
	s_xor_b64 exec, exec, s[22:23]
	s_cbranch_execz .LBB78_274
; %bb.273:                              ;   in Loop: Header=BB78_2 Depth=1
	ds_read_u8 v70, v71 offset:1
	s_waitcnt lgkmcnt(1)
	v_mov_b32_e32 v69, v67
.LBB78_274:                             ;   in Loop: Header=BB78_2 Depth=1
	s_or_b64 exec, exec, s[22:23]
	v_add_u32_e32 v74, 1, v72
	v_add_u32_e32 v73, 1, v71
	v_cndmask_b32_e64 v74, v74, v72, s[20:21]
	v_cndmask_b32_e64 v73, v71, v73, s[20:21]
	v_cmp_ge_i32_e64 s[24:25], v74, v49
	s_waitcnt lgkmcnt(0)
	v_cmp_lt_i16_sdwa s[26:27], sext(v70), sext(v69) src0_sel:BYTE_0 src1_sel:BYTE_0
	v_cmp_gt_i32_e64 s[22:23], s45, v73
	s_or_b64 s[24:25], s[24:25], s[26:27]
	s_and_b64 s[22:23], s[22:23], s[24:25]
	s_xor_b64 s[24:25], s[22:23], -1
                                        ; implicit-def: $vgpr71
	s_and_saveexec_b64 s[26:27], s[24:25]
	s_xor_b64 s[24:25], exec, s[26:27]
	s_cbranch_execz .LBB78_276
; %bb.275:                              ;   in Loop: Header=BB78_2 Depth=1
	ds_read_u8 v71, v74 offset:1
.LBB78_276:                             ;   in Loop: Header=BB78_2 Depth=1
	s_or_saveexec_b64 s[24:25], s[24:25]
	v_mov_b32_e32 v72, v70
	s_xor_b64 exec, exec, s[24:25]
	s_cbranch_execz .LBB78_278
; %bb.277:                              ;   in Loop: Header=BB78_2 Depth=1
	ds_read_u8 v72, v73 offset:1
	s_waitcnt lgkmcnt(1)
	v_mov_b32_e32 v71, v69
.LBB78_278:                             ;   in Loop: Header=BB78_2 Depth=1
	s_or_b64 exec, exec, s[24:25]
	v_add_u32_e32 v76, 1, v74
	v_add_u32_e32 v75, 1, v73
	v_cndmask_b32_e64 v76, v76, v74, s[22:23]
	v_cndmask_b32_e64 v75, v73, v75, s[22:23]
	v_cmp_ge_i32_e64 s[26:27], v76, v49
	s_waitcnt lgkmcnt(0)
	v_cmp_lt_i16_sdwa s[28:29], sext(v72), sext(v71) src0_sel:BYTE_0 src1_sel:BYTE_0
	v_cmp_gt_i32_e64 s[24:25], s45, v75
	s_or_b64 s[26:27], s[26:27], s[28:29]
	s_and_b64 s[24:25], s[24:25], s[26:27]
	s_xor_b64 s[26:27], s[24:25], -1
                                        ; implicit-def: $vgpr73
	s_and_saveexec_b64 s[28:29], s[26:27]
	s_xor_b64 s[26:27], exec, s[28:29]
	s_cbranch_execz .LBB78_280
; %bb.279:                              ;   in Loop: Header=BB78_2 Depth=1
	ds_read_u8 v73, v76 offset:1
.LBB78_280:                             ;   in Loop: Header=BB78_2 Depth=1
	s_or_saveexec_b64 s[26:27], s[26:27]
	v_mov_b32_e32 v74, v72
	s_xor_b64 exec, exec, s[26:27]
	s_cbranch_execz .LBB78_282
; %bb.281:                              ;   in Loop: Header=BB78_2 Depth=1
	ds_read_u8 v74, v75 offset:1
	s_waitcnt lgkmcnt(1)
	v_mov_b32_e32 v73, v71
.LBB78_282:                             ;   in Loop: Header=BB78_2 Depth=1
	s_or_b64 exec, exec, s[26:27]
	v_add_u32_e32 v78, 1, v76
	v_add_u32_e32 v77, 1, v75
	v_cndmask_b32_e64 v78, v78, v76, s[24:25]
	v_cndmask_b32_e64 v77, v75, v77, s[24:25]
	v_cmp_ge_i32_e64 s[28:29], v78, v49
	s_waitcnt lgkmcnt(0)
	v_cmp_lt_i16_sdwa s[30:31], sext(v74), sext(v73) src0_sel:BYTE_0 src1_sel:BYTE_0
	v_cmp_gt_i32_e64 s[26:27], s45, v77
	s_or_b64 s[28:29], s[28:29], s[30:31]
	s_and_b64 s[26:27], s[26:27], s[28:29]
	s_xor_b64 s[28:29], s[26:27], -1
                                        ; implicit-def: $vgpr75
	s_and_saveexec_b64 s[30:31], s[28:29]
	s_xor_b64 s[28:29], exec, s[30:31]
	s_cbranch_execz .LBB78_284
; %bb.283:                              ;   in Loop: Header=BB78_2 Depth=1
	ds_read_u8 v75, v78 offset:1
.LBB78_284:                             ;   in Loop: Header=BB78_2 Depth=1
	s_or_saveexec_b64 s[28:29], s[28:29]
	v_mov_b32_e32 v76, v74
	s_xor_b64 exec, exec, s[28:29]
	s_cbranch_execz .LBB78_286
; %bb.285:                              ;   in Loop: Header=BB78_2 Depth=1
	ds_read_u8 v76, v77 offset:1
	s_waitcnt lgkmcnt(1)
	v_mov_b32_e32 v75, v73
.LBB78_286:                             ;   in Loop: Header=BB78_2 Depth=1
	s_or_b64 exec, exec, s[28:29]
	v_add_u32_e32 v80, 1, v78
	v_add_u32_e32 v79, 1, v77
	v_cndmask_b32_e64 v80, v80, v78, s[26:27]
	v_cndmask_b32_e64 v77, v77, v79, s[26:27]
	v_cmp_ge_i32_e64 s[30:31], v80, v49
	s_waitcnt lgkmcnt(0)
	v_cmp_lt_i16_sdwa s[46:47], sext(v76), sext(v75) src0_sel:BYTE_0 src1_sel:BYTE_0
	v_cmp_gt_i32_e64 s[28:29], s45, v77
	s_or_b64 s[30:31], s[30:31], s[46:47]
	s_and_b64 s[28:29], s[28:29], s[30:31]
	s_xor_b64 s[30:31], s[28:29], -1
                                        ; implicit-def: $vgpr78
                                        ; implicit-def: $vgpr79
	s_and_saveexec_b64 s[46:47], s[30:31]
	s_xor_b64 s[30:31], exec, s[46:47]
	s_cbranch_execz .LBB78_288
; %bb.287:                              ;   in Loop: Header=BB78_2 Depth=1
	ds_read_u8 v78, v80 offset:1
	v_add_u32_e32 v79, 1, v80
                                        ; implicit-def: $vgpr80
.LBB78_288:                             ;   in Loop: Header=BB78_2 Depth=1
	s_or_saveexec_b64 s[30:31], s[30:31]
	v_mov_b32_e32 v81, v76
	s_xor_b64 exec, exec, s[30:31]
	s_cbranch_execz .LBB78_1
; %bb.289:                              ;   in Loop: Header=BB78_2 Depth=1
	ds_read_u8 v81, v77 offset:1
	v_add_u32_e32 v77, 1, v77
	v_mov_b32_e32 v79, v80
	s_waitcnt lgkmcnt(1)
	v_mov_b32_e32 v78, v75
	s_branch .LBB78_1
.LBB78_290:
	s_add_u32 s0, s38, s33
	s_addc_u32 s1, s39, 0
	v_lshl_add_u64 v[0:1], s[0:1], 0, v[0:1]
	global_store_byte v[0:1], v80, off
	global_store_byte v[0:1], v65, off offset:512
	global_store_byte v[0:1], v66, off offset:1024
	;; [unrolled: 1-line block ×7, first 2 shown]
	s_endpgm
	.section	.rodata,"a",@progbits
	.p2align	6, 0x0
	.amdhsa_kernel _Z16sort_keys_kernelIaLj512ELj8EN10test_utils4lessELj10EEvPKT_PS2_T2_
		.amdhsa_group_segment_fixed_size 4097
		.amdhsa_private_segment_fixed_size 0
		.amdhsa_kernarg_size 20
		.amdhsa_user_sgpr_count 2
		.amdhsa_user_sgpr_dispatch_ptr 0
		.amdhsa_user_sgpr_queue_ptr 0
		.amdhsa_user_sgpr_kernarg_segment_ptr 1
		.amdhsa_user_sgpr_dispatch_id 0
		.amdhsa_user_sgpr_kernarg_preload_length 0
		.amdhsa_user_sgpr_kernarg_preload_offset 0
		.amdhsa_user_sgpr_private_segment_size 0
		.amdhsa_uses_dynamic_stack 0
		.amdhsa_enable_private_segment 0
		.amdhsa_system_sgpr_workgroup_id_x 1
		.amdhsa_system_sgpr_workgroup_id_y 0
		.amdhsa_system_sgpr_workgroup_id_z 0
		.amdhsa_system_sgpr_workgroup_info 0
		.amdhsa_system_vgpr_workitem_id 0
		.amdhsa_next_free_vgpr 82
		.amdhsa_next_free_sgpr 48
		.amdhsa_accum_offset 84
		.amdhsa_reserve_vcc 1
		.amdhsa_float_round_mode_32 0
		.amdhsa_float_round_mode_16_64 0
		.amdhsa_float_denorm_mode_32 3
		.amdhsa_float_denorm_mode_16_64 3
		.amdhsa_dx10_clamp 1
		.amdhsa_ieee_mode 1
		.amdhsa_fp16_overflow 0
		.amdhsa_tg_split 0
		.amdhsa_exception_fp_ieee_invalid_op 0
		.amdhsa_exception_fp_denorm_src 0
		.amdhsa_exception_fp_ieee_div_zero 0
		.amdhsa_exception_fp_ieee_overflow 0
		.amdhsa_exception_fp_ieee_underflow 0
		.amdhsa_exception_fp_ieee_inexact 0
		.amdhsa_exception_int_div_zero 0
	.end_amdhsa_kernel
	.section	.text._Z16sort_keys_kernelIaLj512ELj8EN10test_utils4lessELj10EEvPKT_PS2_T2_,"axG",@progbits,_Z16sort_keys_kernelIaLj512ELj8EN10test_utils4lessELj10EEvPKT_PS2_T2_,comdat
.Lfunc_end78:
	.size	_Z16sort_keys_kernelIaLj512ELj8EN10test_utils4lessELj10EEvPKT_PS2_T2_, .Lfunc_end78-_Z16sort_keys_kernelIaLj512ELj8EN10test_utils4lessELj10EEvPKT_PS2_T2_
                                        ; -- End function
	.section	.AMDGPU.csdata,"",@progbits
; Kernel info:
; codeLenInByte = 13344
; NumSgprs: 54
; NumVgprs: 82
; NumAgprs: 0
; TotalNumVgprs: 82
; ScratchSize: 0
; MemoryBound: 0
; FloatMode: 240
; IeeeMode: 1
; LDSByteSize: 4097 bytes/workgroup (compile time only)
; SGPRBlocks: 6
; VGPRBlocks: 10
; NumSGPRsForWavesPerEU: 54
; NumVGPRsForWavesPerEU: 82
; AccumOffset: 84
; Occupancy: 5
; WaveLimiterHint : 1
; COMPUTE_PGM_RSRC2:SCRATCH_EN: 0
; COMPUTE_PGM_RSRC2:USER_SGPR: 2
; COMPUTE_PGM_RSRC2:TRAP_HANDLER: 0
; COMPUTE_PGM_RSRC2:TGID_X_EN: 1
; COMPUTE_PGM_RSRC2:TGID_Y_EN: 0
; COMPUTE_PGM_RSRC2:TGID_Z_EN: 0
; COMPUTE_PGM_RSRC2:TIDIG_COMP_CNT: 0
; COMPUTE_PGM_RSRC3_GFX90A:ACCUM_OFFSET: 20
; COMPUTE_PGM_RSRC3_GFX90A:TG_SPLIT: 0
	.section	.text._Z17sort_pairs_kernelIaLj512ELj8EN10test_utils4lessELj10EEvPKT_PS2_T2_,"axG",@progbits,_Z17sort_pairs_kernelIaLj512ELj8EN10test_utils4lessELj10EEvPKT_PS2_T2_,comdat
	.protected	_Z17sort_pairs_kernelIaLj512ELj8EN10test_utils4lessELj10EEvPKT_PS2_T2_ ; -- Begin function _Z17sort_pairs_kernelIaLj512ELj8EN10test_utils4lessELj10EEvPKT_PS2_T2_
	.globl	_Z17sort_pairs_kernelIaLj512ELj8EN10test_utils4lessELj10EEvPKT_PS2_T2_
	.p2align	8
	.type	_Z17sort_pairs_kernelIaLj512ELj8EN10test_utils4lessELj10EEvPKT_PS2_T2_,@function
_Z17sort_pairs_kernelIaLj512ELj8EN10test_utils4lessELj10EEvPKT_PS2_T2_: ; @_Z17sort_pairs_kernelIaLj512ELj8EN10test_utils4lessELj10EEvPKT_PS2_T2_
; %bb.0:
	s_load_dwordx4 s[4:7], s[0:1], 0x0
	s_lshl_b32 s33, s2, 12
                                        ; implicit-def: $vgpr103 : SGPR spill to VGPR lane
	v_lshlrev_b32_e32 v2, 3, v0
	v_and_b32_e32 v3, 0xff0, v2
	v_and_b32_e32 v5, 0xfe0, v2
	s_waitcnt lgkmcnt(0)
	s_add_u32 s0, s4, s33
	s_mov_b64 s[2:3], s[6:7]
	v_writelane_b32 v103, s0, 0
	v_or_b32_e32 v15, 8, v3
	v_add_u32_e32 v16, 16, v3
	v_writelane_b32 v103, s1, 1
	v_writelane_b32 v103, s2, 2
	;; [unrolled: 1-line block ×3, first 2 shown]
	s_addc_u32 s1, s5, 0
	global_load_ubyte v48, v0, s[0:1]
	global_load_ubyte v49, v0, s[0:1] offset:1024
	global_load_ubyte v50, v0, s[0:1] offset:2048
	;; [unrolled: 1-line block ×7, first 2 shown]
	v_and_b32_e32 v4, 8, v2
	v_and_b32_e32 v7, 0xfc0, v2
	v_or_b32_e32 v17, 16, v5
	v_add_u32_e32 v18, 32, v5
	v_sub_u32_e32 v34, v16, v15
	v_and_b32_e32 v6, 24, v2
	v_and_b32_e32 v9, 0xf80, v2
	v_or_b32_e32 v19, 32, v7
	v_add_u32_e32 v20, 64, v7
	v_sub_u32_e32 v35, v18, v17
	v_sub_u32_e32 v41, v4, v34
	v_cmp_ge_i32_e32 vcc, v4, v34
	v_and_b32_e32 v8, 56, v2
	v_and_b32_e32 v11, 0xf00, v2
	v_or_b32_e32 v21, 64, v9
	v_add_u32_e32 v22, 0x80, v9
	v_sub_u32_e32 v36, v20, v19
	v_sub_u32_e32 v42, v6, v35
	v_cndmask_b32_e32 v34, 0, v41, vcc
	v_cmp_ge_i32_e32 vcc, v6, v35
	v_and_b32_e32 v10, 0x78, v2
	v_or_b32_e32 v23, 0x80, v11
	v_add_u32_e32 v24, 0x100, v11
	v_sub_u32_e32 v37, v22, v21
	v_sub_u32_e32 v43, v8, v36
	v_cndmask_b32_e32 v35, 0, v42, vcc
	v_cmp_ge_i32_e32 vcc, v8, v36
	v_and_b32_e32 v12, 0xf8, v2
	v_and_b32_e32 v13, 0xe00, v2
	v_sub_u32_e32 v38, v24, v23
	v_sub_u32_e32 v44, v10, v37
	v_cndmask_b32_e32 v36, 0, v43, vcc
	v_cmp_ge_i32_e32 vcc, v10, v37
	v_and_b32_e32 v41, 0xc00, v2
	s_movk_i32 s14, 0x100
	v_or_b32_e32 v25, 0x100, v13
	v_add_u32_e32 v26, 0x200, v13
	v_sub_u32_e32 v45, v12, v38
	v_cndmask_b32_e32 v37, 0, v44, vcc
	v_cmp_ge_i32_e32 vcc, v12, v38
	v_or_b32_e32 v43, 0x200, v41
	v_add_u32_e32 v44, 0x400, v41
	v_and_b32_e32 v14, 0x1f8, v2
	v_sub_u32_e32 v39, v26, v25
	v_cndmask_b32_e32 v38, 0, v45, vcc
	v_and_b32_e32 v42, 0x3f8, v2
	v_sub_u32_e32 v45, v44, v43
	v_sub_u32_e32 v29, v15, v3
	;; [unrolled: 1-line block ×3, first 2 shown]
	v_cmp_ge_i32_e32 vcc, v14, v39
	v_sub_u32_e32 v47, v42, v45
	v_cmp_ge_i32_e64 s[10:11], v42, v45
	v_sub_u32_e32 v30, v17, v5
	v_sub_u32_e32 v31, v19, v7
	;; [unrolled: 1-line block ×5, first 2 shown]
	v_min_i32_e32 v29, v4, v29
	v_cndmask_b32_e32 v39, 0, v46, vcc
	v_sub_u32_e32 v46, v43, v41
	v_cndmask_b32_e64 v45, 0, v47, s[10:11]
	v_mov_b32_e32 v47, 0x800
	v_min_i32_e32 v30, v6, v30
	v_min_i32_e32 v31, v8, v31
	;; [unrolled: 1-line block ×4, first 2 shown]
	v_cmp_lt_i32_e64 s[0:1], v34, v29
	v_min_i32_e32 v40, v14, v40
	v_min_i32_e32 v46, v42, v46
	s_mov_b32 s92, 0
	v_mov_b32_e32 v1, 0
	v_add_u32_e32 v27, v15, v4
	v_add_u32_e32 v28, v17, v6
	v_writelane_b32 v103, s0, 4
	v_cmp_lt_i32_e32 vcc, v35, v30
	s_waitcnt vmcnt(7)
	v_add_u16_e32 v56, 1, v48
	s_waitcnt vmcnt(6)
	v_add_u16_e32 v57, 1, v49
	s_waitcnt vmcnt(2)
	v_lshlrev_b16_e32 v53, 8, v53
	s_waitcnt vmcnt(1)
	v_lshlrev_b16_e32 v54, 8, v54
	;; [unrolled: 2-line block ×3, first 2 shown]
	v_or_b32_e32 v48, v48, v55
	v_or_b32_sdwa v49, v49, v54 dst_sel:WORD_1 dst_unused:UNUSED_PAD src0_sel:DWORD src1_sel:DWORD
	v_lshlrev_b16_e32 v60, 8, v52
	v_add_u16_e32 v58, 1, v50
	v_or_b32_sdwa v66, v48, v49 dst_sel:DWORD dst_unused:UNUSED_PAD src0_sel:WORD_0 src1_sel:DWORD
	v_and_b32_e32 v48, 0x800, v2
	v_or_b32_e32 v49, v50, v53
	v_or_b32_sdwa v50, v51, v60 dst_sel:WORD_1 dst_unused:UNUSED_PAD src0_sel:DWORD src1_sel:DWORD
	v_or_b32_sdwa v52, v55, v56 dst_sel:DWORD dst_unused:UNUSED_PAD src0_sel:DWORD src1_sel:BYTE_0
	v_or_b32_sdwa v54, v54, v57 dst_sel:DWORD dst_unused:UNUSED_PAD src0_sel:DWORD src1_sel:BYTE_0
	v_add_u16_e32 v59, 1, v51
	v_or_b32_sdwa v65, v49, v50 dst_sel:DWORD dst_unused:UNUSED_PAD src0_sel:WORD_0 src1_sel:DWORD
	v_or_b32_e32 v50, 0x400, v48
	v_add_u32_e32 v51, 0x800, v48
	v_add_u16_e32 v52, 0x100, v52
	v_add_u16_sdwa v54, v54, s14 dst_sel:WORD_1 dst_unused:UNUSED_PAD src0_sel:DWORD src1_sel:DWORD
	v_and_b32_e32 v49, 0x7f8, v2
	v_or_b32_e32 v63, v52, v54
	v_sub_u32_e32 v52, v51, v50
	v_or_b32_sdwa v55, v53, v58 dst_sel:DWORD dst_unused:UNUSED_PAD src0_sel:DWORD src1_sel:BYTE_0
	v_or_b32_sdwa v56, v60, v59 dst_sel:DWORD dst_unused:UNUSED_PAD src0_sel:DWORD src1_sel:BYTE_0
	v_sub_u32_e32 v53, v49, v52
	v_sub_u32_e32 v54, v50, v48
	v_cmp_ge_i32_e64 s[12:13], v49, v52
	v_add_u16_e32 v55, 0x100, v55
	v_add_u16_sdwa v56, v56, s14 dst_sel:WORD_1 dst_unused:UNUSED_PAD src0_sel:DWORD src1_sel:DWORD
	v_cndmask_b32_e64 v52, 0, v53, s[12:13]
	v_min_i32_e32 v53, v49, v54
	v_sub_u32_e64 v54, v2, v47 clamp
	v_or_b32_e32 v64, v55, v56
	v_min_i32_e32 v55, 0x800, v2
	v_cmp_lt_i32_e64 s[2:3], v36, v31
	v_cmp_lt_i32_e64 s[4:5], v37, v32
	;; [unrolled: 1-line block ×7, first 2 shown]
	s_mov_b32 s93, 0xffff
	s_movk_i32 s94, 0xff
	s_mov_b32 s95, 0x7060405
	s_mov_b32 s96, 0xc0c0001
	;; [unrolled: 1-line block ×6, first 2 shown]
	s_movk_i32 s91, 0x1000
	v_add_u32_e32 v56, v19, v8
	v_add_u32_e32 v57, v21, v10
	;; [unrolled: 1-line block ×7, first 2 shown]
	v_writelane_b32 v103, s1, 5
	s_branch .LBB79_2
.LBB79_1:                               ;   in Loop: Header=BB79_2 Depth=1
	s_or_b64 exec, exec, s[30:31]
	v_cndmask_b32_e64 v73, v73, v74, s[16:17]
	v_cndmask_b32_e64 v74, v75, v76, s[18:19]
	;; [unrolled: 1-line block ×3, first 2 shown]
	v_cmp_ge_i32_e64 s[18:19], v99, v47
	s_waitcnt lgkmcnt(0)
	v_cmp_lt_i16_sdwa s[0:1], sext(v102), sext(v100) src0_sel:BYTE_0 src1_sel:BYTE_0
	v_lshlrev_b16_e32 v65, 8, v65
	v_cndmask_b32_e64 v72, v71, v72, s[16:17]
	v_cmp_gt_i32_e64 s[16:17], s91, v97
	s_or_b64 s[0:1], s[18:19], s[0:1]
	v_lshlrev_b16_e32 v70, 8, v70
	v_lshlrev_b16_e32 v67, 8, v67
	v_or_b32_sdwa v63, v63, v65 dst_sel:DWORD dst_unused:UNUSED_PAD src0_sel:BYTE_0 src1_sel:DWORD
	v_lshlrev_b16_e32 v65, 8, v66
	v_cndmask_b32_e64 v76, v83, v84, s[22:23]
	s_and_b64 s[16:17], s[16:17], s[0:1]
	v_or_b32_sdwa v68, v68, v70 dst_sel:DWORD dst_unused:UNUSED_PAD src0_sel:BYTE_0 src1_sel:DWORD
	v_or_b32_sdwa v67, v69, v67 dst_sel:WORD_1 dst_unused:UNUSED_PAD src0_sel:BYTE_0 src1_sel:DWORD
	v_or_b32_sdwa v64, v64, v65 dst_sel:WORD_1 dst_unused:UNUSED_PAD src0_sel:BYTE_0 src1_sel:DWORD
	v_cndmask_b32_e64 v75, v79, v80, s[20:21]
	v_cndmask_b32_e64 v81, v82, v81, s[20:21]
	;; [unrolled: 1-line block ×3, first 2 shown]
	v_or_b32_sdwa v67, v68, v67 dst_sel:DWORD dst_unused:UNUSED_PAD src0_sel:WORD_0 src1_sel:DWORD
	v_or_b32_sdwa v66, v63, v64 dst_sel:DWORD dst_unused:UNUSED_PAD src0_sel:WORD_0 src1_sel:DWORD
	v_lshlrev_b16_e32 v63, 8, v74
	v_lshlrev_b16_e32 v64, 8, v76
	v_cndmask_b32_e64 v79, v87, v88, s[24:25]
	v_cndmask_b32_e64 v80, v91, v92, s[26:27]
	;; [unrolled: 1-line block ×6, first 2 shown]
	s_barrier
	ds_write_b64 v2, v[66:67]
	s_waitcnt lgkmcnt(0)
	s_barrier
	ds_read_u8 v67, v98
	ds_read_u8 v68, v78
	;; [unrolled: 1-line block ×8, first 2 shown]
	v_or_b32_sdwa v63, v73, v63 dst_sel:DWORD dst_unused:UNUSED_PAD src0_sel:BYTE_0 src1_sel:DWORD
	v_or_b32_sdwa v64, v75, v64 dst_sel:WORD_1 dst_unused:UNUSED_PAD src0_sel:BYTE_0 src1_sel:DWORD
	v_cndmask_b32_e64 v83, v95, v96, s[28:29]
	v_or_b32_sdwa v66, v63, v64 dst_sel:DWORD dst_unused:UNUSED_PAD src0_sel:WORD_0 src1_sel:DWORD
	v_lshlrev_b16_e32 v63, 8, v80
	v_lshlrev_b16_e32 v64, 8, v71
	v_or_b32_sdwa v63, v79, v63 dst_sel:DWORD dst_unused:UNUSED_PAD src0_sel:BYTE_0 src1_sel:DWORD
	v_or_b32_sdwa v64, v83, v64 dst_sel:WORD_1 dst_unused:UNUSED_PAD src0_sel:BYTE_0 src1_sel:DWORD
	s_waitcnt lgkmcnt(6)
	v_lshlrev_b16_e32 v82, 8, v68
	v_or_b32_sdwa v65, v63, v64 dst_sel:DWORD dst_unused:UNUSED_PAD src0_sel:WORD_0 src1_sel:DWORD
	s_waitcnt lgkmcnt(4)
	v_lshlrev_b16_e32 v63, 8, v70
	s_waitcnt lgkmcnt(2)
	v_lshlrev_b16_e32 v64, 8, v77
	v_or_b32_e32 v63, v69, v63
	v_or_b32_sdwa v64, v72, v64 dst_sel:WORD_1 dst_unused:UNUSED_PAD src0_sel:DWORD src1_sel:DWORD
	s_add_i32 s92, s92, 1
	v_or_b32_sdwa v63, v63, v64 dst_sel:DWORD dst_unused:UNUSED_PAD src0_sel:WORD_0 src1_sel:DWORD
	s_waitcnt lgkmcnt(0)
	v_lshlrev_b16_e32 v64, 8, v81
	v_or_b32_e32 v64, v78, v64
	v_or_b32_sdwa v82, v67, v82 dst_sel:WORD_1 dst_unused:UNUSED_PAD src0_sel:DWORD src1_sel:DWORD
	s_cmp_eq_u32 s92, 10
	v_or_b32_sdwa v64, v64, v82 dst_sel:DWORD dst_unused:UNUSED_PAD src0_sel:WORD_0 src1_sel:DWORD
	s_cbranch_scc1 .LBB79_290
.LBB79_2:                               ; =>This Loop Header: Depth=1
                                        ;     Child Loop BB79_4 Depth 2
                                        ;     Child Loop BB79_36 Depth 2
	;; [unrolled: 1-line block ×9, first 2 shown]
	v_lshrrev_b32_e32 v68, 8, v66
	v_perm_b32 v67, v66, v66, s95
	v_cmp_lt_i16_sdwa s[16:17], sext(v68), sext(v66) src0_sel:BYTE_0 src1_sel:BYTE_0
	v_readlane_b32 s0, v103, 4
	s_nop 0
	v_cndmask_b32_e64 v66, v66, v67, s[16:17]
	v_lshrrev_b32_e32 v67, 16, v66
	v_perm_b32 v68, 0, v67, s96
	v_lshrrev_b32_e32 v69, 24, v66
	v_lshlrev_b32_e32 v68, 16, v68
	v_and_or_b32 v68, v66, s93, v68
	v_cmp_lt_i16_sdwa s[18:19], sext(v69), sext(v67) src0_sel:BYTE_0 src1_sel:BYTE_0
	v_perm_b32 v67, v65, v65, s95
	s_barrier
	v_cndmask_b32_e64 v66, v66, v68, s[18:19]
	v_lshrrev_b32_e32 v68, 8, v65
	v_cmp_lt_i16_sdwa s[20:21], sext(v68), sext(v65) src0_sel:BYTE_0 src1_sel:BYTE_0
	v_readlane_b32 s1, v103, 5
	s_nop 0
	v_cndmask_b32_e64 v65, v65, v67, s[20:21]
	v_lshrrev_b32_e32 v67, 24, v65
	v_lshrrev_b32_e32 v68, 16, v65
	v_perm_b32 v69, v65, v65, s97
	v_cmp_lt_i16_sdwa s[22:23], sext(v67), sext(v68) src0_sel:BYTE_0 src1_sel:BYTE_0
	v_lshrrev_b32_e32 v67, 16, v66
	v_lshrrev_b32_e32 v68, 8, v66
	v_cndmask_b32_e64 v65, v65, v69, s[22:23]
	v_perm_b32 v69, v66, v66, s98
	v_cmp_lt_i16_sdwa s[24:25], sext(v67), sext(v68) src0_sel:BYTE_0 src1_sel:BYTE_0
	s_nop 1
	v_cndmask_b32_e64 v66, v66, v69, s[24:25]
	v_and_b32_sdwa v68, v66, s94 dst_sel:DWORD dst_unused:UNUSED_PAD src0_sel:WORD_1 src1_sel:DWORD
	v_lshlrev_b16_e32 v69, 8, v65
	v_or_b32_sdwa v68, v68, v69 dst_sel:WORD_1 dst_unused:UNUSED_PAD src0_sel:DWORD src1_sel:DWORD
	v_lshrrev_b32_e32 v69, 24, v66
	v_perm_b32 v67, v66, v65, s99
	v_cmp_lt_i16_sdwa s[26:27], sext(v65), sext(v69) src0_sel:BYTE_0 src1_sel:BYTE_0
	v_and_or_b32 v68, v66, s93, v68
	s_nop 0
	v_cndmask_b32_e64 v65, v65, v67, s[26:27]
	v_cndmask_b32_e64 v66, v66, v68, s[26:27]
	v_lshrrev_b32_e32 v67, 16, v65
	v_lshrrev_b32_e32 v68, 8, v65
	v_cmp_lt_i16_sdwa s[28:29], sext(v67), sext(v68) src0_sel:BYTE_0 src1_sel:BYTE_0
	v_perm_b32 v67, 0, v66, s96
	v_lshrrev_b32_e32 v68, 8, v66
	v_and_or_b32 v67, v66, s90, v67
	v_cmp_lt_i16_sdwa s[30:31], sext(v68), sext(v66) src0_sel:BYTE_0 src1_sel:BYTE_0
	v_perm_b32 v69, v65, v65, s98
	v_cndmask_b32_e64 v65, v65, v69, s[28:29]
	v_cndmask_b32_e64 v66, v66, v67, s[30:31]
	v_lshrrev_b32_e32 v67, 16, v66
	v_perm_b32 v68, 0, v67, s96
	v_lshrrev_b32_e32 v69, 24, v66
	v_lshlrev_b32_e32 v68, 16, v68
	v_and_or_b32 v68, v66, s93, v68
	v_cmp_lt_i16_sdwa s[34:35], sext(v69), sext(v67) src0_sel:BYTE_0 src1_sel:BYTE_0
	v_perm_b32 v67, v65, v65, s95
	s_nop 0
	v_cndmask_b32_e64 v66, v66, v68, s[34:35]
	v_lshrrev_b32_e32 v68, 8, v65
	v_cmp_lt_i16_sdwa s[36:37], sext(v68), sext(v65) src0_sel:BYTE_0 src1_sel:BYTE_0
	s_nop 1
	v_cndmask_b32_e64 v65, v65, v67, s[36:37]
	v_lshrrev_b32_e32 v67, 24, v65
	v_lshrrev_b32_e32 v68, 16, v65
	v_perm_b32 v69, v65, v65, s97
	v_cmp_lt_i16_sdwa s[38:39], sext(v67), sext(v68) src0_sel:BYTE_0 src1_sel:BYTE_0
	v_lshrrev_b32_e32 v67, 16, v66
	v_lshrrev_b32_e32 v68, 8, v66
	v_cndmask_b32_e64 v65, v65, v69, s[38:39]
	v_perm_b32 v69, v66, v66, s98
	v_cmp_lt_i16_sdwa s[40:41], sext(v67), sext(v68) src0_sel:BYTE_0 src1_sel:BYTE_0
	s_nop 1
	v_cndmask_b32_e64 v66, v66, v69, s[40:41]
	v_and_b32_sdwa v68, v66, s94 dst_sel:DWORD dst_unused:UNUSED_PAD src0_sel:WORD_1 src1_sel:DWORD
	v_lshlrev_b16_e32 v69, 8, v65
	v_or_b32_sdwa v68, v68, v69 dst_sel:WORD_1 dst_unused:UNUSED_PAD src0_sel:DWORD src1_sel:DWORD
	v_lshrrev_b32_e32 v69, 24, v66
	v_perm_b32 v67, v66, v65, s99
	v_cmp_lt_i16_sdwa s[42:43], sext(v65), sext(v69) src0_sel:BYTE_0 src1_sel:BYTE_0
	v_and_or_b32 v68, v66, s93, v68
	s_nop 0
	v_cndmask_b32_e64 v65, v65, v67, s[42:43]
	v_cndmask_b32_e64 v66, v66, v68, s[42:43]
	v_lshrrev_b32_e32 v67, 16, v65
	v_lshrrev_b32_e32 v68, 8, v65
	v_cmp_lt_i16_sdwa s[44:45], sext(v67), sext(v68) src0_sel:BYTE_0 src1_sel:BYTE_0
	v_perm_b32 v67, 0, v66, s96
	v_lshrrev_b32_e32 v68, 8, v66
	v_and_or_b32 v67, v66, s90, v67
	v_cmp_lt_i16_sdwa s[46:47], sext(v68), sext(v66) src0_sel:BYTE_0 src1_sel:BYTE_0
	v_perm_b32 v69, v65, v65, s98
	v_cndmask_b32_e64 v65, v65, v69, s[44:45]
	v_cndmask_b32_e64 v66, v66, v67, s[46:47]
	v_lshrrev_b32_e32 v67, 16, v66
	v_perm_b32 v68, 0, v67, s96
	v_lshrrev_b32_e32 v69, 24, v66
	v_lshlrev_b32_e32 v68, 16, v68
	v_and_or_b32 v68, v66, s93, v68
	v_cmp_lt_i16_sdwa s[48:49], sext(v69), sext(v67) src0_sel:BYTE_0 src1_sel:BYTE_0
	v_perm_b32 v67, v65, v65, s95
	s_nop 0
	v_cndmask_b32_e64 v66, v66, v68, s[48:49]
	v_lshrrev_b32_e32 v68, 8, v65
	v_cmp_lt_i16_sdwa s[50:51], sext(v68), sext(v65) src0_sel:BYTE_0 src1_sel:BYTE_0
	;; [unrolled: 44-line block ×3, first 2 shown]
	s_nop 1
	v_cndmask_b32_e64 v65, v65, v67, s[64:65]
	v_lshrrev_b32_e32 v67, 24, v65
	v_lshrrev_b32_e32 v68, 16, v65
	v_perm_b32 v69, v65, v65, s97
	v_cmp_lt_i16_sdwa s[66:67], sext(v67), sext(v68) src0_sel:BYTE_0 src1_sel:BYTE_0
	v_lshrrev_b32_e32 v67, 16, v66
	v_lshrrev_b32_e32 v68, 8, v66
	v_cndmask_b32_e64 v65, v65, v69, s[66:67]
	v_perm_b32 v69, v66, v66, s98
	v_cmp_lt_i16_sdwa s[68:69], sext(v67), sext(v68) src0_sel:BYTE_0 src1_sel:BYTE_0
	s_nop 1
	v_cndmask_b32_e64 v66, v66, v69, s[68:69]
	v_and_b32_sdwa v68, v66, s94 dst_sel:DWORD dst_unused:UNUSED_PAD src0_sel:WORD_1 src1_sel:DWORD
	v_lshlrev_b16_e32 v69, 8, v65
	v_or_b32_sdwa v68, v68, v69 dst_sel:WORD_1 dst_unused:UNUSED_PAD src0_sel:DWORD src1_sel:DWORD
	v_lshrrev_b32_e32 v69, 24, v66
	v_perm_b32 v67, v66, v65, s99
	v_cmp_lt_i16_sdwa s[70:71], sext(v65), sext(v69) src0_sel:BYTE_0 src1_sel:BYTE_0
	v_and_or_b32 v68, v66, s93, v68
	s_nop 0
	v_cndmask_b32_e64 v65, v65, v67, s[70:71]
	v_cndmask_b32_e64 v66, v66, v68, s[70:71]
	v_lshrrev_b32_e32 v67, 16, v65
	v_lshrrev_b32_e32 v68, 8, v65
	v_perm_b32 v69, v65, v65, s98
	v_cmp_lt_i16_sdwa s[72:73], sext(v67), sext(v68) src0_sel:BYTE_0 src1_sel:BYTE_0
	s_nop 1
	v_cndmask_b32_e64 v67, v65, v69, s[72:73]
	ds_write_b64 v2, v[66:67]
	v_mov_b32_e32 v66, v34
	s_waitcnt lgkmcnt(0)
	s_barrier
	s_and_saveexec_b64 s[76:77], s[0:1]
	s_cbranch_execz .LBB79_6
; %bb.3:                                ;   in Loop: Header=BB79_2 Depth=1
	s_mov_b64 s[78:79], 0
	v_mov_b32_e32 v66, v34
	v_mov_b32_e32 v65, v29
.LBB79_4:                               ;   Parent Loop BB79_2 Depth=1
                                        ; =>  This Inner Loop Header: Depth=2
	v_sub_u32_e32 v67, v65, v66
	v_lshrrev_b32_e32 v68, 31, v67
	v_add_u32_e32 v67, v67, v68
	v_ashrrev_i32_e32 v67, 1, v67
	v_add_u32_e32 v67, v67, v66
	v_not_b32_e32 v69, v67
	v_add_u32_e32 v68, v3, v67
	v_add3_u32 v69, v4, v69, v15
	ds_read_i8 v68, v68
	ds_read_i8 v69, v69
	v_add_u32_e32 v70, 1, v67
	s_waitcnt lgkmcnt(0)
	v_cmp_lt_i16_e64 s[74:75], v69, v68
	s_nop 1
	v_cndmask_b32_e64 v65, v65, v67, s[74:75]
	v_cndmask_b32_e64 v66, v70, v66, s[74:75]
	v_cmp_ge_i32_e64 s[74:75], v66, v65
	s_or_b64 s[78:79], s[74:75], s[78:79]
	s_andn2_b64 exec, exec, s[78:79]
	s_cbranch_execnz .LBB79_4
; %bb.5:                                ;   in Loop: Header=BB79_2 Depth=1
	s_or_b64 exec, exec, s[78:79]
.LBB79_6:                               ;   in Loop: Header=BB79_2 Depth=1
	s_or_b64 exec, exec, s[76:77]
	v_add_u32_e32 v65, v66, v3
	v_sub_u32_e32 v66, v27, v66
	ds_read_u8 v67, v65
	ds_read_u8 v68, v66
	v_cmp_le_i32_e64 s[76:77], v15, v65
	v_cmp_gt_i32_e64 s[74:75], v16, v66
                                        ; implicit-def: $vgpr69
	s_waitcnt lgkmcnt(1)
	v_bfe_i32 v67, v67, 0, 8
	s_waitcnt lgkmcnt(0)
	v_bfe_i32 v68, v68, 0, 8
	v_cmp_lt_i16_e64 s[78:79], v68, v67
	s_or_b64 s[76:77], s[76:77], s[78:79]
	s_and_b64 s[74:75], s[74:75], s[76:77]
	s_xor_b64 s[76:77], s[74:75], -1
	s_and_saveexec_b64 s[78:79], s[76:77]
	s_xor_b64 s[76:77], exec, s[78:79]
	s_cbranch_execz .LBB79_8
; %bb.7:                                ;   in Loop: Header=BB79_2 Depth=1
	ds_read_u8 v69, v65 offset:1
.LBB79_8:                               ;   in Loop: Header=BB79_2 Depth=1
	s_or_saveexec_b64 s[76:77], s[76:77]
	v_mov_b32_e32 v70, v68
	s_xor_b64 exec, exec, s[76:77]
	s_cbranch_execz .LBB79_10
; %bb.9:                                ;   in Loop: Header=BB79_2 Depth=1
	ds_read_u8 v70, v66 offset:1
	s_waitcnt lgkmcnt(1)
	v_mov_b32_e32 v69, v67
.LBB79_10:                              ;   in Loop: Header=BB79_2 Depth=1
	s_or_b64 exec, exec, s[76:77]
	v_add_u32_e32 v72, 1, v65
	v_add_u32_e32 v71, 1, v66
	v_cndmask_b32_e64 v72, v72, v65, s[74:75]
	v_cndmask_b32_e64 v71, v66, v71, s[74:75]
	v_cmp_ge_i32_e64 s[78:79], v72, v15
	s_waitcnt lgkmcnt(0)
	v_cmp_lt_i16_sdwa s[80:81], sext(v70), sext(v69) src0_sel:BYTE_0 src1_sel:BYTE_0
	v_cmp_lt_i32_e64 s[76:77], v71, v16
	s_or_b64 s[78:79], s[78:79], s[80:81]
	s_and_b64 s[76:77], s[76:77], s[78:79]
	s_xor_b64 s[78:79], s[76:77], -1
                                        ; implicit-def: $vgpr73
	s_and_saveexec_b64 s[80:81], s[78:79]
	s_xor_b64 s[78:79], exec, s[80:81]
	s_cbranch_execz .LBB79_12
; %bb.11:                               ;   in Loop: Header=BB79_2 Depth=1
	ds_read_u8 v73, v72 offset:1
.LBB79_12:                              ;   in Loop: Header=BB79_2 Depth=1
	s_or_saveexec_b64 s[78:79], s[78:79]
	v_mov_b32_e32 v74, v70
	s_xor_b64 exec, exec, s[78:79]
	s_cbranch_execz .LBB79_14
; %bb.13:                               ;   in Loop: Header=BB79_2 Depth=1
	ds_read_u8 v74, v71 offset:1
	s_waitcnt lgkmcnt(1)
	v_mov_b32_e32 v73, v69
.LBB79_14:                              ;   in Loop: Header=BB79_2 Depth=1
	s_or_b64 exec, exec, s[78:79]
	v_add_u32_e32 v76, 1, v72
	v_add_u32_e32 v75, 1, v71
	v_cndmask_b32_e64 v76, v76, v72, s[76:77]
	v_cndmask_b32_e64 v75, v71, v75, s[76:77]
	v_cmp_ge_i32_e64 s[80:81], v76, v15
	s_waitcnt lgkmcnt(0)
	v_cmp_lt_i16_sdwa s[82:83], sext(v74), sext(v73) src0_sel:BYTE_0 src1_sel:BYTE_0
	v_cmp_lt_i32_e64 s[78:79], v75, v16
	s_or_b64 s[80:81], s[80:81], s[82:83]
	s_and_b64 s[78:79], s[78:79], s[80:81]
	s_xor_b64 s[80:81], s[78:79], -1
                                        ; implicit-def: $vgpr77
	s_and_saveexec_b64 s[82:83], s[80:81]
	s_xor_b64 s[80:81], exec, s[82:83]
	s_cbranch_execz .LBB79_16
; %bb.15:                               ;   in Loop: Header=BB79_2 Depth=1
	ds_read_u8 v77, v76 offset:1
.LBB79_16:                              ;   in Loop: Header=BB79_2 Depth=1
	s_or_saveexec_b64 s[80:81], s[80:81]
	v_mov_b32_e32 v78, v74
	s_xor_b64 exec, exec, s[80:81]
	s_cbranch_execz .LBB79_18
; %bb.17:                               ;   in Loop: Header=BB79_2 Depth=1
	ds_read_u8 v78, v75 offset:1
	s_waitcnt lgkmcnt(1)
	v_mov_b32_e32 v77, v73
.LBB79_18:                              ;   in Loop: Header=BB79_2 Depth=1
	s_or_b64 exec, exec, s[80:81]
	v_add_u32_e32 v80, 1, v76
	v_add_u32_e32 v79, 1, v75
	v_cndmask_b32_e64 v80, v80, v76, s[78:79]
	v_cndmask_b32_e64 v79, v75, v79, s[78:79]
	v_cmp_ge_i32_e64 s[82:83], v80, v15
	s_waitcnt lgkmcnt(0)
	v_cmp_lt_i16_sdwa s[84:85], sext(v78), sext(v77) src0_sel:BYTE_0 src1_sel:BYTE_0
	v_cmp_lt_i32_e64 s[80:81], v79, v16
	s_or_b64 s[82:83], s[82:83], s[84:85]
	s_and_b64 s[80:81], s[80:81], s[82:83]
	s_xor_b64 s[82:83], s[80:81], -1
                                        ; implicit-def: $vgpr81
	s_and_saveexec_b64 s[84:85], s[82:83]
	s_xor_b64 s[82:83], exec, s[84:85]
	s_cbranch_execz .LBB79_20
; %bb.19:                               ;   in Loop: Header=BB79_2 Depth=1
	ds_read_u8 v81, v80 offset:1
.LBB79_20:                              ;   in Loop: Header=BB79_2 Depth=1
	s_or_saveexec_b64 s[82:83], s[82:83]
	v_mov_b32_e32 v82, v78
	s_xor_b64 exec, exec, s[82:83]
	s_cbranch_execz .LBB79_22
; %bb.21:                               ;   in Loop: Header=BB79_2 Depth=1
	ds_read_u8 v82, v79 offset:1
	s_waitcnt lgkmcnt(1)
	v_mov_b32_e32 v81, v77
.LBB79_22:                              ;   in Loop: Header=BB79_2 Depth=1
	s_or_b64 exec, exec, s[82:83]
	v_add_u32_e32 v85, 1, v80
	v_add_u32_e32 v83, 1, v79
	v_cndmask_b32_e64 v85, v85, v80, s[80:81]
	v_cndmask_b32_e64 v84, v79, v83, s[80:81]
	v_cmp_ge_i32_e64 s[84:85], v85, v15
	s_waitcnt lgkmcnt(0)
	v_cmp_lt_i16_sdwa s[86:87], sext(v82), sext(v81) src0_sel:BYTE_0 src1_sel:BYTE_0
	v_cmp_lt_i32_e64 s[82:83], v84, v16
	s_or_b64 s[84:85], s[84:85], s[86:87]
	s_and_b64 s[82:83], s[82:83], s[84:85]
	s_xor_b64 s[84:85], s[82:83], -1
                                        ; implicit-def: $vgpr87
	s_and_saveexec_b64 s[86:87], s[84:85]
	s_xor_b64 s[84:85], exec, s[86:87]
	s_cbranch_execz .LBB79_24
; %bb.23:                               ;   in Loop: Header=BB79_2 Depth=1
	ds_read_u8 v87, v85 offset:1
.LBB79_24:                              ;   in Loop: Header=BB79_2 Depth=1
	s_or_saveexec_b64 s[84:85], s[84:85]
	v_mov_b32_e32 v88, v82
	s_xor_b64 exec, exec, s[84:85]
	s_cbranch_execz .LBB79_26
; %bb.25:                               ;   in Loop: Header=BB79_2 Depth=1
	ds_read_u8 v88, v84 offset:1
	s_waitcnt lgkmcnt(1)
	v_mov_b32_e32 v87, v81
.LBB79_26:                              ;   in Loop: Header=BB79_2 Depth=1
	s_or_b64 exec, exec, s[84:85]
	v_add_u32_e32 v86, 1, v85
	v_add_u32_e32 v83, 1, v84
	v_cndmask_b32_e64 v90, v86, v85, s[82:83]
	v_cndmask_b32_e64 v89, v84, v83, s[82:83]
	v_cmp_ge_i32_e64 s[86:87], v90, v15
	s_waitcnt lgkmcnt(0)
	v_cmp_lt_i16_sdwa s[88:89], sext(v88), sext(v87) src0_sel:BYTE_0 src1_sel:BYTE_0
	v_cmp_lt_i32_e64 s[84:85], v89, v16
	s_or_b64 s[86:87], s[86:87], s[88:89]
	s_and_b64 s[84:85], s[84:85], s[86:87]
	s_xor_b64 s[86:87], s[84:85], -1
                                        ; implicit-def: $vgpr91
	s_and_saveexec_b64 s[88:89], s[86:87]
	s_xor_b64 s[86:87], exec, s[88:89]
	s_cbranch_execz .LBB79_28
; %bb.27:                               ;   in Loop: Header=BB79_2 Depth=1
	ds_read_u8 v91, v90 offset:1
.LBB79_28:                              ;   in Loop: Header=BB79_2 Depth=1
	s_or_saveexec_b64 s[86:87], s[86:87]
	v_mov_b32_e32 v92, v88
	s_xor_b64 exec, exec, s[86:87]
	s_cbranch_execz .LBB79_30
; %bb.29:                               ;   in Loop: Header=BB79_2 Depth=1
	ds_read_u8 v92, v89 offset:1
	s_waitcnt lgkmcnt(1)
	v_mov_b32_e32 v91, v87
.LBB79_30:                              ;   in Loop: Header=BB79_2 Depth=1
	s_or_b64 exec, exec, s[86:87]
	v_add_u32_e32 v86, 1, v90
	v_add_u32_e32 v83, 1, v89
	v_cndmask_b32_e64 v94, v86, v90, s[84:85]
	v_cndmask_b32_e64 v93, v89, v83, s[84:85]
	v_cmp_ge_i32_e64 s[88:89], v94, v15
	s_waitcnt lgkmcnt(0)
	v_cmp_lt_i16_sdwa s[0:1], sext(v92), sext(v91) src0_sel:BYTE_0 src1_sel:BYTE_0
	v_cmp_lt_i32_e64 s[86:87], v93, v16
	s_or_b64 s[0:1], s[88:89], s[0:1]
	s_and_b64 s[86:87], s[86:87], s[0:1]
	s_xor_b64 s[0:1], s[86:87], -1
                                        ; implicit-def: $vgpr83
	s_and_saveexec_b64 s[88:89], s[0:1]
	s_xor_b64 s[88:89], exec, s[88:89]
	s_cbranch_execz .LBB79_32
; %bb.31:                               ;   in Loop: Header=BB79_2 Depth=1
	ds_read_u8 v83, v94 offset:1
.LBB79_32:                              ;   in Loop: Header=BB79_2 Depth=1
	s_or_saveexec_b64 s[88:89], s[88:89]
	v_mov_b32_e32 v86, v92
	s_xor_b64 exec, exec, s[88:89]
	s_cbranch_execz .LBB79_34
; %bb.33:                               ;   in Loop: Header=BB79_2 Depth=1
	ds_read_u8 v86, v93 offset:1
	s_waitcnt lgkmcnt(1)
	v_mov_b32_e32 v83, v91
.LBB79_34:                              ;   in Loop: Header=BB79_2 Depth=1
	s_or_b64 exec, exec, s[88:89]
	v_perm_b32 v95, 0, v63, s96
	v_and_or_b32 v95, v63, s90, v95
	v_cndmask_b32_e64 v63, v63, v95, s[16:17]
	v_cndmask_b32_e64 v66, v65, v66, s[74:75]
	v_lshrrev_b32_e32 v65, 16, v63
	v_perm_b32 v65, 0, v65, s96
	v_lshlrev_b32_e32 v65, 16, v65
	v_and_or_b32 v65, v63, s93, v65
	v_cndmask_b32_e64 v63, v63, v65, s[18:19]
	v_perm_b32 v65, v64, v64, s95
	v_cndmask_b32_e64 v64, v64, v65, s[20:21]
	v_perm_b32 v65, v64, v64, s97
	;; [unrolled: 2-line block ×3, first 2 shown]
	v_cndmask_b32_e64 v63, v63, v65, s[24:25]
	v_cndmask_b32_e64 v73, v73, v74, s[78:79]
	;; [unrolled: 1-line block ×6, first 2 shown]
	v_and_b32_sdwa v67, v63, s94 dst_sel:DWORD dst_unused:UNUSED_PAD src0_sel:WORD_1 src1_sel:DWORD
	v_lshlrev_b16_e32 v68, 8, v64
	v_or_b32_sdwa v67, v67, v68 dst_sel:WORD_1 dst_unused:UNUSED_PAD src0_sel:DWORD src1_sel:DWORD
	v_perm_b32 v65, v63, v64, s99
	v_and_or_b32 v67, v63, s93, v67
	v_cndmask_b32_e64 v63, v63, v67, s[26:27]
	v_perm_b32 v67, 0, v63, s96
	v_cndmask_b32_e64 v64, v64, v65, s[26:27]
	v_and_or_b32 v67, v63, s90, v67
	v_perm_b32 v65, v64, v64, s98
	v_cndmask_b32_e64 v63, v63, v67, s[30:31]
	v_cndmask_b32_e64 v64, v64, v65, s[28:29]
	v_lshrrev_b32_e32 v65, 16, v63
	v_perm_b32 v65, 0, v65, s96
	v_lshlrev_b32_e32 v65, 16, v65
	v_and_or_b32 v65, v63, s93, v65
	v_cndmask_b32_e64 v63, v63, v65, s[34:35]
	v_perm_b32 v65, v64, v64, s95
	v_cndmask_b32_e64 v64, v64, v65, s[36:37]
	v_perm_b32 v65, v64, v64, s97
	v_cndmask_b32_e64 v64, v64, v65, s[38:39]
	v_perm_b32 v65, v63, v63, s98
	v_cndmask_b32_e64 v63, v63, v65, s[40:41]
	v_and_b32_sdwa v67, v63, s94 dst_sel:DWORD dst_unused:UNUSED_PAD src0_sel:WORD_1 src1_sel:DWORD
	v_lshlrev_b16_e32 v68, 8, v64
	v_or_b32_sdwa v67, v67, v68 dst_sel:WORD_1 dst_unused:UNUSED_PAD src0_sel:DWORD src1_sel:DWORD
	v_perm_b32 v65, v63, v64, s99
	v_and_or_b32 v67, v63, s93, v67
	v_cndmask_b32_e64 v63, v63, v67, s[42:43]
	v_perm_b32 v67, 0, v63, s96
	v_cndmask_b32_e64 v64, v64, v65, s[42:43]
	v_and_or_b32 v67, v63, s90, v67
	v_perm_b32 v65, v64, v64, s98
	v_cndmask_b32_e64 v63, v63, v67, s[46:47]
	v_cndmask_b32_e64 v64, v64, v65, s[44:45]
	v_lshrrev_b32_e32 v65, 16, v63
	v_perm_b32 v65, 0, v65, s96
	v_lshlrev_b32_e32 v65, 16, v65
	v_and_or_b32 v65, v63, s93, v65
	v_cndmask_b32_e64 v63, v63, v65, s[48:49]
	v_perm_b32 v65, v64, v64, s95
	v_cndmask_b32_e64 v64, v64, v65, s[50:51]
	v_perm_b32 v65, v64, v64, s97
	v_cndmask_b32_e64 v64, v64, v65, s[52:53]
	v_perm_b32 v65, v63, v63, s98
	v_cndmask_b32_e64 v63, v63, v65, s[54:55]
	;; [unrolled: 23-line block ×3, first 2 shown]
	v_add_u32_e32 v96, 1, v94
	v_and_b32_sdwa v64, v63, s94 dst_sel:DWORD dst_unused:UNUSED_PAD src0_sel:WORD_1 src1_sel:DWORD
	v_lshlrev_b16_e32 v68, 8, v65
	v_cndmask_b32_e64 v91, v91, v92, s[86:87]
	v_add_u32_e32 v92, 1, v93
	v_cndmask_b32_e64 v96, v96, v94, s[86:87]
	v_or_b32_sdwa v64, v64, v68 dst_sel:WORD_1 dst_unused:UNUSED_PAD src0_sel:DWORD src1_sel:DWORD
	v_cndmask_b32_e64 v92, v93, v92, s[86:87]
	v_perm_b32 v67, v63, v65, s99
	v_and_or_b32 v64, v63, s93, v64
	v_cmp_ge_i32_e64 s[18:19], v96, v15
	s_waitcnt lgkmcnt(0)
	v_cmp_lt_i16_sdwa s[0:1], sext(v86), sext(v83) src0_sel:BYTE_0 src1_sel:BYTE_0
	v_cndmask_b32_e64 v64, v63, v64, s[70:71]
	v_cndmask_b32_e64 v63, v65, v67, s[70:71]
	v_cmp_lt_i32_e64 s[16:17], v92, v16
	s_or_b64 s[0:1], s[18:19], s[0:1]
	v_perm_b32 v65, v63, v63, s98
	s_and_b64 s[16:17], s[16:17], s[0:1]
	v_cndmask_b32_e64 v65, v63, v65, s[72:73]
	v_cndmask_b32_e64 v63, v96, v92, s[16:17]
	;; [unrolled: 1-line block ×9, first 2 shown]
	s_barrier
	ds_write_b64 v2, v[64:65]
	s_waitcnt lgkmcnt(0)
	s_barrier
	ds_read_u8 v67, v63
	ds_read_u8 v63, v66
	;; [unrolled: 1-line block ×8, first 2 shown]
	v_lshlrev_b16_e32 v72, 8, v75
	v_or_b32_sdwa v71, v71, v72 dst_sel:DWORD dst_unused:UNUSED_PAD src0_sel:BYTE_0 src1_sel:DWORD
	v_lshlrev_b16_e32 v72, 8, v77
	v_cndmask_b32_e64 v76, v83, v86, s[16:17]
	v_or_b32_sdwa v72, v73, v72 dst_sel:WORD_1 dst_unused:UNUSED_PAD src0_sel:BYTE_0 src1_sel:DWORD
	v_lshlrev_b16_e32 v73, 8, v76
	v_or_b32_sdwa v72, v71, v72 dst_sel:DWORD dst_unused:UNUSED_PAD src0_sel:WORD_0 src1_sel:DWORD
	v_lshlrev_b16_e32 v71, 8, v87
	v_or_b32_sdwa v71, v81, v71 dst_sel:DWORD dst_unused:UNUSED_PAD src0_sel:BYTE_0 src1_sel:DWORD
	v_or_b32_sdwa v73, v91, v73 dst_sel:WORD_1 dst_unused:UNUSED_PAD src0_sel:BYTE_0 src1_sel:DWORD
	s_waitcnt lgkmcnt(0)
	v_or_b32_sdwa v73, v71, v73 dst_sel:DWORD dst_unused:UNUSED_PAD src0_sel:WORD_0 src1_sel:DWORD
	s_barrier
	ds_write_b64 v2, v[72:73]
	v_mov_b32_e32 v72, v35
	s_waitcnt lgkmcnt(0)
	s_barrier
	s_and_saveexec_b64 s[18:19], vcc
	s_cbranch_execz .LBB79_38
; %bb.35:                               ;   in Loop: Header=BB79_2 Depth=1
	s_mov_b64 s[20:21], 0
	v_mov_b32_e32 v72, v35
	v_mov_b32_e32 v71, v30
.LBB79_36:                              ;   Parent Loop BB79_2 Depth=1
                                        ; =>  This Inner Loop Header: Depth=2
	v_sub_u32_e32 v73, v71, v72
	v_lshrrev_b32_e32 v74, 31, v73
	v_add_u32_e32 v73, v73, v74
	v_ashrrev_i32_e32 v73, 1, v73
	v_add_u32_e32 v73, v73, v72
	v_not_b32_e32 v75, v73
	v_add_u32_e32 v74, v5, v73
	v_add3_u32 v75, v6, v75, v17
	ds_read_i8 v74, v74
	ds_read_i8 v75, v75
	v_add_u32_e32 v76, 1, v73
	s_waitcnt lgkmcnt(0)
	v_cmp_lt_i16_e64 s[16:17], v75, v74
	s_nop 1
	v_cndmask_b32_e64 v71, v71, v73, s[16:17]
	v_cndmask_b32_e64 v72, v76, v72, s[16:17]
	v_cmp_ge_i32_e64 s[16:17], v72, v71
	s_or_b64 s[20:21], s[16:17], s[20:21]
	s_andn2_b64 exec, exec, s[20:21]
	s_cbranch_execnz .LBB79_36
; %bb.37:                               ;   in Loop: Header=BB79_2 Depth=1
	s_or_b64 exec, exec, s[20:21]
.LBB79_38:                              ;   in Loop: Header=BB79_2 Depth=1
	s_or_b64 exec, exec, s[18:19]
	v_add_u32_e32 v71, v72, v5
	v_sub_u32_e32 v72, v28, v72
	ds_read_u8 v73, v71
	ds_read_u8 v74, v72
	v_cmp_le_i32_e64 s[18:19], v17, v71
	v_cmp_gt_i32_e64 s[16:17], v18, v72
                                        ; implicit-def: $vgpr75
	s_waitcnt lgkmcnt(1)
	v_bfe_i32 v73, v73, 0, 8
	s_waitcnt lgkmcnt(0)
	v_bfe_i32 v74, v74, 0, 8
	v_cmp_lt_i16_e64 s[20:21], v74, v73
	s_or_b64 s[0:1], s[18:19], s[20:21]
	s_and_b64 s[16:17], s[16:17], s[0:1]
	s_xor_b64 s[0:1], s[16:17], -1
	s_and_saveexec_b64 s[18:19], s[0:1]
	s_xor_b64 s[18:19], exec, s[18:19]
	s_cbranch_execz .LBB79_40
; %bb.39:                               ;   in Loop: Header=BB79_2 Depth=1
	ds_read_u8 v75, v71 offset:1
.LBB79_40:                              ;   in Loop: Header=BB79_2 Depth=1
	s_or_saveexec_b64 s[18:19], s[18:19]
	v_mov_b32_e32 v76, v74
	s_xor_b64 exec, exec, s[18:19]
	s_cbranch_execz .LBB79_42
; %bb.41:                               ;   in Loop: Header=BB79_2 Depth=1
	ds_read_u8 v76, v72 offset:1
	s_waitcnt lgkmcnt(1)
	v_mov_b32_e32 v75, v73
.LBB79_42:                              ;   in Loop: Header=BB79_2 Depth=1
	s_or_b64 exec, exec, s[18:19]
	v_add_u32_e32 v78, 1, v71
	v_add_u32_e32 v77, 1, v72
	v_cndmask_b32_e64 v78, v78, v71, s[16:17]
	v_cndmask_b32_e64 v77, v72, v77, s[16:17]
	v_cmp_ge_i32_e64 s[20:21], v78, v17
	s_waitcnt lgkmcnt(0)
	v_cmp_lt_i16_sdwa s[0:1], sext(v76), sext(v75) src0_sel:BYTE_0 src1_sel:BYTE_0
	v_cmp_lt_i32_e64 s[18:19], v77, v18
	s_or_b64 s[0:1], s[20:21], s[0:1]
	s_and_b64 s[18:19], s[18:19], s[0:1]
	s_xor_b64 s[0:1], s[18:19], -1
                                        ; implicit-def: $vgpr79
	s_and_saveexec_b64 s[20:21], s[0:1]
	s_xor_b64 s[20:21], exec, s[20:21]
	s_cbranch_execz .LBB79_44
; %bb.43:                               ;   in Loop: Header=BB79_2 Depth=1
	ds_read_u8 v79, v78 offset:1
.LBB79_44:                              ;   in Loop: Header=BB79_2 Depth=1
	s_or_saveexec_b64 s[20:21], s[20:21]
	v_mov_b32_e32 v80, v76
	s_xor_b64 exec, exec, s[20:21]
	s_cbranch_execz .LBB79_46
; %bb.45:                               ;   in Loop: Header=BB79_2 Depth=1
	ds_read_u8 v80, v77 offset:1
	s_waitcnt lgkmcnt(1)
	v_mov_b32_e32 v79, v75
.LBB79_46:                              ;   in Loop: Header=BB79_2 Depth=1
	s_or_b64 exec, exec, s[20:21]
	v_add_u32_e32 v82, 1, v78
	v_add_u32_e32 v81, 1, v77
	v_cndmask_b32_e64 v82, v82, v78, s[18:19]
	v_cndmask_b32_e64 v81, v77, v81, s[18:19]
	v_cmp_ge_i32_e64 s[22:23], v82, v17
	s_waitcnt lgkmcnt(0)
	v_cmp_lt_i16_sdwa s[0:1], sext(v80), sext(v79) src0_sel:BYTE_0 src1_sel:BYTE_0
	v_cmp_lt_i32_e64 s[20:21], v81, v18
	s_or_b64 s[0:1], s[22:23], s[0:1]
	s_and_b64 s[20:21], s[20:21], s[0:1]
	s_xor_b64 s[0:1], s[20:21], -1
                                        ; implicit-def: $vgpr83
	s_and_saveexec_b64 s[22:23], s[0:1]
	s_xor_b64 s[22:23], exec, s[22:23]
	s_cbranch_execz .LBB79_48
; %bb.47:                               ;   in Loop: Header=BB79_2 Depth=1
	ds_read_u8 v83, v82 offset:1
.LBB79_48:                              ;   in Loop: Header=BB79_2 Depth=1
	s_or_saveexec_b64 s[22:23], s[22:23]
	v_mov_b32_e32 v84, v80
	s_xor_b64 exec, exec, s[22:23]
	s_cbranch_execz .LBB79_50
; %bb.49:                               ;   in Loop: Header=BB79_2 Depth=1
	ds_read_u8 v84, v81 offset:1
	s_waitcnt lgkmcnt(1)
	v_mov_b32_e32 v83, v79
.LBB79_50:                              ;   in Loop: Header=BB79_2 Depth=1
	s_or_b64 exec, exec, s[22:23]
	v_add_u32_e32 v86, 1, v82
	v_add_u32_e32 v85, 1, v81
	v_cndmask_b32_e64 v86, v86, v82, s[20:21]
	v_cndmask_b32_e64 v85, v81, v85, s[20:21]
	v_cmp_ge_i32_e64 s[24:25], v86, v17
	s_waitcnt lgkmcnt(0)
	v_cmp_lt_i16_sdwa s[0:1], sext(v84), sext(v83) src0_sel:BYTE_0 src1_sel:BYTE_0
	v_cmp_lt_i32_e64 s[22:23], v85, v18
	s_or_b64 s[0:1], s[24:25], s[0:1]
	s_and_b64 s[22:23], s[22:23], s[0:1]
	s_xor_b64 s[0:1], s[22:23], -1
                                        ; implicit-def: $vgpr87
	s_and_saveexec_b64 s[24:25], s[0:1]
	s_xor_b64 s[24:25], exec, s[24:25]
	s_cbranch_execz .LBB79_52
; %bb.51:                               ;   in Loop: Header=BB79_2 Depth=1
	ds_read_u8 v87, v86 offset:1
.LBB79_52:                              ;   in Loop: Header=BB79_2 Depth=1
	s_or_saveexec_b64 s[24:25], s[24:25]
	v_mov_b32_e32 v88, v84
	s_xor_b64 exec, exec, s[24:25]
	s_cbranch_execz .LBB79_54
; %bb.53:                               ;   in Loop: Header=BB79_2 Depth=1
	ds_read_u8 v88, v85 offset:1
	s_waitcnt lgkmcnt(1)
	v_mov_b32_e32 v87, v83
.LBB79_54:                              ;   in Loop: Header=BB79_2 Depth=1
	s_or_b64 exec, exec, s[24:25]
	v_add_u32_e32 v90, 1, v86
	v_add_u32_e32 v89, 1, v85
	v_cndmask_b32_e64 v90, v90, v86, s[22:23]
	v_cndmask_b32_e64 v89, v85, v89, s[22:23]
	v_cmp_ge_i32_e64 s[26:27], v90, v17
	s_waitcnt lgkmcnt(0)
	v_cmp_lt_i16_sdwa s[0:1], sext(v88), sext(v87) src0_sel:BYTE_0 src1_sel:BYTE_0
	v_cmp_lt_i32_e64 s[24:25], v89, v18
	s_or_b64 s[0:1], s[26:27], s[0:1]
	s_and_b64 s[24:25], s[24:25], s[0:1]
	s_xor_b64 s[0:1], s[24:25], -1
                                        ; implicit-def: $vgpr91
	s_and_saveexec_b64 s[26:27], s[0:1]
	s_xor_b64 s[26:27], exec, s[26:27]
	s_cbranch_execz .LBB79_56
; %bb.55:                               ;   in Loop: Header=BB79_2 Depth=1
	ds_read_u8 v91, v90 offset:1
.LBB79_56:                              ;   in Loop: Header=BB79_2 Depth=1
	s_or_saveexec_b64 s[26:27], s[26:27]
	v_mov_b32_e32 v92, v88
	s_xor_b64 exec, exec, s[26:27]
	s_cbranch_execz .LBB79_58
; %bb.57:                               ;   in Loop: Header=BB79_2 Depth=1
	ds_read_u8 v92, v89 offset:1
	s_waitcnt lgkmcnt(1)
	v_mov_b32_e32 v91, v87
.LBB79_58:                              ;   in Loop: Header=BB79_2 Depth=1
	s_or_b64 exec, exec, s[26:27]
	v_add_u32_e32 v94, 1, v90
	v_add_u32_e32 v93, 1, v89
	v_cndmask_b32_e64 v94, v94, v90, s[24:25]
	v_cndmask_b32_e64 v93, v89, v93, s[24:25]
	v_cmp_ge_i32_e64 s[28:29], v94, v17
	s_waitcnt lgkmcnt(0)
	v_cmp_lt_i16_sdwa s[0:1], sext(v92), sext(v91) src0_sel:BYTE_0 src1_sel:BYTE_0
	v_cmp_lt_i32_e64 s[26:27], v93, v18
	s_or_b64 s[0:1], s[28:29], s[0:1]
	s_and_b64 s[26:27], s[26:27], s[0:1]
	s_xor_b64 s[0:1], s[26:27], -1
                                        ; implicit-def: $vgpr95
	s_and_saveexec_b64 s[28:29], s[0:1]
	s_xor_b64 s[28:29], exec, s[28:29]
	s_cbranch_execz .LBB79_60
; %bb.59:                               ;   in Loop: Header=BB79_2 Depth=1
	ds_read_u8 v95, v94 offset:1
.LBB79_60:                              ;   in Loop: Header=BB79_2 Depth=1
	s_or_saveexec_b64 s[28:29], s[28:29]
	v_mov_b32_e32 v96, v92
	s_xor_b64 exec, exec, s[28:29]
	s_cbranch_execz .LBB79_62
; %bb.61:                               ;   in Loop: Header=BB79_2 Depth=1
	ds_read_u8 v96, v93 offset:1
	s_waitcnt lgkmcnt(1)
	v_mov_b32_e32 v95, v91
.LBB79_62:                              ;   in Loop: Header=BB79_2 Depth=1
	s_or_b64 exec, exec, s[28:29]
	v_add_u32_e32 v99, 1, v94
	v_add_u32_e32 v97, 1, v93
	v_cndmask_b32_e64 v99, v99, v94, s[26:27]
	v_cndmask_b32_e64 v98, v93, v97, s[26:27]
	v_cmp_ge_i32_e64 s[30:31], v99, v17
	s_waitcnt lgkmcnt(0)
	v_cmp_lt_i16_sdwa s[0:1], sext(v96), sext(v95) src0_sel:BYTE_0 src1_sel:BYTE_0
	v_cmp_lt_i32_e64 s[28:29], v98, v18
	s_or_b64 s[0:1], s[30:31], s[0:1]
	s_and_b64 s[28:29], s[28:29], s[0:1]
	s_xor_b64 s[0:1], s[28:29], -1
                                        ; implicit-def: $vgpr97
	s_and_saveexec_b64 s[30:31], s[0:1]
	s_xor_b64 s[30:31], exec, s[30:31]
	s_cbranch_execz .LBB79_64
; %bb.63:                               ;   in Loop: Header=BB79_2 Depth=1
	ds_read_u8 v97, v99 offset:1
.LBB79_64:                              ;   in Loop: Header=BB79_2 Depth=1
	s_or_saveexec_b64 s[30:31], s[30:31]
	v_mov_b32_e32 v100, v96
	s_xor_b64 exec, exec, s[30:31]
	s_cbranch_execz .LBB79_66
; %bb.65:                               ;   in Loop: Header=BB79_2 Depth=1
	ds_read_u8 v100, v98 offset:1
	s_waitcnt lgkmcnt(1)
	v_mov_b32_e32 v97, v95
.LBB79_66:                              ;   in Loop: Header=BB79_2 Depth=1
	s_or_b64 exec, exec, s[30:31]
	v_add_u32_e32 v101, 1, v99
	v_cndmask_b32_e64 v95, v95, v96, s[28:29]
	v_add_u32_e32 v96, 1, v98
	v_cndmask_b32_e64 v101, v101, v99, s[28:29]
	v_cndmask_b32_e64 v96, v98, v96, s[28:29]
	;; [unrolled: 1-line block ×4, first 2 shown]
	v_cmp_ge_i32_e64 s[18:19], v101, v17
	s_waitcnt lgkmcnt(0)
	v_cmp_lt_i16_sdwa s[0:1], sext(v100), sext(v97) src0_sel:BYTE_0 src1_sel:BYTE_0
	v_lshlrev_b16_e32 v65, 8, v65
	v_cndmask_b32_e64 v73, v73, v74, s[16:17]
	v_cndmask_b32_e64 v71, v71, v72, s[16:17]
	v_cmp_lt_i32_e64 s[16:17], v96, v18
	s_or_b64 s[0:1], s[18:19], s[0:1]
	v_lshlrev_b16_e32 v70, 8, v70
	v_lshlrev_b16_e32 v67, 8, v67
	v_or_b32_sdwa v63, v63, v65 dst_sel:DWORD dst_unused:UNUSED_PAD src0_sel:BYTE_0 src1_sel:DWORD
	v_lshlrev_b16_e32 v65, 8, v66
	s_and_b64 s[16:17], s[16:17], s[0:1]
	v_or_b32_sdwa v68, v68, v70 dst_sel:DWORD dst_unused:UNUSED_PAD src0_sel:BYTE_0 src1_sel:DWORD
	v_or_b32_sdwa v67, v69, v67 dst_sel:WORD_1 dst_unused:UNUSED_PAD src0_sel:BYTE_0 src1_sel:DWORD
	v_or_b32_sdwa v64, v64, v65 dst_sel:WORD_1 dst_unused:UNUSED_PAD src0_sel:BYTE_0 src1_sel:DWORD
	v_cndmask_b32_e64 v72, v101, v96, s[16:17]
	v_or_b32_sdwa v67, v68, v67 dst_sel:DWORD dst_unused:UNUSED_PAD src0_sel:WORD_0 src1_sel:DWORD
	v_or_b32_sdwa v66, v63, v64 dst_sel:DWORD dst_unused:UNUSED_PAD src0_sel:WORD_0 src1_sel:DWORD
	v_cndmask_b32_e64 v98, v99, v98, s[28:29]
	v_cndmask_b32_e64 v91, v91, v92, s[26:27]
	;; [unrolled: 1-line block ×9, first 2 shown]
	s_barrier
	ds_write_b64 v2, v[66:67]
	s_waitcnt lgkmcnt(0)
	s_barrier
	ds_read_u8 v67, v72
	ds_read_u8 v63, v71
	;; [unrolled: 1-line block ×8, first 2 shown]
	v_lshlrev_b16_e32 v71, 8, v75
	v_lshlrev_b16_e32 v72, 8, v83
	v_cndmask_b32_e64 v74, v97, v100, s[16:17]
	v_or_b32_sdwa v71, v73, v71 dst_sel:DWORD dst_unused:UNUSED_PAD src0_sel:BYTE_0 src1_sel:DWORD
	v_or_b32_sdwa v72, v79, v72 dst_sel:WORD_1 dst_unused:UNUSED_PAD src0_sel:BYTE_0 src1_sel:DWORD
	v_lshlrev_b16_e32 v73, 8, v74
	v_or_b32_sdwa v72, v71, v72 dst_sel:DWORD dst_unused:UNUSED_PAD src0_sel:WORD_0 src1_sel:DWORD
	v_lshlrev_b16_e32 v71, 8, v91
	v_or_b32_sdwa v71, v87, v71 dst_sel:DWORD dst_unused:UNUSED_PAD src0_sel:BYTE_0 src1_sel:DWORD
	v_or_b32_sdwa v73, v95, v73 dst_sel:WORD_1 dst_unused:UNUSED_PAD src0_sel:BYTE_0 src1_sel:DWORD
	s_waitcnt lgkmcnt(0)
	v_or_b32_sdwa v73, v71, v73 dst_sel:DWORD dst_unused:UNUSED_PAD src0_sel:WORD_0 src1_sel:DWORD
	s_barrier
	ds_write_b64 v2, v[72:73]
	v_mov_b32_e32 v72, v36
	s_waitcnt lgkmcnt(0)
	s_barrier
	s_and_saveexec_b64 s[18:19], s[2:3]
	s_cbranch_execz .LBB79_70
; %bb.67:                               ;   in Loop: Header=BB79_2 Depth=1
	s_mov_b64 s[20:21], 0
	v_mov_b32_e32 v72, v36
	v_mov_b32_e32 v71, v31
.LBB79_68:                              ;   Parent Loop BB79_2 Depth=1
                                        ; =>  This Inner Loop Header: Depth=2
	v_sub_u32_e32 v73, v71, v72
	v_lshrrev_b32_e32 v74, 31, v73
	v_add_u32_e32 v73, v73, v74
	v_ashrrev_i32_e32 v73, 1, v73
	v_add_u32_e32 v73, v73, v72
	v_not_b32_e32 v75, v73
	v_add_u32_e32 v74, v7, v73
	v_add3_u32 v75, v8, v75, v19
	ds_read_i8 v74, v74
	ds_read_i8 v75, v75
	v_add_u32_e32 v76, 1, v73
	s_waitcnt lgkmcnt(0)
	v_cmp_lt_i16_e64 s[16:17], v75, v74
	s_nop 1
	v_cndmask_b32_e64 v71, v71, v73, s[16:17]
	v_cndmask_b32_e64 v72, v76, v72, s[16:17]
	v_cmp_ge_i32_e64 s[16:17], v72, v71
	s_or_b64 s[20:21], s[16:17], s[20:21]
	s_andn2_b64 exec, exec, s[20:21]
	s_cbranch_execnz .LBB79_68
; %bb.69:                               ;   in Loop: Header=BB79_2 Depth=1
	s_or_b64 exec, exec, s[20:21]
.LBB79_70:                              ;   in Loop: Header=BB79_2 Depth=1
	s_or_b64 exec, exec, s[18:19]
	v_add_u32_e32 v71, v72, v7
	v_sub_u32_e32 v72, v56, v72
	ds_read_u8 v73, v71
	ds_read_u8 v74, v72
	v_cmp_le_i32_e64 s[18:19], v19, v71
	v_cmp_gt_i32_e64 s[16:17], v20, v72
                                        ; implicit-def: $vgpr75
	s_waitcnt lgkmcnt(1)
	v_bfe_i32 v73, v73, 0, 8
	s_waitcnt lgkmcnt(0)
	v_bfe_i32 v74, v74, 0, 8
	v_cmp_lt_i16_e64 s[20:21], v74, v73
	s_or_b64 s[0:1], s[18:19], s[20:21]
	s_and_b64 s[16:17], s[16:17], s[0:1]
	s_xor_b64 s[0:1], s[16:17], -1
	s_and_saveexec_b64 s[18:19], s[0:1]
	s_xor_b64 s[18:19], exec, s[18:19]
	s_cbranch_execz .LBB79_72
; %bb.71:                               ;   in Loop: Header=BB79_2 Depth=1
	ds_read_u8 v75, v71 offset:1
.LBB79_72:                              ;   in Loop: Header=BB79_2 Depth=1
	s_or_saveexec_b64 s[18:19], s[18:19]
	v_mov_b32_e32 v76, v74
	s_xor_b64 exec, exec, s[18:19]
	s_cbranch_execz .LBB79_74
; %bb.73:                               ;   in Loop: Header=BB79_2 Depth=1
	ds_read_u8 v76, v72 offset:1
	s_waitcnt lgkmcnt(1)
	v_mov_b32_e32 v75, v73
.LBB79_74:                              ;   in Loop: Header=BB79_2 Depth=1
	s_or_b64 exec, exec, s[18:19]
	v_add_u32_e32 v78, 1, v71
	v_add_u32_e32 v77, 1, v72
	v_cndmask_b32_e64 v78, v78, v71, s[16:17]
	v_cndmask_b32_e64 v77, v72, v77, s[16:17]
	v_cmp_ge_i32_e64 s[20:21], v78, v19
	s_waitcnt lgkmcnt(0)
	v_cmp_lt_i16_sdwa s[0:1], sext(v76), sext(v75) src0_sel:BYTE_0 src1_sel:BYTE_0
	v_cmp_lt_i32_e64 s[18:19], v77, v20
	s_or_b64 s[0:1], s[20:21], s[0:1]
	s_and_b64 s[18:19], s[18:19], s[0:1]
	s_xor_b64 s[0:1], s[18:19], -1
                                        ; implicit-def: $vgpr79
	s_and_saveexec_b64 s[20:21], s[0:1]
	s_xor_b64 s[20:21], exec, s[20:21]
	s_cbranch_execz .LBB79_76
; %bb.75:                               ;   in Loop: Header=BB79_2 Depth=1
	ds_read_u8 v79, v78 offset:1
.LBB79_76:                              ;   in Loop: Header=BB79_2 Depth=1
	s_or_saveexec_b64 s[20:21], s[20:21]
	v_mov_b32_e32 v80, v76
	s_xor_b64 exec, exec, s[20:21]
	s_cbranch_execz .LBB79_78
; %bb.77:                               ;   in Loop: Header=BB79_2 Depth=1
	ds_read_u8 v80, v77 offset:1
	s_waitcnt lgkmcnt(1)
	v_mov_b32_e32 v79, v75
.LBB79_78:                              ;   in Loop: Header=BB79_2 Depth=1
	s_or_b64 exec, exec, s[20:21]
	v_add_u32_e32 v82, 1, v78
	v_add_u32_e32 v81, 1, v77
	v_cndmask_b32_e64 v82, v82, v78, s[18:19]
	v_cndmask_b32_e64 v81, v77, v81, s[18:19]
	v_cmp_ge_i32_e64 s[22:23], v82, v19
	s_waitcnt lgkmcnt(0)
	v_cmp_lt_i16_sdwa s[0:1], sext(v80), sext(v79) src0_sel:BYTE_0 src1_sel:BYTE_0
	v_cmp_lt_i32_e64 s[20:21], v81, v20
	s_or_b64 s[0:1], s[22:23], s[0:1]
	s_and_b64 s[20:21], s[20:21], s[0:1]
	s_xor_b64 s[0:1], s[20:21], -1
                                        ; implicit-def: $vgpr83
	s_and_saveexec_b64 s[22:23], s[0:1]
	s_xor_b64 s[22:23], exec, s[22:23]
	s_cbranch_execz .LBB79_80
; %bb.79:                               ;   in Loop: Header=BB79_2 Depth=1
	ds_read_u8 v83, v82 offset:1
.LBB79_80:                              ;   in Loop: Header=BB79_2 Depth=1
	s_or_saveexec_b64 s[22:23], s[22:23]
	v_mov_b32_e32 v84, v80
	s_xor_b64 exec, exec, s[22:23]
	s_cbranch_execz .LBB79_82
; %bb.81:                               ;   in Loop: Header=BB79_2 Depth=1
	ds_read_u8 v84, v81 offset:1
	s_waitcnt lgkmcnt(1)
	v_mov_b32_e32 v83, v79
.LBB79_82:                              ;   in Loop: Header=BB79_2 Depth=1
	s_or_b64 exec, exec, s[22:23]
	v_add_u32_e32 v86, 1, v82
	v_add_u32_e32 v85, 1, v81
	v_cndmask_b32_e64 v86, v86, v82, s[20:21]
	v_cndmask_b32_e64 v85, v81, v85, s[20:21]
	v_cmp_ge_i32_e64 s[24:25], v86, v19
	s_waitcnt lgkmcnt(0)
	v_cmp_lt_i16_sdwa s[0:1], sext(v84), sext(v83) src0_sel:BYTE_0 src1_sel:BYTE_0
	v_cmp_lt_i32_e64 s[22:23], v85, v20
	s_or_b64 s[0:1], s[24:25], s[0:1]
	s_and_b64 s[22:23], s[22:23], s[0:1]
	s_xor_b64 s[0:1], s[22:23], -1
                                        ; implicit-def: $vgpr87
	s_and_saveexec_b64 s[24:25], s[0:1]
	s_xor_b64 s[24:25], exec, s[24:25]
	s_cbranch_execz .LBB79_84
; %bb.83:                               ;   in Loop: Header=BB79_2 Depth=1
	ds_read_u8 v87, v86 offset:1
.LBB79_84:                              ;   in Loop: Header=BB79_2 Depth=1
	s_or_saveexec_b64 s[24:25], s[24:25]
	v_mov_b32_e32 v88, v84
	s_xor_b64 exec, exec, s[24:25]
	s_cbranch_execz .LBB79_86
; %bb.85:                               ;   in Loop: Header=BB79_2 Depth=1
	ds_read_u8 v88, v85 offset:1
	s_waitcnt lgkmcnt(1)
	v_mov_b32_e32 v87, v83
.LBB79_86:                              ;   in Loop: Header=BB79_2 Depth=1
	s_or_b64 exec, exec, s[24:25]
	v_add_u32_e32 v90, 1, v86
	v_add_u32_e32 v89, 1, v85
	v_cndmask_b32_e64 v90, v90, v86, s[22:23]
	v_cndmask_b32_e64 v89, v85, v89, s[22:23]
	v_cmp_ge_i32_e64 s[26:27], v90, v19
	s_waitcnt lgkmcnt(0)
	v_cmp_lt_i16_sdwa s[0:1], sext(v88), sext(v87) src0_sel:BYTE_0 src1_sel:BYTE_0
	v_cmp_lt_i32_e64 s[24:25], v89, v20
	s_or_b64 s[0:1], s[26:27], s[0:1]
	s_and_b64 s[24:25], s[24:25], s[0:1]
	s_xor_b64 s[0:1], s[24:25], -1
                                        ; implicit-def: $vgpr91
	s_and_saveexec_b64 s[26:27], s[0:1]
	s_xor_b64 s[26:27], exec, s[26:27]
	s_cbranch_execz .LBB79_88
; %bb.87:                               ;   in Loop: Header=BB79_2 Depth=1
	ds_read_u8 v91, v90 offset:1
.LBB79_88:                              ;   in Loop: Header=BB79_2 Depth=1
	s_or_saveexec_b64 s[26:27], s[26:27]
	v_mov_b32_e32 v92, v88
	s_xor_b64 exec, exec, s[26:27]
	s_cbranch_execz .LBB79_90
; %bb.89:                               ;   in Loop: Header=BB79_2 Depth=1
	ds_read_u8 v92, v89 offset:1
	s_waitcnt lgkmcnt(1)
	v_mov_b32_e32 v91, v87
.LBB79_90:                              ;   in Loop: Header=BB79_2 Depth=1
	s_or_b64 exec, exec, s[26:27]
	v_add_u32_e32 v94, 1, v90
	v_add_u32_e32 v93, 1, v89
	v_cndmask_b32_e64 v94, v94, v90, s[24:25]
	v_cndmask_b32_e64 v93, v89, v93, s[24:25]
	v_cmp_ge_i32_e64 s[28:29], v94, v19
	s_waitcnt lgkmcnt(0)
	v_cmp_lt_i16_sdwa s[0:1], sext(v92), sext(v91) src0_sel:BYTE_0 src1_sel:BYTE_0
	v_cmp_lt_i32_e64 s[26:27], v93, v20
	s_or_b64 s[0:1], s[28:29], s[0:1]
	s_and_b64 s[26:27], s[26:27], s[0:1]
	s_xor_b64 s[0:1], s[26:27], -1
                                        ; implicit-def: $vgpr95
	s_and_saveexec_b64 s[28:29], s[0:1]
	s_xor_b64 s[28:29], exec, s[28:29]
	s_cbranch_execz .LBB79_92
; %bb.91:                               ;   in Loop: Header=BB79_2 Depth=1
	ds_read_u8 v95, v94 offset:1
.LBB79_92:                              ;   in Loop: Header=BB79_2 Depth=1
	s_or_saveexec_b64 s[28:29], s[28:29]
	v_mov_b32_e32 v96, v92
	s_xor_b64 exec, exec, s[28:29]
	s_cbranch_execz .LBB79_94
; %bb.93:                               ;   in Loop: Header=BB79_2 Depth=1
	ds_read_u8 v96, v93 offset:1
	s_waitcnt lgkmcnt(1)
	v_mov_b32_e32 v95, v91
.LBB79_94:                              ;   in Loop: Header=BB79_2 Depth=1
	s_or_b64 exec, exec, s[28:29]
	v_add_u32_e32 v99, 1, v94
	v_add_u32_e32 v97, 1, v93
	v_cndmask_b32_e64 v99, v99, v94, s[26:27]
	v_cndmask_b32_e64 v98, v93, v97, s[26:27]
	v_cmp_ge_i32_e64 s[30:31], v99, v19
	s_waitcnt lgkmcnt(0)
	v_cmp_lt_i16_sdwa s[0:1], sext(v96), sext(v95) src0_sel:BYTE_0 src1_sel:BYTE_0
	v_cmp_lt_i32_e64 s[28:29], v98, v20
	s_or_b64 s[0:1], s[30:31], s[0:1]
	s_and_b64 s[28:29], s[28:29], s[0:1]
	s_xor_b64 s[0:1], s[28:29], -1
                                        ; implicit-def: $vgpr97
	s_and_saveexec_b64 s[30:31], s[0:1]
	s_xor_b64 s[30:31], exec, s[30:31]
	s_cbranch_execz .LBB79_96
; %bb.95:                               ;   in Loop: Header=BB79_2 Depth=1
	ds_read_u8 v97, v99 offset:1
.LBB79_96:                              ;   in Loop: Header=BB79_2 Depth=1
	s_or_saveexec_b64 s[30:31], s[30:31]
	v_mov_b32_e32 v100, v96
	s_xor_b64 exec, exec, s[30:31]
	s_cbranch_execz .LBB79_98
; %bb.97:                               ;   in Loop: Header=BB79_2 Depth=1
	ds_read_u8 v100, v98 offset:1
	s_waitcnt lgkmcnt(1)
	v_mov_b32_e32 v97, v95
.LBB79_98:                              ;   in Loop: Header=BB79_2 Depth=1
	s_or_b64 exec, exec, s[30:31]
	v_add_u32_e32 v101, 1, v99
	v_cndmask_b32_e64 v95, v95, v96, s[28:29]
	v_add_u32_e32 v96, 1, v98
	v_cndmask_b32_e64 v101, v101, v99, s[28:29]
	v_cndmask_b32_e64 v96, v98, v96, s[28:29]
	;; [unrolled: 1-line block ×4, first 2 shown]
	v_cmp_ge_i32_e64 s[18:19], v101, v19
	s_waitcnt lgkmcnt(0)
	v_cmp_lt_i16_sdwa s[0:1], sext(v100), sext(v97) src0_sel:BYTE_0 src1_sel:BYTE_0
	v_lshlrev_b16_e32 v65, 8, v65
	v_cndmask_b32_e64 v73, v73, v74, s[16:17]
	v_cndmask_b32_e64 v71, v71, v72, s[16:17]
	v_cmp_lt_i32_e64 s[16:17], v96, v20
	s_or_b64 s[0:1], s[18:19], s[0:1]
	v_lshlrev_b16_e32 v70, 8, v70
	v_lshlrev_b16_e32 v67, 8, v67
	v_or_b32_sdwa v63, v63, v65 dst_sel:DWORD dst_unused:UNUSED_PAD src0_sel:BYTE_0 src1_sel:DWORD
	v_lshlrev_b16_e32 v65, 8, v66
	s_and_b64 s[16:17], s[16:17], s[0:1]
	v_or_b32_sdwa v68, v68, v70 dst_sel:DWORD dst_unused:UNUSED_PAD src0_sel:BYTE_0 src1_sel:DWORD
	v_or_b32_sdwa v67, v69, v67 dst_sel:WORD_1 dst_unused:UNUSED_PAD src0_sel:BYTE_0 src1_sel:DWORD
	v_or_b32_sdwa v64, v64, v65 dst_sel:WORD_1 dst_unused:UNUSED_PAD src0_sel:BYTE_0 src1_sel:DWORD
	v_cndmask_b32_e64 v72, v101, v96, s[16:17]
	v_or_b32_sdwa v67, v68, v67 dst_sel:DWORD dst_unused:UNUSED_PAD src0_sel:WORD_0 src1_sel:DWORD
	v_or_b32_sdwa v66, v63, v64 dst_sel:DWORD dst_unused:UNUSED_PAD src0_sel:WORD_0 src1_sel:DWORD
	v_cndmask_b32_e64 v98, v99, v98, s[28:29]
	v_cndmask_b32_e64 v91, v91, v92, s[26:27]
	v_cndmask_b32_e64 v92, v94, v93, s[26:27]
	v_cndmask_b32_e64 v87, v87, v88, s[24:25]
	v_cndmask_b32_e64 v88, v90, v89, s[24:25]
	v_cndmask_b32_e64 v83, v83, v84, s[22:23]
	v_cndmask_b32_e64 v84, v86, v85, s[22:23]
	v_cndmask_b32_e64 v79, v79, v80, s[20:21]
	v_cndmask_b32_e64 v80, v82, v81, s[20:21]
	s_barrier
	ds_write_b64 v2, v[66:67]
	s_waitcnt lgkmcnt(0)
	s_barrier
	ds_read_u8 v67, v72
	ds_read_u8 v63, v71
	;; [unrolled: 1-line block ×8, first 2 shown]
	v_lshlrev_b16_e32 v71, 8, v75
	v_lshlrev_b16_e32 v72, 8, v83
	v_cndmask_b32_e64 v74, v97, v100, s[16:17]
	v_or_b32_sdwa v71, v73, v71 dst_sel:DWORD dst_unused:UNUSED_PAD src0_sel:BYTE_0 src1_sel:DWORD
	v_or_b32_sdwa v72, v79, v72 dst_sel:WORD_1 dst_unused:UNUSED_PAD src0_sel:BYTE_0 src1_sel:DWORD
	v_lshlrev_b16_e32 v73, 8, v74
	v_or_b32_sdwa v72, v71, v72 dst_sel:DWORD dst_unused:UNUSED_PAD src0_sel:WORD_0 src1_sel:DWORD
	v_lshlrev_b16_e32 v71, 8, v91
	v_or_b32_sdwa v71, v87, v71 dst_sel:DWORD dst_unused:UNUSED_PAD src0_sel:BYTE_0 src1_sel:DWORD
	v_or_b32_sdwa v73, v95, v73 dst_sel:WORD_1 dst_unused:UNUSED_PAD src0_sel:BYTE_0 src1_sel:DWORD
	s_waitcnt lgkmcnt(0)
	v_or_b32_sdwa v73, v71, v73 dst_sel:DWORD dst_unused:UNUSED_PAD src0_sel:WORD_0 src1_sel:DWORD
	s_barrier
	ds_write_b64 v2, v[72:73]
	v_mov_b32_e32 v72, v37
	s_waitcnt lgkmcnt(0)
	s_barrier
	s_and_saveexec_b64 s[18:19], s[4:5]
	s_cbranch_execz .LBB79_102
; %bb.99:                               ;   in Loop: Header=BB79_2 Depth=1
	s_mov_b64 s[20:21], 0
	v_mov_b32_e32 v72, v37
	v_mov_b32_e32 v71, v32
.LBB79_100:                             ;   Parent Loop BB79_2 Depth=1
                                        ; =>  This Inner Loop Header: Depth=2
	v_sub_u32_e32 v73, v71, v72
	v_lshrrev_b32_e32 v74, 31, v73
	v_add_u32_e32 v73, v73, v74
	v_ashrrev_i32_e32 v73, 1, v73
	v_add_u32_e32 v73, v73, v72
	v_not_b32_e32 v75, v73
	v_add_u32_e32 v74, v9, v73
	v_add3_u32 v75, v10, v75, v21
	ds_read_i8 v74, v74
	ds_read_i8 v75, v75
	v_add_u32_e32 v76, 1, v73
	s_waitcnt lgkmcnt(0)
	v_cmp_lt_i16_e64 s[16:17], v75, v74
	s_nop 1
	v_cndmask_b32_e64 v71, v71, v73, s[16:17]
	v_cndmask_b32_e64 v72, v76, v72, s[16:17]
	v_cmp_ge_i32_e64 s[16:17], v72, v71
	s_or_b64 s[20:21], s[16:17], s[20:21]
	s_andn2_b64 exec, exec, s[20:21]
	s_cbranch_execnz .LBB79_100
; %bb.101:                              ;   in Loop: Header=BB79_2 Depth=1
	s_or_b64 exec, exec, s[20:21]
.LBB79_102:                             ;   in Loop: Header=BB79_2 Depth=1
	s_or_b64 exec, exec, s[18:19]
	v_add_u32_e32 v71, v72, v9
	v_sub_u32_e32 v72, v57, v72
	ds_read_u8 v73, v71
	ds_read_u8 v74, v72
	v_cmp_le_i32_e64 s[18:19], v21, v71
	v_cmp_gt_i32_e64 s[16:17], v22, v72
                                        ; implicit-def: $vgpr75
	s_waitcnt lgkmcnt(1)
	v_bfe_i32 v73, v73, 0, 8
	s_waitcnt lgkmcnt(0)
	v_bfe_i32 v74, v74, 0, 8
	v_cmp_lt_i16_e64 s[20:21], v74, v73
	s_or_b64 s[0:1], s[18:19], s[20:21]
	s_and_b64 s[16:17], s[16:17], s[0:1]
	s_xor_b64 s[0:1], s[16:17], -1
	s_and_saveexec_b64 s[18:19], s[0:1]
	s_xor_b64 s[18:19], exec, s[18:19]
	s_cbranch_execz .LBB79_104
; %bb.103:                              ;   in Loop: Header=BB79_2 Depth=1
	ds_read_u8 v75, v71 offset:1
.LBB79_104:                             ;   in Loop: Header=BB79_2 Depth=1
	s_or_saveexec_b64 s[18:19], s[18:19]
	v_mov_b32_e32 v76, v74
	s_xor_b64 exec, exec, s[18:19]
	s_cbranch_execz .LBB79_106
; %bb.105:                              ;   in Loop: Header=BB79_2 Depth=1
	ds_read_u8 v76, v72 offset:1
	s_waitcnt lgkmcnt(1)
	v_mov_b32_e32 v75, v73
.LBB79_106:                             ;   in Loop: Header=BB79_2 Depth=1
	s_or_b64 exec, exec, s[18:19]
	v_add_u32_e32 v78, 1, v71
	v_add_u32_e32 v77, 1, v72
	v_cndmask_b32_e64 v78, v78, v71, s[16:17]
	v_cndmask_b32_e64 v77, v72, v77, s[16:17]
	v_cmp_ge_i32_e64 s[20:21], v78, v21
	s_waitcnt lgkmcnt(0)
	v_cmp_lt_i16_sdwa s[0:1], sext(v76), sext(v75) src0_sel:BYTE_0 src1_sel:BYTE_0
	v_cmp_lt_i32_e64 s[18:19], v77, v22
	s_or_b64 s[0:1], s[20:21], s[0:1]
	s_and_b64 s[18:19], s[18:19], s[0:1]
	s_xor_b64 s[0:1], s[18:19], -1
                                        ; implicit-def: $vgpr79
	s_and_saveexec_b64 s[20:21], s[0:1]
	s_xor_b64 s[20:21], exec, s[20:21]
	s_cbranch_execz .LBB79_108
; %bb.107:                              ;   in Loop: Header=BB79_2 Depth=1
	ds_read_u8 v79, v78 offset:1
.LBB79_108:                             ;   in Loop: Header=BB79_2 Depth=1
	s_or_saveexec_b64 s[20:21], s[20:21]
	v_mov_b32_e32 v80, v76
	s_xor_b64 exec, exec, s[20:21]
	s_cbranch_execz .LBB79_110
; %bb.109:                              ;   in Loop: Header=BB79_2 Depth=1
	ds_read_u8 v80, v77 offset:1
	s_waitcnt lgkmcnt(1)
	v_mov_b32_e32 v79, v75
.LBB79_110:                             ;   in Loop: Header=BB79_2 Depth=1
	s_or_b64 exec, exec, s[20:21]
	v_add_u32_e32 v82, 1, v78
	v_add_u32_e32 v81, 1, v77
	v_cndmask_b32_e64 v82, v82, v78, s[18:19]
	v_cndmask_b32_e64 v81, v77, v81, s[18:19]
	v_cmp_ge_i32_e64 s[22:23], v82, v21
	s_waitcnt lgkmcnt(0)
	v_cmp_lt_i16_sdwa s[0:1], sext(v80), sext(v79) src0_sel:BYTE_0 src1_sel:BYTE_0
	v_cmp_lt_i32_e64 s[20:21], v81, v22
	s_or_b64 s[0:1], s[22:23], s[0:1]
	s_and_b64 s[20:21], s[20:21], s[0:1]
	s_xor_b64 s[0:1], s[20:21], -1
                                        ; implicit-def: $vgpr83
	s_and_saveexec_b64 s[22:23], s[0:1]
	s_xor_b64 s[22:23], exec, s[22:23]
	s_cbranch_execz .LBB79_112
; %bb.111:                              ;   in Loop: Header=BB79_2 Depth=1
	ds_read_u8 v83, v82 offset:1
.LBB79_112:                             ;   in Loop: Header=BB79_2 Depth=1
	s_or_saveexec_b64 s[22:23], s[22:23]
	v_mov_b32_e32 v84, v80
	s_xor_b64 exec, exec, s[22:23]
	s_cbranch_execz .LBB79_114
; %bb.113:                              ;   in Loop: Header=BB79_2 Depth=1
	ds_read_u8 v84, v81 offset:1
	s_waitcnt lgkmcnt(1)
	v_mov_b32_e32 v83, v79
.LBB79_114:                             ;   in Loop: Header=BB79_2 Depth=1
	s_or_b64 exec, exec, s[22:23]
	v_add_u32_e32 v86, 1, v82
	v_add_u32_e32 v85, 1, v81
	v_cndmask_b32_e64 v86, v86, v82, s[20:21]
	v_cndmask_b32_e64 v85, v81, v85, s[20:21]
	v_cmp_ge_i32_e64 s[24:25], v86, v21
	s_waitcnt lgkmcnt(0)
	v_cmp_lt_i16_sdwa s[0:1], sext(v84), sext(v83) src0_sel:BYTE_0 src1_sel:BYTE_0
	v_cmp_lt_i32_e64 s[22:23], v85, v22
	s_or_b64 s[0:1], s[24:25], s[0:1]
	s_and_b64 s[22:23], s[22:23], s[0:1]
	s_xor_b64 s[0:1], s[22:23], -1
                                        ; implicit-def: $vgpr87
	s_and_saveexec_b64 s[24:25], s[0:1]
	s_xor_b64 s[24:25], exec, s[24:25]
	s_cbranch_execz .LBB79_116
; %bb.115:                              ;   in Loop: Header=BB79_2 Depth=1
	ds_read_u8 v87, v86 offset:1
.LBB79_116:                             ;   in Loop: Header=BB79_2 Depth=1
	s_or_saveexec_b64 s[24:25], s[24:25]
	v_mov_b32_e32 v88, v84
	s_xor_b64 exec, exec, s[24:25]
	s_cbranch_execz .LBB79_118
; %bb.117:                              ;   in Loop: Header=BB79_2 Depth=1
	ds_read_u8 v88, v85 offset:1
	s_waitcnt lgkmcnt(1)
	v_mov_b32_e32 v87, v83
.LBB79_118:                             ;   in Loop: Header=BB79_2 Depth=1
	s_or_b64 exec, exec, s[24:25]
	v_add_u32_e32 v90, 1, v86
	v_add_u32_e32 v89, 1, v85
	v_cndmask_b32_e64 v90, v90, v86, s[22:23]
	v_cndmask_b32_e64 v89, v85, v89, s[22:23]
	v_cmp_ge_i32_e64 s[26:27], v90, v21
	s_waitcnt lgkmcnt(0)
	v_cmp_lt_i16_sdwa s[0:1], sext(v88), sext(v87) src0_sel:BYTE_0 src1_sel:BYTE_0
	v_cmp_lt_i32_e64 s[24:25], v89, v22
	s_or_b64 s[0:1], s[26:27], s[0:1]
	s_and_b64 s[24:25], s[24:25], s[0:1]
	s_xor_b64 s[0:1], s[24:25], -1
                                        ; implicit-def: $vgpr91
	s_and_saveexec_b64 s[26:27], s[0:1]
	s_xor_b64 s[26:27], exec, s[26:27]
	s_cbranch_execz .LBB79_120
; %bb.119:                              ;   in Loop: Header=BB79_2 Depth=1
	ds_read_u8 v91, v90 offset:1
.LBB79_120:                             ;   in Loop: Header=BB79_2 Depth=1
	s_or_saveexec_b64 s[26:27], s[26:27]
	v_mov_b32_e32 v92, v88
	s_xor_b64 exec, exec, s[26:27]
	s_cbranch_execz .LBB79_122
; %bb.121:                              ;   in Loop: Header=BB79_2 Depth=1
	ds_read_u8 v92, v89 offset:1
	s_waitcnt lgkmcnt(1)
	v_mov_b32_e32 v91, v87
.LBB79_122:                             ;   in Loop: Header=BB79_2 Depth=1
	s_or_b64 exec, exec, s[26:27]
	v_add_u32_e32 v94, 1, v90
	v_add_u32_e32 v93, 1, v89
	v_cndmask_b32_e64 v94, v94, v90, s[24:25]
	v_cndmask_b32_e64 v93, v89, v93, s[24:25]
	v_cmp_ge_i32_e64 s[28:29], v94, v21
	s_waitcnt lgkmcnt(0)
	v_cmp_lt_i16_sdwa s[0:1], sext(v92), sext(v91) src0_sel:BYTE_0 src1_sel:BYTE_0
	v_cmp_lt_i32_e64 s[26:27], v93, v22
	s_or_b64 s[0:1], s[28:29], s[0:1]
	s_and_b64 s[26:27], s[26:27], s[0:1]
	s_xor_b64 s[0:1], s[26:27], -1
                                        ; implicit-def: $vgpr95
	s_and_saveexec_b64 s[28:29], s[0:1]
	s_xor_b64 s[28:29], exec, s[28:29]
	s_cbranch_execz .LBB79_124
; %bb.123:                              ;   in Loop: Header=BB79_2 Depth=1
	ds_read_u8 v95, v94 offset:1
.LBB79_124:                             ;   in Loop: Header=BB79_2 Depth=1
	s_or_saveexec_b64 s[28:29], s[28:29]
	v_mov_b32_e32 v96, v92
	s_xor_b64 exec, exec, s[28:29]
	s_cbranch_execz .LBB79_126
; %bb.125:                              ;   in Loop: Header=BB79_2 Depth=1
	ds_read_u8 v96, v93 offset:1
	s_waitcnt lgkmcnt(1)
	v_mov_b32_e32 v95, v91
.LBB79_126:                             ;   in Loop: Header=BB79_2 Depth=1
	s_or_b64 exec, exec, s[28:29]
	v_add_u32_e32 v99, 1, v94
	v_add_u32_e32 v97, 1, v93
	v_cndmask_b32_e64 v99, v99, v94, s[26:27]
	v_cndmask_b32_e64 v98, v93, v97, s[26:27]
	v_cmp_ge_i32_e64 s[30:31], v99, v21
	s_waitcnt lgkmcnt(0)
	v_cmp_lt_i16_sdwa s[0:1], sext(v96), sext(v95) src0_sel:BYTE_0 src1_sel:BYTE_0
	v_cmp_lt_i32_e64 s[28:29], v98, v22
	s_or_b64 s[0:1], s[30:31], s[0:1]
	s_and_b64 s[28:29], s[28:29], s[0:1]
	s_xor_b64 s[0:1], s[28:29], -1
                                        ; implicit-def: $vgpr97
	s_and_saveexec_b64 s[30:31], s[0:1]
	s_xor_b64 s[30:31], exec, s[30:31]
	s_cbranch_execz .LBB79_128
; %bb.127:                              ;   in Loop: Header=BB79_2 Depth=1
	ds_read_u8 v97, v99 offset:1
.LBB79_128:                             ;   in Loop: Header=BB79_2 Depth=1
	s_or_saveexec_b64 s[30:31], s[30:31]
	v_mov_b32_e32 v100, v96
	s_xor_b64 exec, exec, s[30:31]
	s_cbranch_execz .LBB79_130
; %bb.129:                              ;   in Loop: Header=BB79_2 Depth=1
	ds_read_u8 v100, v98 offset:1
	s_waitcnt lgkmcnt(1)
	v_mov_b32_e32 v97, v95
.LBB79_130:                             ;   in Loop: Header=BB79_2 Depth=1
	s_or_b64 exec, exec, s[30:31]
	v_add_u32_e32 v101, 1, v99
	v_cndmask_b32_e64 v95, v95, v96, s[28:29]
	v_add_u32_e32 v96, 1, v98
	v_cndmask_b32_e64 v101, v101, v99, s[28:29]
	v_cndmask_b32_e64 v96, v98, v96, s[28:29]
	;; [unrolled: 1-line block ×4, first 2 shown]
	v_cmp_ge_i32_e64 s[18:19], v101, v21
	s_waitcnt lgkmcnt(0)
	v_cmp_lt_i16_sdwa s[0:1], sext(v100), sext(v97) src0_sel:BYTE_0 src1_sel:BYTE_0
	v_lshlrev_b16_e32 v65, 8, v65
	v_cndmask_b32_e64 v73, v73, v74, s[16:17]
	v_cndmask_b32_e64 v71, v71, v72, s[16:17]
	v_cmp_lt_i32_e64 s[16:17], v96, v22
	s_or_b64 s[0:1], s[18:19], s[0:1]
	v_lshlrev_b16_e32 v70, 8, v70
	v_lshlrev_b16_e32 v67, 8, v67
	v_or_b32_sdwa v63, v63, v65 dst_sel:DWORD dst_unused:UNUSED_PAD src0_sel:BYTE_0 src1_sel:DWORD
	v_lshlrev_b16_e32 v65, 8, v66
	s_and_b64 s[16:17], s[16:17], s[0:1]
	v_or_b32_sdwa v68, v68, v70 dst_sel:DWORD dst_unused:UNUSED_PAD src0_sel:BYTE_0 src1_sel:DWORD
	v_or_b32_sdwa v67, v69, v67 dst_sel:WORD_1 dst_unused:UNUSED_PAD src0_sel:BYTE_0 src1_sel:DWORD
	v_or_b32_sdwa v64, v64, v65 dst_sel:WORD_1 dst_unused:UNUSED_PAD src0_sel:BYTE_0 src1_sel:DWORD
	v_cndmask_b32_e64 v72, v101, v96, s[16:17]
	v_or_b32_sdwa v67, v68, v67 dst_sel:DWORD dst_unused:UNUSED_PAD src0_sel:WORD_0 src1_sel:DWORD
	v_or_b32_sdwa v66, v63, v64 dst_sel:DWORD dst_unused:UNUSED_PAD src0_sel:WORD_0 src1_sel:DWORD
	v_cndmask_b32_e64 v98, v99, v98, s[28:29]
	v_cndmask_b32_e64 v91, v91, v92, s[26:27]
	;; [unrolled: 1-line block ×9, first 2 shown]
	s_barrier
	ds_write_b64 v2, v[66:67]
	s_waitcnt lgkmcnt(0)
	s_barrier
	ds_read_u8 v67, v72
	ds_read_u8 v63, v71
	;; [unrolled: 1-line block ×8, first 2 shown]
	v_lshlrev_b16_e32 v71, 8, v75
	v_lshlrev_b16_e32 v72, 8, v83
	v_cndmask_b32_e64 v74, v97, v100, s[16:17]
	v_or_b32_sdwa v71, v73, v71 dst_sel:DWORD dst_unused:UNUSED_PAD src0_sel:BYTE_0 src1_sel:DWORD
	v_or_b32_sdwa v72, v79, v72 dst_sel:WORD_1 dst_unused:UNUSED_PAD src0_sel:BYTE_0 src1_sel:DWORD
	v_lshlrev_b16_e32 v73, 8, v74
	v_or_b32_sdwa v72, v71, v72 dst_sel:DWORD dst_unused:UNUSED_PAD src0_sel:WORD_0 src1_sel:DWORD
	v_lshlrev_b16_e32 v71, 8, v91
	v_or_b32_sdwa v71, v87, v71 dst_sel:DWORD dst_unused:UNUSED_PAD src0_sel:BYTE_0 src1_sel:DWORD
	v_or_b32_sdwa v73, v95, v73 dst_sel:WORD_1 dst_unused:UNUSED_PAD src0_sel:BYTE_0 src1_sel:DWORD
	s_waitcnt lgkmcnt(0)
	v_or_b32_sdwa v73, v71, v73 dst_sel:DWORD dst_unused:UNUSED_PAD src0_sel:WORD_0 src1_sel:DWORD
	s_barrier
	ds_write_b64 v2, v[72:73]
	v_mov_b32_e32 v72, v38
	s_waitcnt lgkmcnt(0)
	s_barrier
	s_and_saveexec_b64 s[18:19], s[6:7]
	s_cbranch_execz .LBB79_134
; %bb.131:                              ;   in Loop: Header=BB79_2 Depth=1
	s_mov_b64 s[20:21], 0
	v_mov_b32_e32 v72, v38
	v_mov_b32_e32 v71, v33
.LBB79_132:                             ;   Parent Loop BB79_2 Depth=1
                                        ; =>  This Inner Loop Header: Depth=2
	v_sub_u32_e32 v73, v71, v72
	v_lshrrev_b32_e32 v74, 31, v73
	v_add_u32_e32 v73, v73, v74
	v_ashrrev_i32_e32 v73, 1, v73
	v_add_u32_e32 v73, v73, v72
	v_not_b32_e32 v75, v73
	v_add_u32_e32 v74, v11, v73
	v_add3_u32 v75, v12, v75, v23
	ds_read_i8 v74, v74
	ds_read_i8 v75, v75
	v_add_u32_e32 v76, 1, v73
	s_waitcnt lgkmcnt(0)
	v_cmp_lt_i16_e64 s[16:17], v75, v74
	s_nop 1
	v_cndmask_b32_e64 v71, v71, v73, s[16:17]
	v_cndmask_b32_e64 v72, v76, v72, s[16:17]
	v_cmp_ge_i32_e64 s[16:17], v72, v71
	s_or_b64 s[20:21], s[16:17], s[20:21]
	s_andn2_b64 exec, exec, s[20:21]
	s_cbranch_execnz .LBB79_132
; %bb.133:                              ;   in Loop: Header=BB79_2 Depth=1
	s_or_b64 exec, exec, s[20:21]
.LBB79_134:                             ;   in Loop: Header=BB79_2 Depth=1
	s_or_b64 exec, exec, s[18:19]
	v_add_u32_e32 v71, v72, v11
	v_sub_u32_e32 v72, v58, v72
	ds_read_u8 v73, v71
	ds_read_u8 v74, v72
	v_cmp_le_i32_e64 s[18:19], v23, v71
	v_cmp_gt_i32_e64 s[16:17], v24, v72
                                        ; implicit-def: $vgpr75
	s_waitcnt lgkmcnt(1)
	v_bfe_i32 v73, v73, 0, 8
	s_waitcnt lgkmcnt(0)
	v_bfe_i32 v74, v74, 0, 8
	v_cmp_lt_i16_e64 s[20:21], v74, v73
	s_or_b64 s[0:1], s[18:19], s[20:21]
	s_and_b64 s[16:17], s[16:17], s[0:1]
	s_xor_b64 s[0:1], s[16:17], -1
	s_and_saveexec_b64 s[18:19], s[0:1]
	s_xor_b64 s[18:19], exec, s[18:19]
	s_cbranch_execz .LBB79_136
; %bb.135:                              ;   in Loop: Header=BB79_2 Depth=1
	ds_read_u8 v75, v71 offset:1
.LBB79_136:                             ;   in Loop: Header=BB79_2 Depth=1
	s_or_saveexec_b64 s[18:19], s[18:19]
	v_mov_b32_e32 v76, v74
	s_xor_b64 exec, exec, s[18:19]
	s_cbranch_execz .LBB79_138
; %bb.137:                              ;   in Loop: Header=BB79_2 Depth=1
	ds_read_u8 v76, v72 offset:1
	s_waitcnt lgkmcnt(1)
	v_mov_b32_e32 v75, v73
.LBB79_138:                             ;   in Loop: Header=BB79_2 Depth=1
	s_or_b64 exec, exec, s[18:19]
	v_add_u32_e32 v78, 1, v71
	v_add_u32_e32 v77, 1, v72
	v_cndmask_b32_e64 v78, v78, v71, s[16:17]
	v_cndmask_b32_e64 v77, v72, v77, s[16:17]
	v_cmp_ge_i32_e64 s[20:21], v78, v23
	s_waitcnt lgkmcnt(0)
	v_cmp_lt_i16_sdwa s[0:1], sext(v76), sext(v75) src0_sel:BYTE_0 src1_sel:BYTE_0
	v_cmp_lt_i32_e64 s[18:19], v77, v24
	s_or_b64 s[0:1], s[20:21], s[0:1]
	s_and_b64 s[18:19], s[18:19], s[0:1]
	s_xor_b64 s[0:1], s[18:19], -1
                                        ; implicit-def: $vgpr79
	s_and_saveexec_b64 s[20:21], s[0:1]
	s_xor_b64 s[20:21], exec, s[20:21]
	s_cbranch_execz .LBB79_140
; %bb.139:                              ;   in Loop: Header=BB79_2 Depth=1
	ds_read_u8 v79, v78 offset:1
.LBB79_140:                             ;   in Loop: Header=BB79_2 Depth=1
	s_or_saveexec_b64 s[20:21], s[20:21]
	v_mov_b32_e32 v80, v76
	s_xor_b64 exec, exec, s[20:21]
	s_cbranch_execz .LBB79_142
; %bb.141:                              ;   in Loop: Header=BB79_2 Depth=1
	ds_read_u8 v80, v77 offset:1
	s_waitcnt lgkmcnt(1)
	v_mov_b32_e32 v79, v75
.LBB79_142:                             ;   in Loop: Header=BB79_2 Depth=1
	s_or_b64 exec, exec, s[20:21]
	v_add_u32_e32 v82, 1, v78
	v_add_u32_e32 v81, 1, v77
	v_cndmask_b32_e64 v82, v82, v78, s[18:19]
	v_cndmask_b32_e64 v81, v77, v81, s[18:19]
	v_cmp_ge_i32_e64 s[22:23], v82, v23
	s_waitcnt lgkmcnt(0)
	v_cmp_lt_i16_sdwa s[0:1], sext(v80), sext(v79) src0_sel:BYTE_0 src1_sel:BYTE_0
	v_cmp_lt_i32_e64 s[20:21], v81, v24
	s_or_b64 s[0:1], s[22:23], s[0:1]
	s_and_b64 s[20:21], s[20:21], s[0:1]
	s_xor_b64 s[0:1], s[20:21], -1
                                        ; implicit-def: $vgpr83
	s_and_saveexec_b64 s[22:23], s[0:1]
	s_xor_b64 s[22:23], exec, s[22:23]
	s_cbranch_execz .LBB79_144
; %bb.143:                              ;   in Loop: Header=BB79_2 Depth=1
	ds_read_u8 v83, v82 offset:1
.LBB79_144:                             ;   in Loop: Header=BB79_2 Depth=1
	s_or_saveexec_b64 s[22:23], s[22:23]
	v_mov_b32_e32 v84, v80
	s_xor_b64 exec, exec, s[22:23]
	s_cbranch_execz .LBB79_146
; %bb.145:                              ;   in Loop: Header=BB79_2 Depth=1
	ds_read_u8 v84, v81 offset:1
	s_waitcnt lgkmcnt(1)
	v_mov_b32_e32 v83, v79
.LBB79_146:                             ;   in Loop: Header=BB79_2 Depth=1
	s_or_b64 exec, exec, s[22:23]
	v_add_u32_e32 v86, 1, v82
	v_add_u32_e32 v85, 1, v81
	v_cndmask_b32_e64 v86, v86, v82, s[20:21]
	v_cndmask_b32_e64 v85, v81, v85, s[20:21]
	v_cmp_ge_i32_e64 s[24:25], v86, v23
	s_waitcnt lgkmcnt(0)
	v_cmp_lt_i16_sdwa s[0:1], sext(v84), sext(v83) src0_sel:BYTE_0 src1_sel:BYTE_0
	v_cmp_lt_i32_e64 s[22:23], v85, v24
	s_or_b64 s[0:1], s[24:25], s[0:1]
	s_and_b64 s[22:23], s[22:23], s[0:1]
	s_xor_b64 s[0:1], s[22:23], -1
                                        ; implicit-def: $vgpr87
	s_and_saveexec_b64 s[24:25], s[0:1]
	s_xor_b64 s[24:25], exec, s[24:25]
	s_cbranch_execz .LBB79_148
; %bb.147:                              ;   in Loop: Header=BB79_2 Depth=1
	ds_read_u8 v87, v86 offset:1
.LBB79_148:                             ;   in Loop: Header=BB79_2 Depth=1
	s_or_saveexec_b64 s[24:25], s[24:25]
	v_mov_b32_e32 v88, v84
	s_xor_b64 exec, exec, s[24:25]
	s_cbranch_execz .LBB79_150
; %bb.149:                              ;   in Loop: Header=BB79_2 Depth=1
	ds_read_u8 v88, v85 offset:1
	s_waitcnt lgkmcnt(1)
	v_mov_b32_e32 v87, v83
.LBB79_150:                             ;   in Loop: Header=BB79_2 Depth=1
	s_or_b64 exec, exec, s[24:25]
	v_add_u32_e32 v90, 1, v86
	v_add_u32_e32 v89, 1, v85
	v_cndmask_b32_e64 v90, v90, v86, s[22:23]
	v_cndmask_b32_e64 v89, v85, v89, s[22:23]
	v_cmp_ge_i32_e64 s[26:27], v90, v23
	s_waitcnt lgkmcnt(0)
	v_cmp_lt_i16_sdwa s[0:1], sext(v88), sext(v87) src0_sel:BYTE_0 src1_sel:BYTE_0
	v_cmp_lt_i32_e64 s[24:25], v89, v24
	s_or_b64 s[0:1], s[26:27], s[0:1]
	s_and_b64 s[24:25], s[24:25], s[0:1]
	s_xor_b64 s[0:1], s[24:25], -1
                                        ; implicit-def: $vgpr91
	s_and_saveexec_b64 s[26:27], s[0:1]
	s_xor_b64 s[26:27], exec, s[26:27]
	s_cbranch_execz .LBB79_152
; %bb.151:                              ;   in Loop: Header=BB79_2 Depth=1
	ds_read_u8 v91, v90 offset:1
.LBB79_152:                             ;   in Loop: Header=BB79_2 Depth=1
	s_or_saveexec_b64 s[26:27], s[26:27]
	v_mov_b32_e32 v92, v88
	s_xor_b64 exec, exec, s[26:27]
	s_cbranch_execz .LBB79_154
; %bb.153:                              ;   in Loop: Header=BB79_2 Depth=1
	ds_read_u8 v92, v89 offset:1
	s_waitcnt lgkmcnt(1)
	v_mov_b32_e32 v91, v87
.LBB79_154:                             ;   in Loop: Header=BB79_2 Depth=1
	s_or_b64 exec, exec, s[26:27]
	v_add_u32_e32 v94, 1, v90
	v_add_u32_e32 v93, 1, v89
	v_cndmask_b32_e64 v94, v94, v90, s[24:25]
	v_cndmask_b32_e64 v93, v89, v93, s[24:25]
	v_cmp_ge_i32_e64 s[28:29], v94, v23
	s_waitcnt lgkmcnt(0)
	v_cmp_lt_i16_sdwa s[0:1], sext(v92), sext(v91) src0_sel:BYTE_0 src1_sel:BYTE_0
	v_cmp_lt_i32_e64 s[26:27], v93, v24
	s_or_b64 s[0:1], s[28:29], s[0:1]
	s_and_b64 s[26:27], s[26:27], s[0:1]
	s_xor_b64 s[0:1], s[26:27], -1
                                        ; implicit-def: $vgpr95
	s_and_saveexec_b64 s[28:29], s[0:1]
	s_xor_b64 s[28:29], exec, s[28:29]
	s_cbranch_execz .LBB79_156
; %bb.155:                              ;   in Loop: Header=BB79_2 Depth=1
	ds_read_u8 v95, v94 offset:1
.LBB79_156:                             ;   in Loop: Header=BB79_2 Depth=1
	s_or_saveexec_b64 s[28:29], s[28:29]
	v_mov_b32_e32 v96, v92
	s_xor_b64 exec, exec, s[28:29]
	s_cbranch_execz .LBB79_158
; %bb.157:                              ;   in Loop: Header=BB79_2 Depth=1
	ds_read_u8 v96, v93 offset:1
	s_waitcnt lgkmcnt(1)
	v_mov_b32_e32 v95, v91
.LBB79_158:                             ;   in Loop: Header=BB79_2 Depth=1
	s_or_b64 exec, exec, s[28:29]
	v_add_u32_e32 v99, 1, v94
	v_add_u32_e32 v97, 1, v93
	v_cndmask_b32_e64 v99, v99, v94, s[26:27]
	v_cndmask_b32_e64 v98, v93, v97, s[26:27]
	v_cmp_ge_i32_e64 s[30:31], v99, v23
	s_waitcnt lgkmcnt(0)
	v_cmp_lt_i16_sdwa s[0:1], sext(v96), sext(v95) src0_sel:BYTE_0 src1_sel:BYTE_0
	v_cmp_lt_i32_e64 s[28:29], v98, v24
	s_or_b64 s[0:1], s[30:31], s[0:1]
	s_and_b64 s[28:29], s[28:29], s[0:1]
	s_xor_b64 s[0:1], s[28:29], -1
                                        ; implicit-def: $vgpr97
	s_and_saveexec_b64 s[30:31], s[0:1]
	s_xor_b64 s[30:31], exec, s[30:31]
	s_cbranch_execz .LBB79_160
; %bb.159:                              ;   in Loop: Header=BB79_2 Depth=1
	ds_read_u8 v97, v99 offset:1
.LBB79_160:                             ;   in Loop: Header=BB79_2 Depth=1
	s_or_saveexec_b64 s[30:31], s[30:31]
	v_mov_b32_e32 v100, v96
	s_xor_b64 exec, exec, s[30:31]
	s_cbranch_execz .LBB79_162
; %bb.161:                              ;   in Loop: Header=BB79_2 Depth=1
	ds_read_u8 v100, v98 offset:1
	s_waitcnt lgkmcnt(1)
	v_mov_b32_e32 v97, v95
.LBB79_162:                             ;   in Loop: Header=BB79_2 Depth=1
	s_or_b64 exec, exec, s[30:31]
	v_add_u32_e32 v101, 1, v99
	v_cndmask_b32_e64 v95, v95, v96, s[28:29]
	v_add_u32_e32 v96, 1, v98
	v_cndmask_b32_e64 v101, v101, v99, s[28:29]
	v_cndmask_b32_e64 v96, v98, v96, s[28:29]
	;; [unrolled: 1-line block ×4, first 2 shown]
	v_cmp_ge_i32_e64 s[18:19], v101, v23
	s_waitcnt lgkmcnt(0)
	v_cmp_lt_i16_sdwa s[0:1], sext(v100), sext(v97) src0_sel:BYTE_0 src1_sel:BYTE_0
	v_lshlrev_b16_e32 v65, 8, v65
	v_cndmask_b32_e64 v73, v73, v74, s[16:17]
	v_cndmask_b32_e64 v71, v71, v72, s[16:17]
	v_cmp_lt_i32_e64 s[16:17], v96, v24
	s_or_b64 s[0:1], s[18:19], s[0:1]
	v_lshlrev_b16_e32 v70, 8, v70
	v_lshlrev_b16_e32 v67, 8, v67
	v_or_b32_sdwa v63, v63, v65 dst_sel:DWORD dst_unused:UNUSED_PAD src0_sel:BYTE_0 src1_sel:DWORD
	v_lshlrev_b16_e32 v65, 8, v66
	s_and_b64 s[16:17], s[16:17], s[0:1]
	v_or_b32_sdwa v68, v68, v70 dst_sel:DWORD dst_unused:UNUSED_PAD src0_sel:BYTE_0 src1_sel:DWORD
	v_or_b32_sdwa v67, v69, v67 dst_sel:WORD_1 dst_unused:UNUSED_PAD src0_sel:BYTE_0 src1_sel:DWORD
	v_or_b32_sdwa v64, v64, v65 dst_sel:WORD_1 dst_unused:UNUSED_PAD src0_sel:BYTE_0 src1_sel:DWORD
	v_cndmask_b32_e64 v72, v101, v96, s[16:17]
	v_or_b32_sdwa v67, v68, v67 dst_sel:DWORD dst_unused:UNUSED_PAD src0_sel:WORD_0 src1_sel:DWORD
	v_or_b32_sdwa v66, v63, v64 dst_sel:DWORD dst_unused:UNUSED_PAD src0_sel:WORD_0 src1_sel:DWORD
	v_cndmask_b32_e64 v98, v99, v98, s[28:29]
	v_cndmask_b32_e64 v91, v91, v92, s[26:27]
	;; [unrolled: 1-line block ×9, first 2 shown]
	s_barrier
	ds_write_b64 v2, v[66:67]
	s_waitcnt lgkmcnt(0)
	s_barrier
	ds_read_u8 v67, v72
	ds_read_u8 v63, v71
	;; [unrolled: 1-line block ×8, first 2 shown]
	v_lshlrev_b16_e32 v71, 8, v75
	v_lshlrev_b16_e32 v72, 8, v83
	v_cndmask_b32_e64 v74, v97, v100, s[16:17]
	v_or_b32_sdwa v71, v73, v71 dst_sel:DWORD dst_unused:UNUSED_PAD src0_sel:BYTE_0 src1_sel:DWORD
	v_or_b32_sdwa v72, v79, v72 dst_sel:WORD_1 dst_unused:UNUSED_PAD src0_sel:BYTE_0 src1_sel:DWORD
	v_lshlrev_b16_e32 v73, 8, v74
	v_or_b32_sdwa v72, v71, v72 dst_sel:DWORD dst_unused:UNUSED_PAD src0_sel:WORD_0 src1_sel:DWORD
	v_lshlrev_b16_e32 v71, 8, v91
	v_or_b32_sdwa v71, v87, v71 dst_sel:DWORD dst_unused:UNUSED_PAD src0_sel:BYTE_0 src1_sel:DWORD
	v_or_b32_sdwa v73, v95, v73 dst_sel:WORD_1 dst_unused:UNUSED_PAD src0_sel:BYTE_0 src1_sel:DWORD
	s_waitcnt lgkmcnt(0)
	v_or_b32_sdwa v73, v71, v73 dst_sel:DWORD dst_unused:UNUSED_PAD src0_sel:WORD_0 src1_sel:DWORD
	s_barrier
	ds_write_b64 v2, v[72:73]
	v_mov_b32_e32 v72, v39
	s_waitcnt lgkmcnt(0)
	s_barrier
	s_and_saveexec_b64 s[18:19], s[8:9]
	s_cbranch_execz .LBB79_166
; %bb.163:                              ;   in Loop: Header=BB79_2 Depth=1
	s_mov_b64 s[20:21], 0
	v_mov_b32_e32 v72, v39
	v_mov_b32_e32 v71, v40
.LBB79_164:                             ;   Parent Loop BB79_2 Depth=1
                                        ; =>  This Inner Loop Header: Depth=2
	v_sub_u32_e32 v73, v71, v72
	v_lshrrev_b32_e32 v74, 31, v73
	v_add_u32_e32 v73, v73, v74
	v_ashrrev_i32_e32 v73, 1, v73
	v_add_u32_e32 v73, v73, v72
	v_not_b32_e32 v75, v73
	v_add_u32_e32 v74, v13, v73
	v_add3_u32 v75, v14, v75, v25
	ds_read_i8 v74, v74
	ds_read_i8 v75, v75
	v_add_u32_e32 v76, 1, v73
	s_waitcnt lgkmcnt(0)
	v_cmp_lt_i16_e64 s[16:17], v75, v74
	s_nop 1
	v_cndmask_b32_e64 v71, v71, v73, s[16:17]
	v_cndmask_b32_e64 v72, v76, v72, s[16:17]
	v_cmp_ge_i32_e64 s[16:17], v72, v71
	s_or_b64 s[20:21], s[16:17], s[20:21]
	s_andn2_b64 exec, exec, s[20:21]
	s_cbranch_execnz .LBB79_164
; %bb.165:                              ;   in Loop: Header=BB79_2 Depth=1
	s_or_b64 exec, exec, s[20:21]
.LBB79_166:                             ;   in Loop: Header=BB79_2 Depth=1
	s_or_b64 exec, exec, s[18:19]
	v_add_u32_e32 v71, v72, v13
	v_sub_u32_e32 v72, v59, v72
	ds_read_u8 v73, v71
	ds_read_u8 v74, v72
	v_cmp_le_i32_e64 s[18:19], v25, v71
	v_cmp_gt_i32_e64 s[16:17], v26, v72
                                        ; implicit-def: $vgpr75
	s_waitcnt lgkmcnt(1)
	v_bfe_i32 v73, v73, 0, 8
	s_waitcnt lgkmcnt(0)
	v_bfe_i32 v74, v74, 0, 8
	v_cmp_lt_i16_e64 s[20:21], v74, v73
	s_or_b64 s[0:1], s[18:19], s[20:21]
	s_and_b64 s[16:17], s[16:17], s[0:1]
	s_xor_b64 s[0:1], s[16:17], -1
	s_and_saveexec_b64 s[18:19], s[0:1]
	s_xor_b64 s[18:19], exec, s[18:19]
	s_cbranch_execz .LBB79_168
; %bb.167:                              ;   in Loop: Header=BB79_2 Depth=1
	ds_read_u8 v75, v71 offset:1
.LBB79_168:                             ;   in Loop: Header=BB79_2 Depth=1
	s_or_saveexec_b64 s[18:19], s[18:19]
	v_mov_b32_e32 v76, v74
	s_xor_b64 exec, exec, s[18:19]
	s_cbranch_execz .LBB79_170
; %bb.169:                              ;   in Loop: Header=BB79_2 Depth=1
	ds_read_u8 v76, v72 offset:1
	s_waitcnt lgkmcnt(1)
	v_mov_b32_e32 v75, v73
.LBB79_170:                             ;   in Loop: Header=BB79_2 Depth=1
	s_or_b64 exec, exec, s[18:19]
	v_add_u32_e32 v78, 1, v71
	v_add_u32_e32 v77, 1, v72
	v_cndmask_b32_e64 v78, v78, v71, s[16:17]
	v_cndmask_b32_e64 v77, v72, v77, s[16:17]
	v_cmp_ge_i32_e64 s[20:21], v78, v25
	s_waitcnt lgkmcnt(0)
	v_cmp_lt_i16_sdwa s[0:1], sext(v76), sext(v75) src0_sel:BYTE_0 src1_sel:BYTE_0
	v_cmp_lt_i32_e64 s[18:19], v77, v26
	s_or_b64 s[0:1], s[20:21], s[0:1]
	s_and_b64 s[18:19], s[18:19], s[0:1]
	s_xor_b64 s[0:1], s[18:19], -1
                                        ; implicit-def: $vgpr79
	s_and_saveexec_b64 s[20:21], s[0:1]
	s_xor_b64 s[20:21], exec, s[20:21]
	s_cbranch_execz .LBB79_172
; %bb.171:                              ;   in Loop: Header=BB79_2 Depth=1
	ds_read_u8 v79, v78 offset:1
.LBB79_172:                             ;   in Loop: Header=BB79_2 Depth=1
	s_or_saveexec_b64 s[20:21], s[20:21]
	v_mov_b32_e32 v80, v76
	s_xor_b64 exec, exec, s[20:21]
	s_cbranch_execz .LBB79_174
; %bb.173:                              ;   in Loop: Header=BB79_2 Depth=1
	ds_read_u8 v80, v77 offset:1
	s_waitcnt lgkmcnt(1)
	v_mov_b32_e32 v79, v75
.LBB79_174:                             ;   in Loop: Header=BB79_2 Depth=1
	s_or_b64 exec, exec, s[20:21]
	v_add_u32_e32 v82, 1, v78
	v_add_u32_e32 v81, 1, v77
	v_cndmask_b32_e64 v82, v82, v78, s[18:19]
	v_cndmask_b32_e64 v81, v77, v81, s[18:19]
	v_cmp_ge_i32_e64 s[22:23], v82, v25
	s_waitcnt lgkmcnt(0)
	v_cmp_lt_i16_sdwa s[0:1], sext(v80), sext(v79) src0_sel:BYTE_0 src1_sel:BYTE_0
	v_cmp_lt_i32_e64 s[20:21], v81, v26
	s_or_b64 s[0:1], s[22:23], s[0:1]
	s_and_b64 s[20:21], s[20:21], s[0:1]
	s_xor_b64 s[0:1], s[20:21], -1
                                        ; implicit-def: $vgpr83
	s_and_saveexec_b64 s[22:23], s[0:1]
	s_xor_b64 s[22:23], exec, s[22:23]
	s_cbranch_execz .LBB79_176
; %bb.175:                              ;   in Loop: Header=BB79_2 Depth=1
	ds_read_u8 v83, v82 offset:1
.LBB79_176:                             ;   in Loop: Header=BB79_2 Depth=1
	s_or_saveexec_b64 s[22:23], s[22:23]
	v_mov_b32_e32 v84, v80
	s_xor_b64 exec, exec, s[22:23]
	s_cbranch_execz .LBB79_178
; %bb.177:                              ;   in Loop: Header=BB79_2 Depth=1
	ds_read_u8 v84, v81 offset:1
	s_waitcnt lgkmcnt(1)
	v_mov_b32_e32 v83, v79
.LBB79_178:                             ;   in Loop: Header=BB79_2 Depth=1
	s_or_b64 exec, exec, s[22:23]
	v_add_u32_e32 v86, 1, v82
	v_add_u32_e32 v85, 1, v81
	v_cndmask_b32_e64 v86, v86, v82, s[20:21]
	v_cndmask_b32_e64 v85, v81, v85, s[20:21]
	v_cmp_ge_i32_e64 s[24:25], v86, v25
	s_waitcnt lgkmcnt(0)
	v_cmp_lt_i16_sdwa s[0:1], sext(v84), sext(v83) src0_sel:BYTE_0 src1_sel:BYTE_0
	v_cmp_lt_i32_e64 s[22:23], v85, v26
	s_or_b64 s[0:1], s[24:25], s[0:1]
	s_and_b64 s[22:23], s[22:23], s[0:1]
	s_xor_b64 s[0:1], s[22:23], -1
                                        ; implicit-def: $vgpr87
	s_and_saveexec_b64 s[24:25], s[0:1]
	s_xor_b64 s[24:25], exec, s[24:25]
	s_cbranch_execz .LBB79_180
; %bb.179:                              ;   in Loop: Header=BB79_2 Depth=1
	ds_read_u8 v87, v86 offset:1
.LBB79_180:                             ;   in Loop: Header=BB79_2 Depth=1
	s_or_saveexec_b64 s[24:25], s[24:25]
	v_mov_b32_e32 v88, v84
	s_xor_b64 exec, exec, s[24:25]
	s_cbranch_execz .LBB79_182
; %bb.181:                              ;   in Loop: Header=BB79_2 Depth=1
	ds_read_u8 v88, v85 offset:1
	s_waitcnt lgkmcnt(1)
	v_mov_b32_e32 v87, v83
.LBB79_182:                             ;   in Loop: Header=BB79_2 Depth=1
	s_or_b64 exec, exec, s[24:25]
	v_add_u32_e32 v90, 1, v86
	v_add_u32_e32 v89, 1, v85
	v_cndmask_b32_e64 v90, v90, v86, s[22:23]
	v_cndmask_b32_e64 v89, v85, v89, s[22:23]
	v_cmp_ge_i32_e64 s[26:27], v90, v25
	s_waitcnt lgkmcnt(0)
	v_cmp_lt_i16_sdwa s[0:1], sext(v88), sext(v87) src0_sel:BYTE_0 src1_sel:BYTE_0
	v_cmp_lt_i32_e64 s[24:25], v89, v26
	s_or_b64 s[0:1], s[26:27], s[0:1]
	s_and_b64 s[24:25], s[24:25], s[0:1]
	s_xor_b64 s[0:1], s[24:25], -1
                                        ; implicit-def: $vgpr91
	s_and_saveexec_b64 s[26:27], s[0:1]
	s_xor_b64 s[26:27], exec, s[26:27]
	s_cbranch_execz .LBB79_184
; %bb.183:                              ;   in Loop: Header=BB79_2 Depth=1
	ds_read_u8 v91, v90 offset:1
.LBB79_184:                             ;   in Loop: Header=BB79_2 Depth=1
	s_or_saveexec_b64 s[26:27], s[26:27]
	v_mov_b32_e32 v92, v88
	s_xor_b64 exec, exec, s[26:27]
	s_cbranch_execz .LBB79_186
; %bb.185:                              ;   in Loop: Header=BB79_2 Depth=1
	ds_read_u8 v92, v89 offset:1
	s_waitcnt lgkmcnt(1)
	v_mov_b32_e32 v91, v87
.LBB79_186:                             ;   in Loop: Header=BB79_2 Depth=1
	s_or_b64 exec, exec, s[26:27]
	v_add_u32_e32 v94, 1, v90
	v_add_u32_e32 v93, 1, v89
	v_cndmask_b32_e64 v94, v94, v90, s[24:25]
	v_cndmask_b32_e64 v93, v89, v93, s[24:25]
	v_cmp_ge_i32_e64 s[28:29], v94, v25
	s_waitcnt lgkmcnt(0)
	v_cmp_lt_i16_sdwa s[0:1], sext(v92), sext(v91) src0_sel:BYTE_0 src1_sel:BYTE_0
	v_cmp_lt_i32_e64 s[26:27], v93, v26
	s_or_b64 s[0:1], s[28:29], s[0:1]
	s_and_b64 s[26:27], s[26:27], s[0:1]
	s_xor_b64 s[0:1], s[26:27], -1
                                        ; implicit-def: $vgpr95
	s_and_saveexec_b64 s[28:29], s[0:1]
	s_xor_b64 s[28:29], exec, s[28:29]
	s_cbranch_execz .LBB79_188
; %bb.187:                              ;   in Loop: Header=BB79_2 Depth=1
	ds_read_u8 v95, v94 offset:1
.LBB79_188:                             ;   in Loop: Header=BB79_2 Depth=1
	s_or_saveexec_b64 s[28:29], s[28:29]
	v_mov_b32_e32 v96, v92
	s_xor_b64 exec, exec, s[28:29]
	s_cbranch_execz .LBB79_190
; %bb.189:                              ;   in Loop: Header=BB79_2 Depth=1
	ds_read_u8 v96, v93 offset:1
	s_waitcnt lgkmcnt(1)
	v_mov_b32_e32 v95, v91
.LBB79_190:                             ;   in Loop: Header=BB79_2 Depth=1
	s_or_b64 exec, exec, s[28:29]
	v_add_u32_e32 v99, 1, v94
	v_add_u32_e32 v97, 1, v93
	v_cndmask_b32_e64 v99, v99, v94, s[26:27]
	v_cndmask_b32_e64 v98, v93, v97, s[26:27]
	v_cmp_ge_i32_e64 s[30:31], v99, v25
	s_waitcnt lgkmcnt(0)
	v_cmp_lt_i16_sdwa s[0:1], sext(v96), sext(v95) src0_sel:BYTE_0 src1_sel:BYTE_0
	v_cmp_lt_i32_e64 s[28:29], v98, v26
	s_or_b64 s[0:1], s[30:31], s[0:1]
	s_and_b64 s[28:29], s[28:29], s[0:1]
	s_xor_b64 s[0:1], s[28:29], -1
                                        ; implicit-def: $vgpr97
	s_and_saveexec_b64 s[30:31], s[0:1]
	s_xor_b64 s[30:31], exec, s[30:31]
	s_cbranch_execz .LBB79_192
; %bb.191:                              ;   in Loop: Header=BB79_2 Depth=1
	ds_read_u8 v97, v99 offset:1
.LBB79_192:                             ;   in Loop: Header=BB79_2 Depth=1
	s_or_saveexec_b64 s[30:31], s[30:31]
	v_mov_b32_e32 v100, v96
	s_xor_b64 exec, exec, s[30:31]
	s_cbranch_execz .LBB79_194
; %bb.193:                              ;   in Loop: Header=BB79_2 Depth=1
	ds_read_u8 v100, v98 offset:1
	s_waitcnt lgkmcnt(1)
	v_mov_b32_e32 v97, v95
.LBB79_194:                             ;   in Loop: Header=BB79_2 Depth=1
	s_or_b64 exec, exec, s[30:31]
	v_add_u32_e32 v101, 1, v99
	v_cndmask_b32_e64 v95, v95, v96, s[28:29]
	v_add_u32_e32 v96, 1, v98
	v_cndmask_b32_e64 v101, v101, v99, s[28:29]
	v_cndmask_b32_e64 v96, v98, v96, s[28:29]
	;; [unrolled: 1-line block ×4, first 2 shown]
	v_cmp_ge_i32_e64 s[18:19], v101, v25
	s_waitcnt lgkmcnt(0)
	v_cmp_lt_i16_sdwa s[0:1], sext(v100), sext(v97) src0_sel:BYTE_0 src1_sel:BYTE_0
	v_lshlrev_b16_e32 v65, 8, v65
	v_cndmask_b32_e64 v73, v73, v74, s[16:17]
	v_cndmask_b32_e64 v71, v71, v72, s[16:17]
	v_cmp_lt_i32_e64 s[16:17], v96, v26
	s_or_b64 s[0:1], s[18:19], s[0:1]
	v_lshlrev_b16_e32 v70, 8, v70
	v_lshlrev_b16_e32 v67, 8, v67
	v_or_b32_sdwa v63, v63, v65 dst_sel:DWORD dst_unused:UNUSED_PAD src0_sel:BYTE_0 src1_sel:DWORD
	v_lshlrev_b16_e32 v65, 8, v66
	s_and_b64 s[16:17], s[16:17], s[0:1]
	v_or_b32_sdwa v68, v68, v70 dst_sel:DWORD dst_unused:UNUSED_PAD src0_sel:BYTE_0 src1_sel:DWORD
	v_or_b32_sdwa v67, v69, v67 dst_sel:WORD_1 dst_unused:UNUSED_PAD src0_sel:BYTE_0 src1_sel:DWORD
	v_or_b32_sdwa v64, v64, v65 dst_sel:WORD_1 dst_unused:UNUSED_PAD src0_sel:BYTE_0 src1_sel:DWORD
	v_cndmask_b32_e64 v72, v101, v96, s[16:17]
	v_or_b32_sdwa v67, v68, v67 dst_sel:DWORD dst_unused:UNUSED_PAD src0_sel:WORD_0 src1_sel:DWORD
	v_or_b32_sdwa v66, v63, v64 dst_sel:DWORD dst_unused:UNUSED_PAD src0_sel:WORD_0 src1_sel:DWORD
	v_cndmask_b32_e64 v98, v99, v98, s[28:29]
	v_cndmask_b32_e64 v91, v91, v92, s[26:27]
	;; [unrolled: 1-line block ×9, first 2 shown]
	s_barrier
	ds_write_b64 v2, v[66:67]
	s_waitcnt lgkmcnt(0)
	s_barrier
	ds_read_u8 v67, v72
	ds_read_u8 v63, v71
	;; [unrolled: 1-line block ×8, first 2 shown]
	v_lshlrev_b16_e32 v71, 8, v75
	v_lshlrev_b16_e32 v72, 8, v83
	v_cndmask_b32_e64 v74, v97, v100, s[16:17]
	v_or_b32_sdwa v71, v73, v71 dst_sel:DWORD dst_unused:UNUSED_PAD src0_sel:BYTE_0 src1_sel:DWORD
	v_or_b32_sdwa v72, v79, v72 dst_sel:WORD_1 dst_unused:UNUSED_PAD src0_sel:BYTE_0 src1_sel:DWORD
	v_lshlrev_b16_e32 v73, 8, v74
	v_or_b32_sdwa v72, v71, v72 dst_sel:DWORD dst_unused:UNUSED_PAD src0_sel:WORD_0 src1_sel:DWORD
	v_lshlrev_b16_e32 v71, 8, v91
	v_or_b32_sdwa v71, v87, v71 dst_sel:DWORD dst_unused:UNUSED_PAD src0_sel:BYTE_0 src1_sel:DWORD
	v_or_b32_sdwa v73, v95, v73 dst_sel:WORD_1 dst_unused:UNUSED_PAD src0_sel:BYTE_0 src1_sel:DWORD
	s_waitcnt lgkmcnt(0)
	v_or_b32_sdwa v73, v71, v73 dst_sel:DWORD dst_unused:UNUSED_PAD src0_sel:WORD_0 src1_sel:DWORD
	s_barrier
	ds_write_b64 v2, v[72:73]
	v_mov_b32_e32 v72, v45
	s_waitcnt lgkmcnt(0)
	s_barrier
	s_and_saveexec_b64 s[18:19], s[10:11]
	s_cbranch_execz .LBB79_198
; %bb.195:                              ;   in Loop: Header=BB79_2 Depth=1
	s_mov_b64 s[20:21], 0
	v_mov_b32_e32 v72, v45
	v_mov_b32_e32 v71, v46
.LBB79_196:                             ;   Parent Loop BB79_2 Depth=1
                                        ; =>  This Inner Loop Header: Depth=2
	v_sub_u32_e32 v73, v71, v72
	v_lshrrev_b32_e32 v74, 31, v73
	v_add_u32_e32 v73, v73, v74
	v_ashrrev_i32_e32 v73, 1, v73
	v_add_u32_e32 v73, v73, v72
	v_not_b32_e32 v75, v73
	v_add_u32_e32 v74, v41, v73
	v_add3_u32 v75, v42, v75, v43
	ds_read_i8 v74, v74
	ds_read_i8 v75, v75
	v_add_u32_e32 v76, 1, v73
	s_waitcnt lgkmcnt(0)
	v_cmp_lt_i16_e64 s[16:17], v75, v74
	s_nop 1
	v_cndmask_b32_e64 v71, v71, v73, s[16:17]
	v_cndmask_b32_e64 v72, v76, v72, s[16:17]
	v_cmp_ge_i32_e64 s[16:17], v72, v71
	s_or_b64 s[20:21], s[16:17], s[20:21]
	s_andn2_b64 exec, exec, s[20:21]
	s_cbranch_execnz .LBB79_196
; %bb.197:                              ;   in Loop: Header=BB79_2 Depth=1
	s_or_b64 exec, exec, s[20:21]
.LBB79_198:                             ;   in Loop: Header=BB79_2 Depth=1
	s_or_b64 exec, exec, s[18:19]
	v_add_u32_e32 v71, v72, v41
	v_sub_u32_e32 v72, v60, v72
	ds_read_u8 v73, v71
	ds_read_u8 v74, v72
	v_cmp_le_i32_e64 s[18:19], v43, v71
	v_cmp_gt_i32_e64 s[16:17], v44, v72
                                        ; implicit-def: $vgpr75
	s_waitcnt lgkmcnt(1)
	v_bfe_i32 v73, v73, 0, 8
	s_waitcnt lgkmcnt(0)
	v_bfe_i32 v74, v74, 0, 8
	v_cmp_lt_i16_e64 s[20:21], v74, v73
	s_or_b64 s[0:1], s[18:19], s[20:21]
	s_and_b64 s[16:17], s[16:17], s[0:1]
	s_xor_b64 s[0:1], s[16:17], -1
	s_and_saveexec_b64 s[18:19], s[0:1]
	s_xor_b64 s[18:19], exec, s[18:19]
	s_cbranch_execz .LBB79_200
; %bb.199:                              ;   in Loop: Header=BB79_2 Depth=1
	ds_read_u8 v75, v71 offset:1
.LBB79_200:                             ;   in Loop: Header=BB79_2 Depth=1
	s_or_saveexec_b64 s[18:19], s[18:19]
	v_mov_b32_e32 v76, v74
	s_xor_b64 exec, exec, s[18:19]
	s_cbranch_execz .LBB79_202
; %bb.201:                              ;   in Loop: Header=BB79_2 Depth=1
	ds_read_u8 v76, v72 offset:1
	s_waitcnt lgkmcnt(1)
	v_mov_b32_e32 v75, v73
.LBB79_202:                             ;   in Loop: Header=BB79_2 Depth=1
	s_or_b64 exec, exec, s[18:19]
	v_add_u32_e32 v78, 1, v71
	v_add_u32_e32 v77, 1, v72
	v_cndmask_b32_e64 v78, v78, v71, s[16:17]
	v_cndmask_b32_e64 v77, v72, v77, s[16:17]
	v_cmp_ge_i32_e64 s[20:21], v78, v43
	s_waitcnt lgkmcnt(0)
	v_cmp_lt_i16_sdwa s[0:1], sext(v76), sext(v75) src0_sel:BYTE_0 src1_sel:BYTE_0
	v_cmp_lt_i32_e64 s[18:19], v77, v44
	s_or_b64 s[0:1], s[20:21], s[0:1]
	s_and_b64 s[18:19], s[18:19], s[0:1]
	s_xor_b64 s[0:1], s[18:19], -1
                                        ; implicit-def: $vgpr79
	s_and_saveexec_b64 s[20:21], s[0:1]
	s_xor_b64 s[20:21], exec, s[20:21]
	s_cbranch_execz .LBB79_204
; %bb.203:                              ;   in Loop: Header=BB79_2 Depth=1
	ds_read_u8 v79, v78 offset:1
.LBB79_204:                             ;   in Loop: Header=BB79_2 Depth=1
	s_or_saveexec_b64 s[20:21], s[20:21]
	v_mov_b32_e32 v80, v76
	s_xor_b64 exec, exec, s[20:21]
	s_cbranch_execz .LBB79_206
; %bb.205:                              ;   in Loop: Header=BB79_2 Depth=1
	ds_read_u8 v80, v77 offset:1
	s_waitcnt lgkmcnt(1)
	v_mov_b32_e32 v79, v75
.LBB79_206:                             ;   in Loop: Header=BB79_2 Depth=1
	s_or_b64 exec, exec, s[20:21]
	v_add_u32_e32 v82, 1, v78
	v_add_u32_e32 v81, 1, v77
	v_cndmask_b32_e64 v82, v82, v78, s[18:19]
	v_cndmask_b32_e64 v81, v77, v81, s[18:19]
	v_cmp_ge_i32_e64 s[22:23], v82, v43
	s_waitcnt lgkmcnt(0)
	v_cmp_lt_i16_sdwa s[0:1], sext(v80), sext(v79) src0_sel:BYTE_0 src1_sel:BYTE_0
	v_cmp_lt_i32_e64 s[20:21], v81, v44
	s_or_b64 s[0:1], s[22:23], s[0:1]
	s_and_b64 s[20:21], s[20:21], s[0:1]
	s_xor_b64 s[0:1], s[20:21], -1
                                        ; implicit-def: $vgpr83
	s_and_saveexec_b64 s[22:23], s[0:1]
	s_xor_b64 s[22:23], exec, s[22:23]
	s_cbranch_execz .LBB79_208
; %bb.207:                              ;   in Loop: Header=BB79_2 Depth=1
	ds_read_u8 v83, v82 offset:1
.LBB79_208:                             ;   in Loop: Header=BB79_2 Depth=1
	s_or_saveexec_b64 s[22:23], s[22:23]
	v_mov_b32_e32 v84, v80
	s_xor_b64 exec, exec, s[22:23]
	s_cbranch_execz .LBB79_210
; %bb.209:                              ;   in Loop: Header=BB79_2 Depth=1
	ds_read_u8 v84, v81 offset:1
	s_waitcnt lgkmcnt(1)
	v_mov_b32_e32 v83, v79
.LBB79_210:                             ;   in Loop: Header=BB79_2 Depth=1
	s_or_b64 exec, exec, s[22:23]
	v_add_u32_e32 v86, 1, v82
	v_add_u32_e32 v85, 1, v81
	v_cndmask_b32_e64 v86, v86, v82, s[20:21]
	v_cndmask_b32_e64 v85, v81, v85, s[20:21]
	v_cmp_ge_i32_e64 s[24:25], v86, v43
	s_waitcnt lgkmcnt(0)
	v_cmp_lt_i16_sdwa s[0:1], sext(v84), sext(v83) src0_sel:BYTE_0 src1_sel:BYTE_0
	v_cmp_lt_i32_e64 s[22:23], v85, v44
	s_or_b64 s[0:1], s[24:25], s[0:1]
	s_and_b64 s[22:23], s[22:23], s[0:1]
	s_xor_b64 s[0:1], s[22:23], -1
                                        ; implicit-def: $vgpr87
	s_and_saveexec_b64 s[24:25], s[0:1]
	s_xor_b64 s[24:25], exec, s[24:25]
	s_cbranch_execz .LBB79_212
; %bb.211:                              ;   in Loop: Header=BB79_2 Depth=1
	ds_read_u8 v87, v86 offset:1
.LBB79_212:                             ;   in Loop: Header=BB79_2 Depth=1
	s_or_saveexec_b64 s[24:25], s[24:25]
	v_mov_b32_e32 v88, v84
	s_xor_b64 exec, exec, s[24:25]
	s_cbranch_execz .LBB79_214
; %bb.213:                              ;   in Loop: Header=BB79_2 Depth=1
	ds_read_u8 v88, v85 offset:1
	s_waitcnt lgkmcnt(1)
	v_mov_b32_e32 v87, v83
.LBB79_214:                             ;   in Loop: Header=BB79_2 Depth=1
	s_or_b64 exec, exec, s[24:25]
	v_add_u32_e32 v90, 1, v86
	v_add_u32_e32 v89, 1, v85
	v_cndmask_b32_e64 v90, v90, v86, s[22:23]
	v_cndmask_b32_e64 v89, v85, v89, s[22:23]
	v_cmp_ge_i32_e64 s[26:27], v90, v43
	s_waitcnt lgkmcnt(0)
	v_cmp_lt_i16_sdwa s[0:1], sext(v88), sext(v87) src0_sel:BYTE_0 src1_sel:BYTE_0
	v_cmp_lt_i32_e64 s[24:25], v89, v44
	s_or_b64 s[0:1], s[26:27], s[0:1]
	s_and_b64 s[24:25], s[24:25], s[0:1]
	s_xor_b64 s[0:1], s[24:25], -1
                                        ; implicit-def: $vgpr91
	s_and_saveexec_b64 s[26:27], s[0:1]
	s_xor_b64 s[26:27], exec, s[26:27]
	s_cbranch_execz .LBB79_216
; %bb.215:                              ;   in Loop: Header=BB79_2 Depth=1
	ds_read_u8 v91, v90 offset:1
.LBB79_216:                             ;   in Loop: Header=BB79_2 Depth=1
	s_or_saveexec_b64 s[26:27], s[26:27]
	v_mov_b32_e32 v92, v88
	s_xor_b64 exec, exec, s[26:27]
	s_cbranch_execz .LBB79_218
; %bb.217:                              ;   in Loop: Header=BB79_2 Depth=1
	ds_read_u8 v92, v89 offset:1
	s_waitcnt lgkmcnt(1)
	v_mov_b32_e32 v91, v87
.LBB79_218:                             ;   in Loop: Header=BB79_2 Depth=1
	s_or_b64 exec, exec, s[26:27]
	v_add_u32_e32 v94, 1, v90
	v_add_u32_e32 v93, 1, v89
	v_cndmask_b32_e64 v94, v94, v90, s[24:25]
	v_cndmask_b32_e64 v93, v89, v93, s[24:25]
	v_cmp_ge_i32_e64 s[28:29], v94, v43
	s_waitcnt lgkmcnt(0)
	v_cmp_lt_i16_sdwa s[0:1], sext(v92), sext(v91) src0_sel:BYTE_0 src1_sel:BYTE_0
	v_cmp_lt_i32_e64 s[26:27], v93, v44
	s_or_b64 s[0:1], s[28:29], s[0:1]
	s_and_b64 s[26:27], s[26:27], s[0:1]
	s_xor_b64 s[0:1], s[26:27], -1
                                        ; implicit-def: $vgpr95
	s_and_saveexec_b64 s[28:29], s[0:1]
	s_xor_b64 s[28:29], exec, s[28:29]
	s_cbranch_execz .LBB79_220
; %bb.219:                              ;   in Loop: Header=BB79_2 Depth=1
	ds_read_u8 v95, v94 offset:1
.LBB79_220:                             ;   in Loop: Header=BB79_2 Depth=1
	s_or_saveexec_b64 s[28:29], s[28:29]
	v_mov_b32_e32 v96, v92
	s_xor_b64 exec, exec, s[28:29]
	s_cbranch_execz .LBB79_222
; %bb.221:                              ;   in Loop: Header=BB79_2 Depth=1
	ds_read_u8 v96, v93 offset:1
	s_waitcnt lgkmcnt(1)
	v_mov_b32_e32 v95, v91
.LBB79_222:                             ;   in Loop: Header=BB79_2 Depth=1
	s_or_b64 exec, exec, s[28:29]
	v_add_u32_e32 v99, 1, v94
	v_add_u32_e32 v97, 1, v93
	v_cndmask_b32_e64 v99, v99, v94, s[26:27]
	v_cndmask_b32_e64 v98, v93, v97, s[26:27]
	v_cmp_ge_i32_e64 s[30:31], v99, v43
	s_waitcnt lgkmcnt(0)
	v_cmp_lt_i16_sdwa s[0:1], sext(v96), sext(v95) src0_sel:BYTE_0 src1_sel:BYTE_0
	v_cmp_lt_i32_e64 s[28:29], v98, v44
	s_or_b64 s[0:1], s[30:31], s[0:1]
	s_and_b64 s[28:29], s[28:29], s[0:1]
	s_xor_b64 s[0:1], s[28:29], -1
                                        ; implicit-def: $vgpr97
	s_and_saveexec_b64 s[30:31], s[0:1]
	s_xor_b64 s[30:31], exec, s[30:31]
	s_cbranch_execz .LBB79_224
; %bb.223:                              ;   in Loop: Header=BB79_2 Depth=1
	ds_read_u8 v97, v99 offset:1
.LBB79_224:                             ;   in Loop: Header=BB79_2 Depth=1
	s_or_saveexec_b64 s[30:31], s[30:31]
	v_mov_b32_e32 v100, v96
	s_xor_b64 exec, exec, s[30:31]
	s_cbranch_execz .LBB79_226
; %bb.225:                              ;   in Loop: Header=BB79_2 Depth=1
	ds_read_u8 v100, v98 offset:1
	s_waitcnt lgkmcnt(1)
	v_mov_b32_e32 v97, v95
.LBB79_226:                             ;   in Loop: Header=BB79_2 Depth=1
	s_or_b64 exec, exec, s[30:31]
	v_add_u32_e32 v101, 1, v99
	v_cndmask_b32_e64 v95, v95, v96, s[28:29]
	v_add_u32_e32 v96, 1, v98
	v_cndmask_b32_e64 v101, v101, v99, s[28:29]
	v_cndmask_b32_e64 v96, v98, v96, s[28:29]
	;; [unrolled: 1-line block ×4, first 2 shown]
	v_cmp_ge_i32_e64 s[18:19], v101, v43
	s_waitcnt lgkmcnt(0)
	v_cmp_lt_i16_sdwa s[0:1], sext(v100), sext(v97) src0_sel:BYTE_0 src1_sel:BYTE_0
	v_lshlrev_b16_e32 v65, 8, v65
	v_cndmask_b32_e64 v73, v73, v74, s[16:17]
	v_cndmask_b32_e64 v71, v71, v72, s[16:17]
	v_cmp_lt_i32_e64 s[16:17], v96, v44
	s_or_b64 s[0:1], s[18:19], s[0:1]
	v_lshlrev_b16_e32 v70, 8, v70
	v_lshlrev_b16_e32 v67, 8, v67
	v_or_b32_sdwa v63, v63, v65 dst_sel:DWORD dst_unused:UNUSED_PAD src0_sel:BYTE_0 src1_sel:DWORD
	v_lshlrev_b16_e32 v65, 8, v66
	s_and_b64 s[16:17], s[16:17], s[0:1]
	v_or_b32_sdwa v68, v68, v70 dst_sel:DWORD dst_unused:UNUSED_PAD src0_sel:BYTE_0 src1_sel:DWORD
	v_or_b32_sdwa v67, v69, v67 dst_sel:WORD_1 dst_unused:UNUSED_PAD src0_sel:BYTE_0 src1_sel:DWORD
	v_or_b32_sdwa v64, v64, v65 dst_sel:WORD_1 dst_unused:UNUSED_PAD src0_sel:BYTE_0 src1_sel:DWORD
	v_cndmask_b32_e64 v72, v101, v96, s[16:17]
	v_or_b32_sdwa v67, v68, v67 dst_sel:DWORD dst_unused:UNUSED_PAD src0_sel:WORD_0 src1_sel:DWORD
	v_or_b32_sdwa v66, v63, v64 dst_sel:DWORD dst_unused:UNUSED_PAD src0_sel:WORD_0 src1_sel:DWORD
	v_cndmask_b32_e64 v98, v99, v98, s[28:29]
	v_cndmask_b32_e64 v91, v91, v92, s[26:27]
	;; [unrolled: 1-line block ×9, first 2 shown]
	s_barrier
	ds_write_b64 v2, v[66:67]
	s_waitcnt lgkmcnt(0)
	s_barrier
	ds_read_u8 v67, v72
	ds_read_u8 v63, v71
	;; [unrolled: 1-line block ×8, first 2 shown]
	v_lshlrev_b16_e32 v71, 8, v75
	v_lshlrev_b16_e32 v72, 8, v83
	v_cndmask_b32_e64 v74, v97, v100, s[16:17]
	v_or_b32_sdwa v71, v73, v71 dst_sel:DWORD dst_unused:UNUSED_PAD src0_sel:BYTE_0 src1_sel:DWORD
	v_or_b32_sdwa v72, v79, v72 dst_sel:WORD_1 dst_unused:UNUSED_PAD src0_sel:BYTE_0 src1_sel:DWORD
	v_lshlrev_b16_e32 v73, 8, v74
	v_or_b32_sdwa v72, v71, v72 dst_sel:DWORD dst_unused:UNUSED_PAD src0_sel:WORD_0 src1_sel:DWORD
	v_lshlrev_b16_e32 v71, 8, v91
	v_or_b32_sdwa v71, v87, v71 dst_sel:DWORD dst_unused:UNUSED_PAD src0_sel:BYTE_0 src1_sel:DWORD
	v_or_b32_sdwa v73, v95, v73 dst_sel:WORD_1 dst_unused:UNUSED_PAD src0_sel:BYTE_0 src1_sel:DWORD
	s_waitcnt lgkmcnt(0)
	v_or_b32_sdwa v73, v71, v73 dst_sel:DWORD dst_unused:UNUSED_PAD src0_sel:WORD_0 src1_sel:DWORD
	s_barrier
	ds_write_b64 v2, v[72:73]
	v_mov_b32_e32 v72, v52
	s_waitcnt lgkmcnt(0)
	s_barrier
	s_and_saveexec_b64 s[18:19], s[12:13]
	s_cbranch_execz .LBB79_230
; %bb.227:                              ;   in Loop: Header=BB79_2 Depth=1
	s_mov_b64 s[20:21], 0
	v_mov_b32_e32 v72, v52
	v_mov_b32_e32 v71, v53
.LBB79_228:                             ;   Parent Loop BB79_2 Depth=1
                                        ; =>  This Inner Loop Header: Depth=2
	v_sub_u32_e32 v73, v71, v72
	v_lshrrev_b32_e32 v74, 31, v73
	v_add_u32_e32 v73, v73, v74
	v_ashrrev_i32_e32 v73, 1, v73
	v_add_u32_e32 v73, v73, v72
	v_not_b32_e32 v75, v73
	v_add_u32_e32 v74, v48, v73
	v_add3_u32 v75, v49, v75, v50
	ds_read_i8 v74, v74
	ds_read_i8 v75, v75
	v_add_u32_e32 v76, 1, v73
	s_waitcnt lgkmcnt(0)
	v_cmp_lt_i16_e64 s[16:17], v75, v74
	s_nop 1
	v_cndmask_b32_e64 v71, v71, v73, s[16:17]
	v_cndmask_b32_e64 v72, v76, v72, s[16:17]
	v_cmp_ge_i32_e64 s[16:17], v72, v71
	s_or_b64 s[20:21], s[16:17], s[20:21]
	s_andn2_b64 exec, exec, s[20:21]
	s_cbranch_execnz .LBB79_228
; %bb.229:                              ;   in Loop: Header=BB79_2 Depth=1
	s_or_b64 exec, exec, s[20:21]
.LBB79_230:                             ;   in Loop: Header=BB79_2 Depth=1
	s_or_b64 exec, exec, s[18:19]
	v_add_u32_e32 v71, v72, v48
	v_sub_u32_e32 v72, v61, v72
	ds_read_u8 v73, v71
	ds_read_u8 v74, v72
	v_cmp_le_i32_e64 s[18:19], v50, v71
	v_cmp_gt_i32_e64 s[16:17], v51, v72
                                        ; implicit-def: $vgpr75
	s_waitcnt lgkmcnt(1)
	v_bfe_i32 v73, v73, 0, 8
	s_waitcnt lgkmcnt(0)
	v_bfe_i32 v74, v74, 0, 8
	v_cmp_lt_i16_e64 s[20:21], v74, v73
	s_or_b64 s[0:1], s[18:19], s[20:21]
	s_and_b64 s[16:17], s[16:17], s[0:1]
	s_xor_b64 s[0:1], s[16:17], -1
	s_and_saveexec_b64 s[18:19], s[0:1]
	s_xor_b64 s[18:19], exec, s[18:19]
	s_cbranch_execz .LBB79_232
; %bb.231:                              ;   in Loop: Header=BB79_2 Depth=1
	ds_read_u8 v75, v71 offset:1
.LBB79_232:                             ;   in Loop: Header=BB79_2 Depth=1
	s_or_saveexec_b64 s[18:19], s[18:19]
	v_mov_b32_e32 v76, v74
	s_xor_b64 exec, exec, s[18:19]
	s_cbranch_execz .LBB79_234
; %bb.233:                              ;   in Loop: Header=BB79_2 Depth=1
	ds_read_u8 v76, v72 offset:1
	s_waitcnt lgkmcnt(1)
	v_mov_b32_e32 v75, v73
.LBB79_234:                             ;   in Loop: Header=BB79_2 Depth=1
	s_or_b64 exec, exec, s[18:19]
	v_add_u32_e32 v78, 1, v71
	v_add_u32_e32 v77, 1, v72
	v_cndmask_b32_e64 v78, v78, v71, s[16:17]
	v_cndmask_b32_e64 v77, v72, v77, s[16:17]
	v_cmp_ge_i32_e64 s[20:21], v78, v50
	s_waitcnt lgkmcnt(0)
	v_cmp_lt_i16_sdwa s[0:1], sext(v76), sext(v75) src0_sel:BYTE_0 src1_sel:BYTE_0
	v_cmp_lt_i32_e64 s[18:19], v77, v51
	s_or_b64 s[0:1], s[20:21], s[0:1]
	s_and_b64 s[18:19], s[18:19], s[0:1]
	s_xor_b64 s[0:1], s[18:19], -1
                                        ; implicit-def: $vgpr79
	s_and_saveexec_b64 s[20:21], s[0:1]
	s_xor_b64 s[20:21], exec, s[20:21]
	s_cbranch_execz .LBB79_236
; %bb.235:                              ;   in Loop: Header=BB79_2 Depth=1
	ds_read_u8 v79, v78 offset:1
.LBB79_236:                             ;   in Loop: Header=BB79_2 Depth=1
	s_or_saveexec_b64 s[20:21], s[20:21]
	v_mov_b32_e32 v80, v76
	s_xor_b64 exec, exec, s[20:21]
	s_cbranch_execz .LBB79_238
; %bb.237:                              ;   in Loop: Header=BB79_2 Depth=1
	ds_read_u8 v80, v77 offset:1
	s_waitcnt lgkmcnt(1)
	v_mov_b32_e32 v79, v75
.LBB79_238:                             ;   in Loop: Header=BB79_2 Depth=1
	s_or_b64 exec, exec, s[20:21]
	v_add_u32_e32 v82, 1, v78
	v_add_u32_e32 v81, 1, v77
	v_cndmask_b32_e64 v82, v82, v78, s[18:19]
	v_cndmask_b32_e64 v81, v77, v81, s[18:19]
	v_cmp_ge_i32_e64 s[22:23], v82, v50
	s_waitcnt lgkmcnt(0)
	v_cmp_lt_i16_sdwa s[0:1], sext(v80), sext(v79) src0_sel:BYTE_0 src1_sel:BYTE_0
	v_cmp_lt_i32_e64 s[20:21], v81, v51
	s_or_b64 s[0:1], s[22:23], s[0:1]
	s_and_b64 s[20:21], s[20:21], s[0:1]
	s_xor_b64 s[0:1], s[20:21], -1
                                        ; implicit-def: $vgpr83
	s_and_saveexec_b64 s[22:23], s[0:1]
	s_xor_b64 s[22:23], exec, s[22:23]
	s_cbranch_execz .LBB79_240
; %bb.239:                              ;   in Loop: Header=BB79_2 Depth=1
	ds_read_u8 v83, v82 offset:1
.LBB79_240:                             ;   in Loop: Header=BB79_2 Depth=1
	s_or_saveexec_b64 s[22:23], s[22:23]
	v_mov_b32_e32 v84, v80
	s_xor_b64 exec, exec, s[22:23]
	s_cbranch_execz .LBB79_242
; %bb.241:                              ;   in Loop: Header=BB79_2 Depth=1
	ds_read_u8 v84, v81 offset:1
	s_waitcnt lgkmcnt(1)
	v_mov_b32_e32 v83, v79
.LBB79_242:                             ;   in Loop: Header=BB79_2 Depth=1
	s_or_b64 exec, exec, s[22:23]
	v_add_u32_e32 v86, 1, v82
	v_add_u32_e32 v85, 1, v81
	v_cndmask_b32_e64 v86, v86, v82, s[20:21]
	v_cndmask_b32_e64 v85, v81, v85, s[20:21]
	v_cmp_ge_i32_e64 s[24:25], v86, v50
	s_waitcnt lgkmcnt(0)
	v_cmp_lt_i16_sdwa s[0:1], sext(v84), sext(v83) src0_sel:BYTE_0 src1_sel:BYTE_0
	v_cmp_lt_i32_e64 s[22:23], v85, v51
	s_or_b64 s[0:1], s[24:25], s[0:1]
	s_and_b64 s[22:23], s[22:23], s[0:1]
	s_xor_b64 s[0:1], s[22:23], -1
                                        ; implicit-def: $vgpr87
	s_and_saveexec_b64 s[24:25], s[0:1]
	s_xor_b64 s[24:25], exec, s[24:25]
	s_cbranch_execz .LBB79_244
; %bb.243:                              ;   in Loop: Header=BB79_2 Depth=1
	ds_read_u8 v87, v86 offset:1
.LBB79_244:                             ;   in Loop: Header=BB79_2 Depth=1
	s_or_saveexec_b64 s[24:25], s[24:25]
	v_mov_b32_e32 v88, v84
	s_xor_b64 exec, exec, s[24:25]
	s_cbranch_execz .LBB79_246
; %bb.245:                              ;   in Loop: Header=BB79_2 Depth=1
	ds_read_u8 v88, v85 offset:1
	s_waitcnt lgkmcnt(1)
	v_mov_b32_e32 v87, v83
.LBB79_246:                             ;   in Loop: Header=BB79_2 Depth=1
	s_or_b64 exec, exec, s[24:25]
	v_add_u32_e32 v90, 1, v86
	v_add_u32_e32 v89, 1, v85
	v_cndmask_b32_e64 v90, v90, v86, s[22:23]
	v_cndmask_b32_e64 v89, v85, v89, s[22:23]
	v_cmp_ge_i32_e64 s[26:27], v90, v50
	s_waitcnt lgkmcnt(0)
	v_cmp_lt_i16_sdwa s[0:1], sext(v88), sext(v87) src0_sel:BYTE_0 src1_sel:BYTE_0
	v_cmp_lt_i32_e64 s[24:25], v89, v51
	s_or_b64 s[0:1], s[26:27], s[0:1]
	s_and_b64 s[24:25], s[24:25], s[0:1]
	s_xor_b64 s[0:1], s[24:25], -1
                                        ; implicit-def: $vgpr91
	s_and_saveexec_b64 s[26:27], s[0:1]
	s_xor_b64 s[26:27], exec, s[26:27]
	s_cbranch_execz .LBB79_248
; %bb.247:                              ;   in Loop: Header=BB79_2 Depth=1
	ds_read_u8 v91, v90 offset:1
.LBB79_248:                             ;   in Loop: Header=BB79_2 Depth=1
	s_or_saveexec_b64 s[26:27], s[26:27]
	v_mov_b32_e32 v92, v88
	s_xor_b64 exec, exec, s[26:27]
	s_cbranch_execz .LBB79_250
; %bb.249:                              ;   in Loop: Header=BB79_2 Depth=1
	ds_read_u8 v92, v89 offset:1
	s_waitcnt lgkmcnt(1)
	v_mov_b32_e32 v91, v87
.LBB79_250:                             ;   in Loop: Header=BB79_2 Depth=1
	s_or_b64 exec, exec, s[26:27]
	v_add_u32_e32 v94, 1, v90
	v_add_u32_e32 v93, 1, v89
	v_cndmask_b32_e64 v94, v94, v90, s[24:25]
	v_cndmask_b32_e64 v93, v89, v93, s[24:25]
	v_cmp_ge_i32_e64 s[28:29], v94, v50
	s_waitcnt lgkmcnt(0)
	v_cmp_lt_i16_sdwa s[0:1], sext(v92), sext(v91) src0_sel:BYTE_0 src1_sel:BYTE_0
	v_cmp_lt_i32_e64 s[26:27], v93, v51
	s_or_b64 s[0:1], s[28:29], s[0:1]
	s_and_b64 s[26:27], s[26:27], s[0:1]
	s_xor_b64 s[0:1], s[26:27], -1
                                        ; implicit-def: $vgpr95
	s_and_saveexec_b64 s[28:29], s[0:1]
	s_xor_b64 s[28:29], exec, s[28:29]
	s_cbranch_execz .LBB79_252
; %bb.251:                              ;   in Loop: Header=BB79_2 Depth=1
	ds_read_u8 v95, v94 offset:1
.LBB79_252:                             ;   in Loop: Header=BB79_2 Depth=1
	s_or_saveexec_b64 s[28:29], s[28:29]
	v_mov_b32_e32 v96, v92
	s_xor_b64 exec, exec, s[28:29]
	s_cbranch_execz .LBB79_254
; %bb.253:                              ;   in Loop: Header=BB79_2 Depth=1
	ds_read_u8 v96, v93 offset:1
	s_waitcnt lgkmcnt(1)
	v_mov_b32_e32 v95, v91
.LBB79_254:                             ;   in Loop: Header=BB79_2 Depth=1
	s_or_b64 exec, exec, s[28:29]
	v_add_u32_e32 v99, 1, v94
	v_add_u32_e32 v97, 1, v93
	v_cndmask_b32_e64 v99, v99, v94, s[26:27]
	v_cndmask_b32_e64 v98, v93, v97, s[26:27]
	v_cmp_ge_i32_e64 s[30:31], v99, v50
	s_waitcnt lgkmcnt(0)
	v_cmp_lt_i16_sdwa s[0:1], sext(v96), sext(v95) src0_sel:BYTE_0 src1_sel:BYTE_0
	v_cmp_lt_i32_e64 s[28:29], v98, v51
	s_or_b64 s[0:1], s[30:31], s[0:1]
	s_and_b64 s[28:29], s[28:29], s[0:1]
	s_xor_b64 s[0:1], s[28:29], -1
                                        ; implicit-def: $vgpr97
	s_and_saveexec_b64 s[30:31], s[0:1]
	s_xor_b64 s[30:31], exec, s[30:31]
	s_cbranch_execz .LBB79_256
; %bb.255:                              ;   in Loop: Header=BB79_2 Depth=1
	ds_read_u8 v97, v99 offset:1
.LBB79_256:                             ;   in Loop: Header=BB79_2 Depth=1
	s_or_saveexec_b64 s[30:31], s[30:31]
	v_mov_b32_e32 v100, v96
	s_xor_b64 exec, exec, s[30:31]
	s_cbranch_execz .LBB79_258
; %bb.257:                              ;   in Loop: Header=BB79_2 Depth=1
	ds_read_u8 v100, v98 offset:1
	s_waitcnt lgkmcnt(1)
	v_mov_b32_e32 v97, v95
.LBB79_258:                             ;   in Loop: Header=BB79_2 Depth=1
	s_or_b64 exec, exec, s[30:31]
	v_add_u32_e32 v101, 1, v99
	v_cndmask_b32_e64 v95, v95, v96, s[28:29]
	v_add_u32_e32 v96, 1, v98
	v_cndmask_b32_e64 v101, v101, v99, s[28:29]
	v_cndmask_b32_e64 v96, v98, v96, s[28:29]
	;; [unrolled: 1-line block ×4, first 2 shown]
	v_cmp_ge_i32_e64 s[18:19], v101, v50
	s_waitcnt lgkmcnt(0)
	v_cmp_lt_i16_sdwa s[0:1], sext(v100), sext(v97) src0_sel:BYTE_0 src1_sel:BYTE_0
	v_lshlrev_b16_e32 v65, 8, v65
	v_cndmask_b32_e64 v73, v73, v74, s[16:17]
	v_cndmask_b32_e64 v71, v71, v72, s[16:17]
	v_cmp_lt_i32_e64 s[16:17], v96, v51
	s_or_b64 s[0:1], s[18:19], s[0:1]
	v_lshlrev_b16_e32 v70, 8, v70
	v_lshlrev_b16_e32 v67, 8, v67
	v_or_b32_sdwa v63, v63, v65 dst_sel:DWORD dst_unused:UNUSED_PAD src0_sel:BYTE_0 src1_sel:DWORD
	v_lshlrev_b16_e32 v65, 8, v66
	s_and_b64 s[16:17], s[16:17], s[0:1]
	v_or_b32_sdwa v68, v68, v70 dst_sel:DWORD dst_unused:UNUSED_PAD src0_sel:BYTE_0 src1_sel:DWORD
	v_or_b32_sdwa v67, v69, v67 dst_sel:WORD_1 dst_unused:UNUSED_PAD src0_sel:BYTE_0 src1_sel:DWORD
	v_or_b32_sdwa v64, v64, v65 dst_sel:WORD_1 dst_unused:UNUSED_PAD src0_sel:BYTE_0 src1_sel:DWORD
	v_cndmask_b32_e64 v72, v101, v96, s[16:17]
	v_or_b32_sdwa v67, v68, v67 dst_sel:DWORD dst_unused:UNUSED_PAD src0_sel:WORD_0 src1_sel:DWORD
	v_or_b32_sdwa v66, v63, v64 dst_sel:DWORD dst_unused:UNUSED_PAD src0_sel:WORD_0 src1_sel:DWORD
	v_cndmask_b32_e64 v98, v99, v98, s[28:29]
	v_cndmask_b32_e64 v91, v91, v92, s[26:27]
	v_cndmask_b32_e64 v92, v94, v93, s[26:27]
	v_cndmask_b32_e64 v87, v87, v88, s[24:25]
	v_cndmask_b32_e64 v88, v90, v89, s[24:25]
	v_cndmask_b32_e64 v83, v83, v84, s[22:23]
	v_cndmask_b32_e64 v84, v86, v85, s[22:23]
	v_cndmask_b32_e64 v79, v79, v80, s[20:21]
	v_cndmask_b32_e64 v80, v82, v81, s[20:21]
	s_barrier
	ds_write_b64 v2, v[66:67]
	s_waitcnt lgkmcnt(0)
	s_barrier
	ds_read_u8 v67, v72
	ds_read_u8 v63, v71
	;; [unrolled: 1-line block ×8, first 2 shown]
	v_lshlrev_b16_e32 v71, 8, v75
	v_lshlrev_b16_e32 v72, 8, v83
	v_cndmask_b32_e64 v74, v97, v100, s[16:17]
	v_or_b32_sdwa v71, v73, v71 dst_sel:DWORD dst_unused:UNUSED_PAD src0_sel:BYTE_0 src1_sel:DWORD
	v_or_b32_sdwa v72, v79, v72 dst_sel:WORD_1 dst_unused:UNUSED_PAD src0_sel:BYTE_0 src1_sel:DWORD
	v_lshlrev_b16_e32 v73, 8, v74
	v_or_b32_sdwa v72, v71, v72 dst_sel:DWORD dst_unused:UNUSED_PAD src0_sel:WORD_0 src1_sel:DWORD
	v_lshlrev_b16_e32 v71, 8, v91
	v_or_b32_sdwa v71, v87, v71 dst_sel:DWORD dst_unused:UNUSED_PAD src0_sel:BYTE_0 src1_sel:DWORD
	v_or_b32_sdwa v73, v95, v73 dst_sel:WORD_1 dst_unused:UNUSED_PAD src0_sel:BYTE_0 src1_sel:DWORD
	s_waitcnt lgkmcnt(0)
	v_or_b32_sdwa v73, v71, v73 dst_sel:DWORD dst_unused:UNUSED_PAD src0_sel:WORD_0 src1_sel:DWORD
	v_mov_b32_e32 v71, v54
	s_barrier
	ds_write_b64 v2, v[72:73]
	s_waitcnt lgkmcnt(0)
	s_barrier
	s_and_saveexec_b64 s[18:19], s[14:15]
	s_cbranch_execz .LBB79_262
; %bb.259:                              ;   in Loop: Header=BB79_2 Depth=1
	s_mov_b64 s[20:21], 0
	v_mov_b32_e32 v71, v54
	v_mov_b32_e32 v72, v55
.LBB79_260:                             ;   Parent Loop BB79_2 Depth=1
                                        ; =>  This Inner Loop Header: Depth=2
	v_sub_u32_e32 v73, v72, v71
	v_lshrrev_b32_e32 v74, 31, v73
	v_add_u32_e32 v73, v73, v74
	v_ashrrev_i32_e32 v73, 1, v73
	v_add_u32_e32 v73, v73, v71
	v_not_b32_e32 v74, v73
	v_add3_u32 v74, v2, v74, v47
	ds_read_i8 v75, v73
	ds_read_i8 v74, v74
	v_add_u32_e32 v76, 1, v73
	s_waitcnt lgkmcnt(0)
	v_cmp_lt_i16_e64 s[16:17], v74, v75
	s_nop 1
	v_cndmask_b32_e64 v72, v72, v73, s[16:17]
	v_cndmask_b32_e64 v71, v76, v71, s[16:17]
	v_cmp_ge_i32_e64 s[16:17], v71, v72
	s_or_b64 s[20:21], s[16:17], s[20:21]
	s_andn2_b64 exec, exec, s[20:21]
	s_cbranch_execnz .LBB79_260
; %bb.261:                              ;   in Loop: Header=BB79_2 Depth=1
	s_or_b64 exec, exec, s[20:21]
.LBB79_262:                             ;   in Loop: Header=BB79_2 Depth=1
	s_or_b64 exec, exec, s[18:19]
	v_sub_u32_e32 v72, v62, v71
	ds_read_u8 v73, v71
	ds_read_u8 v74, v72
	v_cmp_le_i32_e64 s[18:19], v47, v71
	v_cmp_gt_i32_e64 s[16:17], s91, v72
                                        ; implicit-def: $vgpr75
	s_waitcnt lgkmcnt(1)
	v_bfe_i32 v73, v73, 0, 8
	s_waitcnt lgkmcnt(0)
	v_bfe_i32 v74, v74, 0, 8
	v_cmp_lt_i16_e64 s[20:21], v74, v73
	s_or_b64 s[0:1], s[18:19], s[20:21]
	s_and_b64 s[16:17], s[16:17], s[0:1]
	s_xor_b64 s[0:1], s[16:17], -1
	s_and_saveexec_b64 s[18:19], s[0:1]
	s_xor_b64 s[18:19], exec, s[18:19]
	s_cbranch_execz .LBB79_264
; %bb.263:                              ;   in Loop: Header=BB79_2 Depth=1
	ds_read_u8 v75, v71 offset:1
.LBB79_264:                             ;   in Loop: Header=BB79_2 Depth=1
	s_or_saveexec_b64 s[18:19], s[18:19]
	v_mov_b32_e32 v76, v74
	s_xor_b64 exec, exec, s[18:19]
	s_cbranch_execz .LBB79_266
; %bb.265:                              ;   in Loop: Header=BB79_2 Depth=1
	ds_read_u8 v76, v72 offset:1
	s_waitcnt lgkmcnt(1)
	v_mov_b32_e32 v75, v73
.LBB79_266:                             ;   in Loop: Header=BB79_2 Depth=1
	s_or_b64 exec, exec, s[18:19]
	v_add_u32_e32 v78, 1, v71
	v_add_u32_e32 v77, 1, v72
	v_cndmask_b32_e64 v78, v78, v71, s[16:17]
	v_cndmask_b32_e64 v77, v72, v77, s[16:17]
	v_cmp_ge_i32_e64 s[20:21], v78, v47
	s_waitcnt lgkmcnt(0)
	v_cmp_lt_i16_sdwa s[0:1], sext(v76), sext(v75) src0_sel:BYTE_0 src1_sel:BYTE_0
	v_cmp_gt_i32_e64 s[18:19], s91, v77
	s_or_b64 s[0:1], s[20:21], s[0:1]
	s_and_b64 s[18:19], s[18:19], s[0:1]
	s_xor_b64 s[0:1], s[18:19], -1
                                        ; implicit-def: $vgpr79
	s_and_saveexec_b64 s[20:21], s[0:1]
	s_xor_b64 s[20:21], exec, s[20:21]
	s_cbranch_execz .LBB79_268
; %bb.267:                              ;   in Loop: Header=BB79_2 Depth=1
	ds_read_u8 v79, v78 offset:1
.LBB79_268:                             ;   in Loop: Header=BB79_2 Depth=1
	s_or_saveexec_b64 s[20:21], s[20:21]
	v_mov_b32_e32 v80, v76
	s_xor_b64 exec, exec, s[20:21]
	s_cbranch_execz .LBB79_270
; %bb.269:                              ;   in Loop: Header=BB79_2 Depth=1
	ds_read_u8 v80, v77 offset:1
	s_waitcnt lgkmcnt(1)
	v_mov_b32_e32 v79, v75
.LBB79_270:                             ;   in Loop: Header=BB79_2 Depth=1
	s_or_b64 exec, exec, s[20:21]
	v_add_u32_e32 v82, 1, v78
	v_add_u32_e32 v81, 1, v77
	v_cndmask_b32_e64 v82, v82, v78, s[18:19]
	v_cndmask_b32_e64 v81, v77, v81, s[18:19]
	v_cmp_ge_i32_e64 s[22:23], v82, v47
	s_waitcnt lgkmcnt(0)
	v_cmp_lt_i16_sdwa s[0:1], sext(v80), sext(v79) src0_sel:BYTE_0 src1_sel:BYTE_0
	v_cmp_gt_i32_e64 s[20:21], s91, v81
	s_or_b64 s[0:1], s[22:23], s[0:1]
	s_and_b64 s[20:21], s[20:21], s[0:1]
	s_xor_b64 s[0:1], s[20:21], -1
                                        ; implicit-def: $vgpr83
	s_and_saveexec_b64 s[22:23], s[0:1]
	s_xor_b64 s[22:23], exec, s[22:23]
	s_cbranch_execz .LBB79_272
; %bb.271:                              ;   in Loop: Header=BB79_2 Depth=1
	ds_read_u8 v83, v82 offset:1
.LBB79_272:                             ;   in Loop: Header=BB79_2 Depth=1
	s_or_saveexec_b64 s[22:23], s[22:23]
	v_mov_b32_e32 v84, v80
	s_xor_b64 exec, exec, s[22:23]
	s_cbranch_execz .LBB79_274
; %bb.273:                              ;   in Loop: Header=BB79_2 Depth=1
	ds_read_u8 v84, v81 offset:1
	s_waitcnt lgkmcnt(1)
	v_mov_b32_e32 v83, v79
.LBB79_274:                             ;   in Loop: Header=BB79_2 Depth=1
	s_or_b64 exec, exec, s[22:23]
	v_add_u32_e32 v86, 1, v82
	v_add_u32_e32 v85, 1, v81
	v_cndmask_b32_e64 v86, v86, v82, s[20:21]
	v_cndmask_b32_e64 v85, v81, v85, s[20:21]
	v_cmp_ge_i32_e64 s[24:25], v86, v47
	s_waitcnt lgkmcnt(0)
	v_cmp_lt_i16_sdwa s[0:1], sext(v84), sext(v83) src0_sel:BYTE_0 src1_sel:BYTE_0
	v_cmp_gt_i32_e64 s[22:23], s91, v85
	s_or_b64 s[0:1], s[24:25], s[0:1]
	s_and_b64 s[22:23], s[22:23], s[0:1]
	s_xor_b64 s[0:1], s[22:23], -1
                                        ; implicit-def: $vgpr87
	s_and_saveexec_b64 s[24:25], s[0:1]
	s_xor_b64 s[24:25], exec, s[24:25]
	s_cbranch_execz .LBB79_276
; %bb.275:                              ;   in Loop: Header=BB79_2 Depth=1
	ds_read_u8 v87, v86 offset:1
.LBB79_276:                             ;   in Loop: Header=BB79_2 Depth=1
	s_or_saveexec_b64 s[24:25], s[24:25]
	v_mov_b32_e32 v88, v84
	s_xor_b64 exec, exec, s[24:25]
	s_cbranch_execz .LBB79_278
; %bb.277:                              ;   in Loop: Header=BB79_2 Depth=1
	ds_read_u8 v88, v85 offset:1
	s_waitcnt lgkmcnt(1)
	v_mov_b32_e32 v87, v83
.LBB79_278:                             ;   in Loop: Header=BB79_2 Depth=1
	s_or_b64 exec, exec, s[24:25]
	v_add_u32_e32 v90, 1, v86
	v_add_u32_e32 v89, 1, v85
	v_cndmask_b32_e64 v90, v90, v86, s[22:23]
	v_cndmask_b32_e64 v89, v85, v89, s[22:23]
	v_cmp_ge_i32_e64 s[26:27], v90, v47
	s_waitcnt lgkmcnt(0)
	v_cmp_lt_i16_sdwa s[0:1], sext(v88), sext(v87) src0_sel:BYTE_0 src1_sel:BYTE_0
	v_cmp_gt_i32_e64 s[24:25], s91, v89
	s_or_b64 s[0:1], s[26:27], s[0:1]
	s_and_b64 s[24:25], s[24:25], s[0:1]
	s_xor_b64 s[0:1], s[24:25], -1
                                        ; implicit-def: $vgpr91
	s_and_saveexec_b64 s[26:27], s[0:1]
	s_xor_b64 s[26:27], exec, s[26:27]
	s_cbranch_execz .LBB79_280
; %bb.279:                              ;   in Loop: Header=BB79_2 Depth=1
	ds_read_u8 v91, v90 offset:1
.LBB79_280:                             ;   in Loop: Header=BB79_2 Depth=1
	s_or_saveexec_b64 s[26:27], s[26:27]
	v_mov_b32_e32 v92, v88
	s_xor_b64 exec, exec, s[26:27]
	s_cbranch_execz .LBB79_282
; %bb.281:                              ;   in Loop: Header=BB79_2 Depth=1
	ds_read_u8 v92, v89 offset:1
	s_waitcnt lgkmcnt(1)
	v_mov_b32_e32 v91, v87
.LBB79_282:                             ;   in Loop: Header=BB79_2 Depth=1
	s_or_b64 exec, exec, s[26:27]
	v_add_u32_e32 v94, 1, v90
	v_add_u32_e32 v93, 1, v89
	v_cndmask_b32_e64 v94, v94, v90, s[24:25]
	v_cndmask_b32_e64 v93, v89, v93, s[24:25]
	v_cmp_ge_i32_e64 s[28:29], v94, v47
	s_waitcnt lgkmcnt(0)
	v_cmp_lt_i16_sdwa s[0:1], sext(v92), sext(v91) src0_sel:BYTE_0 src1_sel:BYTE_0
	v_cmp_gt_i32_e64 s[26:27], s91, v93
	s_or_b64 s[0:1], s[28:29], s[0:1]
	s_and_b64 s[26:27], s[26:27], s[0:1]
	s_xor_b64 s[0:1], s[26:27], -1
                                        ; implicit-def: $vgpr95
	s_and_saveexec_b64 s[28:29], s[0:1]
	s_xor_b64 s[28:29], exec, s[28:29]
	s_cbranch_execz .LBB79_284
; %bb.283:                              ;   in Loop: Header=BB79_2 Depth=1
	ds_read_u8 v95, v94 offset:1
.LBB79_284:                             ;   in Loop: Header=BB79_2 Depth=1
	s_or_saveexec_b64 s[28:29], s[28:29]
	v_mov_b32_e32 v96, v92
	s_xor_b64 exec, exec, s[28:29]
	s_cbranch_execz .LBB79_286
; %bb.285:                              ;   in Loop: Header=BB79_2 Depth=1
	ds_read_u8 v96, v93 offset:1
	s_waitcnt lgkmcnt(1)
	v_mov_b32_e32 v95, v91
.LBB79_286:                             ;   in Loop: Header=BB79_2 Depth=1
	s_or_b64 exec, exec, s[28:29]
	v_add_u32_e32 v98, 1, v94
	v_add_u32_e32 v97, 1, v93
	v_cndmask_b32_e64 v101, v98, v94, s[26:27]
	v_cndmask_b32_e64 v97, v93, v97, s[26:27]
	v_cmp_ge_i32_e64 s[30:31], v101, v47
	s_waitcnt lgkmcnt(0)
	v_cmp_lt_i16_sdwa s[0:1], sext(v96), sext(v95) src0_sel:BYTE_0 src1_sel:BYTE_0
	v_cmp_gt_i32_e64 s[28:29], s91, v97
	s_or_b64 s[0:1], s[30:31], s[0:1]
	s_and_b64 s[28:29], s[28:29], s[0:1]
	s_xor_b64 s[0:1], s[28:29], -1
                                        ; implicit-def: $vgpr100
                                        ; implicit-def: $vgpr99
	s_and_saveexec_b64 s[30:31], s[0:1]
	s_xor_b64 s[30:31], exec, s[30:31]
	s_cbranch_execz .LBB79_288
; %bb.287:                              ;   in Loop: Header=BB79_2 Depth=1
	ds_read_u8 v100, v101 offset:1
	v_add_u32_e32 v99, 1, v101
.LBB79_288:                             ;   in Loop: Header=BB79_2 Depth=1
	s_or_saveexec_b64 s[30:31], s[30:31]
	v_mov_b32_e32 v98, v101
	v_mov_b32_e32 v102, v96
	s_xor_b64 exec, exec, s[30:31]
	s_cbranch_execz .LBB79_1
; %bb.289:                              ;   in Loop: Header=BB79_2 Depth=1
	ds_read_u8 v102, v97 offset:1
	s_waitcnt lgkmcnt(1)
	v_add_u32_e32 v100, 1, v97
	v_mov_b32_e32 v98, v97
	v_mov_b32_e32 v99, v101
	;; [unrolled: 1-line block ×4, first 2 shown]
	s_branch .LBB79_1
.LBB79_290:
	v_readlane_b32 s0, v103, 0
	v_readlane_b32 s2, v103, 2
	;; [unrolled: 1-line block ×4, first 2 shown]
	s_add_u32 s0, s2, s33
	s_addc_u32 s1, s3, 0
	v_add_u16_e32 v2, v73, v69
	v_lshl_add_u64 v[0:1], s[0:1], 0, v[0:1]
	v_add_u16_e32 v3, v74, v70
	v_add_u16_e32 v4, v75, v72
	;; [unrolled: 1-line block ×7, first 2 shown]
	global_store_byte v[0:1], v2, off
	global_store_byte v[0:1], v3, off offset:512
	global_store_byte v[0:1], v4, off offset:1024
	;; [unrolled: 1-line block ×7, first 2 shown]
	s_endpgm
	.section	.rodata,"a",@progbits
	.p2align	6, 0x0
	.amdhsa_kernel _Z17sort_pairs_kernelIaLj512ELj8EN10test_utils4lessELj10EEvPKT_PS2_T2_
		.amdhsa_group_segment_fixed_size 4097
		.amdhsa_private_segment_fixed_size 0
		.amdhsa_kernarg_size 20
		.amdhsa_user_sgpr_count 2
		.amdhsa_user_sgpr_dispatch_ptr 0
		.amdhsa_user_sgpr_queue_ptr 0
		.amdhsa_user_sgpr_kernarg_segment_ptr 1
		.amdhsa_user_sgpr_dispatch_id 0
		.amdhsa_user_sgpr_kernarg_preload_length 0
		.amdhsa_user_sgpr_kernarg_preload_offset 0
		.amdhsa_user_sgpr_private_segment_size 0
		.amdhsa_uses_dynamic_stack 0
		.amdhsa_enable_private_segment 0
		.amdhsa_system_sgpr_workgroup_id_x 1
		.amdhsa_system_sgpr_workgroup_id_y 0
		.amdhsa_system_sgpr_workgroup_id_z 0
		.amdhsa_system_sgpr_workgroup_info 0
		.amdhsa_system_vgpr_workitem_id 0
		.amdhsa_next_free_vgpr 104
		.amdhsa_next_free_sgpr 100
		.amdhsa_accum_offset 104
		.amdhsa_reserve_vcc 1
		.amdhsa_float_round_mode_32 0
		.amdhsa_float_round_mode_16_64 0
		.amdhsa_float_denorm_mode_32 3
		.amdhsa_float_denorm_mode_16_64 3
		.amdhsa_dx10_clamp 1
		.amdhsa_ieee_mode 1
		.amdhsa_fp16_overflow 0
		.amdhsa_tg_split 0
		.amdhsa_exception_fp_ieee_invalid_op 0
		.amdhsa_exception_fp_denorm_src 0
		.amdhsa_exception_fp_ieee_div_zero 0
		.amdhsa_exception_fp_ieee_overflow 0
		.amdhsa_exception_fp_ieee_underflow 0
		.amdhsa_exception_fp_ieee_inexact 0
		.amdhsa_exception_int_div_zero 0
	.end_amdhsa_kernel
	.section	.text._Z17sort_pairs_kernelIaLj512ELj8EN10test_utils4lessELj10EEvPKT_PS2_T2_,"axG",@progbits,_Z17sort_pairs_kernelIaLj512ELj8EN10test_utils4lessELj10EEvPKT_PS2_T2_,comdat
.Lfunc_end79:
	.size	_Z17sort_pairs_kernelIaLj512ELj8EN10test_utils4lessELj10EEvPKT_PS2_T2_, .Lfunc_end79-_Z17sort_pairs_kernelIaLj512ELj8EN10test_utils4lessELj10EEvPKT_PS2_T2_
                                        ; -- End function
	.section	.AMDGPU.csdata,"",@progbits
; Kernel info:
; codeLenInByte = 15748
; NumSgprs: 106
; NumVgprs: 104
; NumAgprs: 0
; TotalNumVgprs: 104
; ScratchSize: 0
; MemoryBound: 0
; FloatMode: 240
; IeeeMode: 1
; LDSByteSize: 4097 bytes/workgroup (compile time only)
; SGPRBlocks: 13
; VGPRBlocks: 12
; NumSGPRsForWavesPerEU: 106
; NumVGPRsForWavesPerEU: 104
; AccumOffset: 104
; Occupancy: 4
; WaveLimiterHint : 1
; COMPUTE_PGM_RSRC2:SCRATCH_EN: 0
; COMPUTE_PGM_RSRC2:USER_SGPR: 2
; COMPUTE_PGM_RSRC2:TRAP_HANDLER: 0
; COMPUTE_PGM_RSRC2:TGID_X_EN: 1
; COMPUTE_PGM_RSRC2:TGID_Y_EN: 0
; COMPUTE_PGM_RSRC2:TGID_Z_EN: 0
; COMPUTE_PGM_RSRC2:TIDIG_COMP_CNT: 0
; COMPUTE_PGM_RSRC3_GFX90A:ACCUM_OFFSET: 25
; COMPUTE_PGM_RSRC3_GFX90A:TG_SPLIT: 0
	.section	.text._Z16sort_keys_kernelIhLj64ELj1EN10test_utils4lessELj10EEvPKT_PS2_T2_,"axG",@progbits,_Z16sort_keys_kernelIhLj64ELj1EN10test_utils4lessELj10EEvPKT_PS2_T2_,comdat
	.protected	_Z16sort_keys_kernelIhLj64ELj1EN10test_utils4lessELj10EEvPKT_PS2_T2_ ; -- Begin function _Z16sort_keys_kernelIhLj64ELj1EN10test_utils4lessELj10EEvPKT_PS2_T2_
	.globl	_Z16sort_keys_kernelIhLj64ELj1EN10test_utils4lessELj10EEvPKT_PS2_T2_
	.p2align	8
	.type	_Z16sort_keys_kernelIhLj64ELj1EN10test_utils4lessELj10EEvPKT_PS2_T2_,@function
_Z16sort_keys_kernelIhLj64ELj1EN10test_utils4lessELj10EEvPKT_PS2_T2_: ; @_Z16sort_keys_kernelIhLj64ELj1EN10test_utils4lessELj10EEvPKT_PS2_T2_
; %bb.0:
	s_load_dwordx4 s[12:15], s[0:1], 0x0
	s_lshl_b32 s18, s2, 6
	v_and_b32_e32 v9, 60, v0
	v_and_b32_e32 v17, 56, v0
	;; [unrolled: 1-line block ×3, first 2 shown]
	s_waitcnt lgkmcnt(0)
	s_add_u32 s0, s12, s18
	s_addc_u32 s1, s13, 0
	global_load_ubyte v44, v0, s[0:1]
	v_and_b32_e32 v33, 32, v0
	v_and_b32_e32 v2, 62, v0
	v_or_b32_e32 v11, 2, v9
	v_add_u32_e32 v12, 4, v9
	v_or_b32_e32 v19, 4, v17
	v_add_u32_e32 v20, 8, v17
	v_or_b32_e32 v27, 8, v25
	v_add_u32_e32 v28, 16, v25
	v_or_b32_e32 v35, 16, v33
	v_add_u32_e32 v36, 32, v33
	v_and_b32_e32 v3, 1, v0
	v_or_b32_e32 v4, 1, v2
	v_and_b32_e32 v10, 3, v0
	v_sub_u32_e32 v14, v12, v11
	v_and_b32_e32 v18, 7, v0
	v_sub_u32_e32 v22, v20, v19
	;; [unrolled: 2-line block ×4, first 2 shown]
	v_sub_u32_e32 v5, v4, v2
	v_add_u32_e32 v6, -1, v3
	v_cmp_lt_i32_e32 vcc, 0, v3
	v_sub_u32_e32 v13, v11, v9
	v_sub_u32_e32 v15, v10, v14
	v_cmp_ge_i32_e64 s[0:1], v10, v14
	v_sub_u32_e32 v21, v19, v17
	v_sub_u32_e32 v23, v18, v22
	v_cmp_ge_i32_e64 s[2:3], v18, v22
	;; [unrolled: 3-line block ×4, first 2 shown]
	v_cndmask_b32_e32 v6, 0, v6, vcc
	v_min_i32_e32 v7, v3, v5
	v_cndmask_b32_e64 v14, 0, v15, s[0:1]
	v_min_i32_e32 v15, v10, v13
	v_cndmask_b32_e64 v22, 0, v23, s[2:3]
	;; [unrolled: 2-line block ×4, first 2 shown]
	v_min_i32_e32 v39, v34, v37
	v_sub_u32_e64 v41, v0, 32 clamp
	v_min_i32_e32 v42, 32, v0
	s_mov_b32 s19, 0
	v_mov_b32_e32 v1, 0
	v_cmp_lt_i32_e32 vcc, v6, v7
	v_add_u32_e32 v8, v4, v3
	v_cmp_lt_i32_e64 s[0:1], v14, v15
	v_add_u32_e32 v16, v11, v10
	v_cmp_lt_i32_e64 s[2:3], v22, v23
	v_add_u32_e32 v24, v19, v18
	v_cmp_lt_i32_e64 s[4:5], v30, v31
	v_add_u32_e32 v32, v27, v26
	v_cmp_lt_i32_e64 s[6:7], v38, v39
	v_add_u32_e32 v40, v35, v34
	v_cmp_lt_i32_e64 s[8:9], v41, v42
	v_add_u32_e32 v43, 32, v0
	s_branch .LBB80_2
.LBB80_1:                               ;   in Loop: Header=BB80_2 Depth=1
	s_or_b64 exec, exec, s[12:13]
	v_sub_u32_e32 v45, v43, v44
	ds_read_u8 v46, v44
	ds_read_u8 v47, v45
	v_cmp_le_i32_e64 s[10:11], 32, v44
	v_cmp_gt_i32_e64 s[12:13], 64, v45
	s_add_i32 s19, s19, 1
	s_waitcnt lgkmcnt(0)
	v_cmp_lt_u16_sdwa s[16:17], v47, v46 src0_sel:BYTE_0 src1_sel:BYTE_0
	s_or_b64 s[10:11], s[10:11], s[16:17]
	s_and_b64 s[10:11], s[12:13], s[10:11]
	s_cmp_eq_u32 s19, 10
	v_cndmask_b32_e64 v44, v46, v47, s[10:11]
	s_cbranch_scc1 .LBB80_26
.LBB80_2:                               ; =>This Loop Header: Depth=1
                                        ;     Child Loop BB80_4 Depth 2
                                        ;     Child Loop BB80_8 Depth 2
	;; [unrolled: 1-line block ×6, first 2 shown]
	s_waitcnt lgkmcnt(0)
	; wave barrier
	s_waitcnt vmcnt(0)
	ds_write_b8 v0, v44
	v_mov_b32_e32 v44, v6
	s_waitcnt lgkmcnt(0)
	; wave barrier
	s_waitcnt lgkmcnt(0)
	s_and_saveexec_b64 s[12:13], vcc
	s_cbranch_execz .LBB80_6
; %bb.3:                                ;   in Loop: Header=BB80_2 Depth=1
	s_mov_b64 s[16:17], 0
	v_mov_b32_e32 v44, v6
	v_mov_b32_e32 v45, v7
.LBB80_4:                               ;   Parent Loop BB80_2 Depth=1
                                        ; =>  This Inner Loop Header: Depth=2
	v_sub_u32_e32 v46, v45, v44
	v_lshrrev_b32_e32 v47, 31, v46
	v_add_u32_e32 v46, v46, v47
	v_ashrrev_i32_e32 v46, 1, v46
	v_add_u32_e32 v46, v46, v44
	v_not_b32_e32 v48, v46
	v_add_u32_e32 v47, v2, v46
	v_add3_u32 v48, v3, v48, v4
	ds_read_u8 v47, v47
	ds_read_u8 v48, v48
	v_add_u32_e32 v49, 1, v46
	s_waitcnt lgkmcnt(0)
	v_cmp_lt_u16_e64 s[10:11], v48, v47
	s_nop 1
	v_cndmask_b32_e64 v45, v45, v46, s[10:11]
	v_cndmask_b32_e64 v44, v49, v44, s[10:11]
	v_cmp_ge_i32_e64 s[10:11], v44, v45
	s_or_b64 s[16:17], s[10:11], s[16:17]
	s_andn2_b64 exec, exec, s[16:17]
	s_cbranch_execnz .LBB80_4
; %bb.5:                                ;   in Loop: Header=BB80_2 Depth=1
	s_or_b64 exec, exec, s[16:17]
.LBB80_6:                               ;   in Loop: Header=BB80_2 Depth=1
	s_or_b64 exec, exec, s[12:13]
	v_add_u32_e32 v46, v2, v44
	v_sub_u32_e32 v45, v8, v44
	ds_read_u8 v46, v46
	ds_read_u8 v47, v45
	v_cmp_ge_i32_e64 s[10:11], v44, v5
	v_cmp_ge_i32_e64 s[12:13], v4, v45
	s_waitcnt lgkmcnt(0)
	; wave barrier
	s_waitcnt lgkmcnt(0)
	v_cmp_lt_u16_sdwa s[16:17], v47, v46 src0_sel:BYTE_0 src1_sel:BYTE_0
	s_or_b64 s[10:11], s[10:11], s[16:17]
	s_and_b64 s[10:11], s[12:13], s[10:11]
	v_cndmask_b32_e64 v44, v46, v47, s[10:11]
	ds_write_b8 v0, v44
	v_mov_b32_e32 v44, v14
	s_waitcnt lgkmcnt(0)
	; wave barrier
	s_waitcnt lgkmcnt(0)
	s_and_saveexec_b64 s[12:13], s[0:1]
	s_cbranch_execz .LBB80_10
; %bb.7:                                ;   in Loop: Header=BB80_2 Depth=1
	s_mov_b64 s[16:17], 0
	v_mov_b32_e32 v44, v14
	v_mov_b32_e32 v45, v15
.LBB80_8:                               ;   Parent Loop BB80_2 Depth=1
                                        ; =>  This Inner Loop Header: Depth=2
	v_sub_u32_e32 v46, v45, v44
	v_lshrrev_b32_e32 v47, 31, v46
	v_add_u32_e32 v46, v46, v47
	v_ashrrev_i32_e32 v46, 1, v46
	v_add_u32_e32 v46, v46, v44
	v_not_b32_e32 v48, v46
	v_add_u32_e32 v47, v9, v46
	v_add3_u32 v48, v10, v48, v11
	ds_read_u8 v47, v47
	ds_read_u8 v48, v48
	v_add_u32_e32 v49, 1, v46
	s_waitcnt lgkmcnt(0)
	v_cmp_lt_u16_e64 s[10:11], v48, v47
	s_nop 1
	v_cndmask_b32_e64 v45, v45, v46, s[10:11]
	v_cndmask_b32_e64 v44, v49, v44, s[10:11]
	v_cmp_ge_i32_e64 s[10:11], v44, v45
	s_or_b64 s[16:17], s[10:11], s[16:17]
	s_andn2_b64 exec, exec, s[16:17]
	s_cbranch_execnz .LBB80_8
; %bb.9:                                ;   in Loop: Header=BB80_2 Depth=1
	s_or_b64 exec, exec, s[16:17]
.LBB80_10:                              ;   in Loop: Header=BB80_2 Depth=1
	s_or_b64 exec, exec, s[12:13]
	v_add_u32_e32 v46, v9, v44
	v_sub_u32_e32 v45, v16, v44
	ds_read_u8 v46, v46
	ds_read_u8 v47, v45
	v_cmp_ge_i32_e64 s[10:11], v44, v13
	v_cmp_gt_i32_e64 s[12:13], v12, v45
	s_waitcnt lgkmcnt(0)
	; wave barrier
	s_waitcnt lgkmcnt(0)
	v_cmp_lt_u16_sdwa s[16:17], v47, v46 src0_sel:BYTE_0 src1_sel:BYTE_0
	s_or_b64 s[10:11], s[10:11], s[16:17]
	s_and_b64 s[10:11], s[12:13], s[10:11]
	v_cndmask_b32_e64 v44, v46, v47, s[10:11]
	ds_write_b8 v0, v44
	v_mov_b32_e32 v44, v22
	s_waitcnt lgkmcnt(0)
	; wave barrier
	s_waitcnt lgkmcnt(0)
	s_and_saveexec_b64 s[12:13], s[2:3]
	s_cbranch_execz .LBB80_14
; %bb.11:                               ;   in Loop: Header=BB80_2 Depth=1
	s_mov_b64 s[16:17], 0
	v_mov_b32_e32 v44, v22
	v_mov_b32_e32 v45, v23
.LBB80_12:                              ;   Parent Loop BB80_2 Depth=1
                                        ; =>  This Inner Loop Header: Depth=2
	v_sub_u32_e32 v46, v45, v44
	v_lshrrev_b32_e32 v47, 31, v46
	v_add_u32_e32 v46, v46, v47
	v_ashrrev_i32_e32 v46, 1, v46
	v_add_u32_e32 v46, v46, v44
	v_not_b32_e32 v48, v46
	v_add_u32_e32 v47, v17, v46
	v_add3_u32 v48, v18, v48, v19
	ds_read_u8 v47, v47
	ds_read_u8 v48, v48
	v_add_u32_e32 v49, 1, v46
	s_waitcnt lgkmcnt(0)
	v_cmp_lt_u16_e64 s[10:11], v48, v47
	s_nop 1
	v_cndmask_b32_e64 v45, v45, v46, s[10:11]
	v_cndmask_b32_e64 v44, v49, v44, s[10:11]
	v_cmp_ge_i32_e64 s[10:11], v44, v45
	s_or_b64 s[16:17], s[10:11], s[16:17]
	s_andn2_b64 exec, exec, s[16:17]
	s_cbranch_execnz .LBB80_12
; %bb.13:                               ;   in Loop: Header=BB80_2 Depth=1
	s_or_b64 exec, exec, s[16:17]
.LBB80_14:                              ;   in Loop: Header=BB80_2 Depth=1
	s_or_b64 exec, exec, s[12:13]
	v_add_u32_e32 v46, v17, v44
	v_sub_u32_e32 v45, v24, v44
	ds_read_u8 v46, v46
	ds_read_u8 v47, v45
	v_cmp_ge_i32_e64 s[10:11], v44, v21
	v_cmp_gt_i32_e64 s[12:13], v20, v45
	s_waitcnt lgkmcnt(0)
	; wave barrier
	s_waitcnt lgkmcnt(0)
	v_cmp_lt_u16_sdwa s[16:17], v47, v46 src0_sel:BYTE_0 src1_sel:BYTE_0
	s_or_b64 s[10:11], s[10:11], s[16:17]
	s_and_b64 s[10:11], s[12:13], s[10:11]
	v_cndmask_b32_e64 v44, v46, v47, s[10:11]
	ds_write_b8 v0, v44
	v_mov_b32_e32 v44, v30
	s_waitcnt lgkmcnt(0)
	; wave barrier
	s_waitcnt lgkmcnt(0)
	s_and_saveexec_b64 s[12:13], s[4:5]
	s_cbranch_execz .LBB80_18
; %bb.15:                               ;   in Loop: Header=BB80_2 Depth=1
	s_mov_b64 s[16:17], 0
	v_mov_b32_e32 v44, v30
	v_mov_b32_e32 v45, v31
.LBB80_16:                              ;   Parent Loop BB80_2 Depth=1
                                        ; =>  This Inner Loop Header: Depth=2
	v_sub_u32_e32 v46, v45, v44
	v_lshrrev_b32_e32 v47, 31, v46
	v_add_u32_e32 v46, v46, v47
	v_ashrrev_i32_e32 v46, 1, v46
	v_add_u32_e32 v46, v46, v44
	v_not_b32_e32 v48, v46
	v_add_u32_e32 v47, v25, v46
	v_add3_u32 v48, v26, v48, v27
	ds_read_u8 v47, v47
	ds_read_u8 v48, v48
	v_add_u32_e32 v49, 1, v46
	s_waitcnt lgkmcnt(0)
	v_cmp_lt_u16_e64 s[10:11], v48, v47
	s_nop 1
	v_cndmask_b32_e64 v45, v45, v46, s[10:11]
	v_cndmask_b32_e64 v44, v49, v44, s[10:11]
	v_cmp_ge_i32_e64 s[10:11], v44, v45
	s_or_b64 s[16:17], s[10:11], s[16:17]
	s_andn2_b64 exec, exec, s[16:17]
	s_cbranch_execnz .LBB80_16
; %bb.17:                               ;   in Loop: Header=BB80_2 Depth=1
	s_or_b64 exec, exec, s[16:17]
.LBB80_18:                              ;   in Loop: Header=BB80_2 Depth=1
	s_or_b64 exec, exec, s[12:13]
	v_add_u32_e32 v46, v25, v44
	v_sub_u32_e32 v45, v32, v44
	ds_read_u8 v46, v46
	ds_read_u8 v47, v45
	v_cmp_ge_i32_e64 s[10:11], v44, v29
	v_cmp_gt_i32_e64 s[12:13], v28, v45
	s_waitcnt lgkmcnt(0)
	; wave barrier
	s_waitcnt lgkmcnt(0)
	v_cmp_lt_u16_sdwa s[16:17], v47, v46 src0_sel:BYTE_0 src1_sel:BYTE_0
	s_or_b64 s[10:11], s[10:11], s[16:17]
	s_and_b64 s[10:11], s[12:13], s[10:11]
	v_cndmask_b32_e64 v44, v46, v47, s[10:11]
	ds_write_b8 v0, v44
	v_mov_b32_e32 v44, v38
	s_waitcnt lgkmcnt(0)
	; wave barrier
	s_waitcnt lgkmcnt(0)
	s_and_saveexec_b64 s[12:13], s[6:7]
	s_cbranch_execz .LBB80_22
; %bb.19:                               ;   in Loop: Header=BB80_2 Depth=1
	s_mov_b64 s[16:17], 0
	v_mov_b32_e32 v44, v38
	v_mov_b32_e32 v45, v39
.LBB80_20:                              ;   Parent Loop BB80_2 Depth=1
                                        ; =>  This Inner Loop Header: Depth=2
	v_sub_u32_e32 v46, v45, v44
	v_lshrrev_b32_e32 v47, 31, v46
	v_add_u32_e32 v46, v46, v47
	v_ashrrev_i32_e32 v46, 1, v46
	v_add_u32_e32 v46, v46, v44
	v_not_b32_e32 v48, v46
	v_add_u32_e32 v47, v33, v46
	v_add3_u32 v48, v34, v48, v35
	ds_read_u8 v47, v47
	ds_read_u8 v48, v48
	v_add_u32_e32 v49, 1, v46
	s_waitcnt lgkmcnt(0)
	v_cmp_lt_u16_e64 s[10:11], v48, v47
	s_nop 1
	v_cndmask_b32_e64 v45, v45, v46, s[10:11]
	v_cndmask_b32_e64 v44, v49, v44, s[10:11]
	v_cmp_ge_i32_e64 s[10:11], v44, v45
	s_or_b64 s[16:17], s[10:11], s[16:17]
	s_andn2_b64 exec, exec, s[16:17]
	s_cbranch_execnz .LBB80_20
; %bb.21:                               ;   in Loop: Header=BB80_2 Depth=1
	s_or_b64 exec, exec, s[16:17]
.LBB80_22:                              ;   in Loop: Header=BB80_2 Depth=1
	s_or_b64 exec, exec, s[12:13]
	v_add_u32_e32 v46, v33, v44
	v_sub_u32_e32 v45, v40, v44
	ds_read_u8 v46, v46
	ds_read_u8 v47, v45
	v_cmp_ge_i32_e64 s[10:11], v44, v37
	v_cmp_gt_i32_e64 s[12:13], v36, v45
	s_waitcnt lgkmcnt(0)
	; wave barrier
	s_waitcnt lgkmcnt(0)
	v_cmp_lt_u16_sdwa s[16:17], v47, v46 src0_sel:BYTE_0 src1_sel:BYTE_0
	s_or_b64 s[10:11], s[10:11], s[16:17]
	s_and_b64 s[10:11], s[12:13], s[10:11]
	v_cndmask_b32_e64 v44, v46, v47, s[10:11]
	ds_write_b8 v0, v44
	v_mov_b32_e32 v44, v41
	s_waitcnt lgkmcnt(0)
	; wave barrier
	s_waitcnt lgkmcnt(0)
	s_and_saveexec_b64 s[12:13], s[8:9]
	s_cbranch_execz .LBB80_1
; %bb.23:                               ;   in Loop: Header=BB80_2 Depth=1
	s_mov_b64 s[16:17], 0
	v_mov_b32_e32 v44, v41
	v_mov_b32_e32 v45, v42
.LBB80_24:                              ;   Parent Loop BB80_2 Depth=1
                                        ; =>  This Inner Loop Header: Depth=2
	v_sub_u32_e32 v46, v45, v44
	v_lshrrev_b32_e32 v47, 31, v46
	v_add_u32_e32 v46, v46, v47
	v_ashrrev_i32_e32 v46, 1, v46
	v_add_u32_e32 v46, v46, v44
	v_not_b32_e32 v47, v46
	v_add3_u32 v47, v0, v47, 32
	ds_read_u8 v48, v46
	ds_read_u8 v47, v47
	v_add_u32_e32 v49, 1, v46
	s_waitcnt lgkmcnt(0)
	v_cmp_lt_u16_e64 s[10:11], v47, v48
	s_nop 1
	v_cndmask_b32_e64 v45, v45, v46, s[10:11]
	v_cndmask_b32_e64 v44, v49, v44, s[10:11]
	v_cmp_ge_i32_e64 s[10:11], v44, v45
	s_or_b64 s[16:17], s[10:11], s[16:17]
	s_andn2_b64 exec, exec, s[16:17]
	s_cbranch_execnz .LBB80_24
; %bb.25:                               ;   in Loop: Header=BB80_2 Depth=1
	s_or_b64 exec, exec, s[16:17]
	s_branch .LBB80_1
.LBB80_26:
	s_add_u32 s0, s14, s18
	s_addc_u32 s1, s15, 0
	v_lshl_add_u64 v[0:1], s[0:1], 0, v[0:1]
	global_store_byte v[0:1], v44, off
	s_endpgm
	.section	.rodata,"a",@progbits
	.p2align	6, 0x0
	.amdhsa_kernel _Z16sort_keys_kernelIhLj64ELj1EN10test_utils4lessELj10EEvPKT_PS2_T2_
		.amdhsa_group_segment_fixed_size 65
		.amdhsa_private_segment_fixed_size 0
		.amdhsa_kernarg_size 20
		.amdhsa_user_sgpr_count 2
		.amdhsa_user_sgpr_dispatch_ptr 0
		.amdhsa_user_sgpr_queue_ptr 0
		.amdhsa_user_sgpr_kernarg_segment_ptr 1
		.amdhsa_user_sgpr_dispatch_id 0
		.amdhsa_user_sgpr_kernarg_preload_length 0
		.amdhsa_user_sgpr_kernarg_preload_offset 0
		.amdhsa_user_sgpr_private_segment_size 0
		.amdhsa_uses_dynamic_stack 0
		.amdhsa_enable_private_segment 0
		.amdhsa_system_sgpr_workgroup_id_x 1
		.amdhsa_system_sgpr_workgroup_id_y 0
		.amdhsa_system_sgpr_workgroup_id_z 0
		.amdhsa_system_sgpr_workgroup_info 0
		.amdhsa_system_vgpr_workitem_id 0
		.amdhsa_next_free_vgpr 50
		.amdhsa_next_free_sgpr 20
		.amdhsa_accum_offset 52
		.amdhsa_reserve_vcc 1
		.amdhsa_float_round_mode_32 0
		.amdhsa_float_round_mode_16_64 0
		.amdhsa_float_denorm_mode_32 3
		.amdhsa_float_denorm_mode_16_64 3
		.amdhsa_dx10_clamp 1
		.amdhsa_ieee_mode 1
		.amdhsa_fp16_overflow 0
		.amdhsa_tg_split 0
		.amdhsa_exception_fp_ieee_invalid_op 0
		.amdhsa_exception_fp_denorm_src 0
		.amdhsa_exception_fp_ieee_div_zero 0
		.amdhsa_exception_fp_ieee_overflow 0
		.amdhsa_exception_fp_ieee_underflow 0
		.amdhsa_exception_fp_ieee_inexact 0
		.amdhsa_exception_int_div_zero 0
	.end_amdhsa_kernel
	.section	.text._Z16sort_keys_kernelIhLj64ELj1EN10test_utils4lessELj10EEvPKT_PS2_T2_,"axG",@progbits,_Z16sort_keys_kernelIhLj64ELj1EN10test_utils4lessELj10EEvPKT_PS2_T2_,comdat
.Lfunc_end80:
	.size	_Z16sort_keys_kernelIhLj64ELj1EN10test_utils4lessELj10EEvPKT_PS2_T2_, .Lfunc_end80-_Z16sort_keys_kernelIhLj64ELj1EN10test_utils4lessELj10EEvPKT_PS2_T2_
                                        ; -- End function
	.section	.AMDGPU.csdata,"",@progbits
; Kernel info:
; codeLenInByte = 1756
; NumSgprs: 26
; NumVgprs: 50
; NumAgprs: 0
; TotalNumVgprs: 50
; ScratchSize: 0
; MemoryBound: 0
; FloatMode: 240
; IeeeMode: 1
; LDSByteSize: 65 bytes/workgroup (compile time only)
; SGPRBlocks: 3
; VGPRBlocks: 6
; NumSGPRsForWavesPerEU: 26
; NumVGPRsForWavesPerEU: 50
; AccumOffset: 52
; Occupancy: 8
; WaveLimiterHint : 0
; COMPUTE_PGM_RSRC2:SCRATCH_EN: 0
; COMPUTE_PGM_RSRC2:USER_SGPR: 2
; COMPUTE_PGM_RSRC2:TRAP_HANDLER: 0
; COMPUTE_PGM_RSRC2:TGID_X_EN: 1
; COMPUTE_PGM_RSRC2:TGID_Y_EN: 0
; COMPUTE_PGM_RSRC2:TGID_Z_EN: 0
; COMPUTE_PGM_RSRC2:TIDIG_COMP_CNT: 0
; COMPUTE_PGM_RSRC3_GFX90A:ACCUM_OFFSET: 12
; COMPUTE_PGM_RSRC3_GFX90A:TG_SPLIT: 0
	.section	.text._Z17sort_pairs_kernelIhLj64ELj1EN10test_utils4lessELj10EEvPKT_PS2_T2_,"axG",@progbits,_Z17sort_pairs_kernelIhLj64ELj1EN10test_utils4lessELj10EEvPKT_PS2_T2_,comdat
	.protected	_Z17sort_pairs_kernelIhLj64ELj1EN10test_utils4lessELj10EEvPKT_PS2_T2_ ; -- Begin function _Z17sort_pairs_kernelIhLj64ELj1EN10test_utils4lessELj10EEvPKT_PS2_T2_
	.globl	_Z17sort_pairs_kernelIhLj64ELj1EN10test_utils4lessELj10EEvPKT_PS2_T2_
	.p2align	8
	.type	_Z17sort_pairs_kernelIhLj64ELj1EN10test_utils4lessELj10EEvPKT_PS2_T2_,@function
_Z17sort_pairs_kernelIhLj64ELj1EN10test_utils4lessELj10EEvPKT_PS2_T2_: ; @_Z17sort_pairs_kernelIhLj64ELj1EN10test_utils4lessELj10EEvPKT_PS2_T2_
; %bb.0:
	s_load_dwordx4 s[12:15], s[0:1], 0x0
	s_lshl_b32 s18, s2, 6
	v_and_b32_e32 v4, 60, v0
	v_and_b32_e32 v6, 56, v0
	v_or_b32_e32 v15, 2, v4
	s_waitcnt lgkmcnt(0)
	s_add_u32 s0, s12, s18
	s_addc_u32 s1, s13, 0
	global_load_ubyte v39, v0, s[0:1]
	v_add_u32_e32 v16, 4, v4
	v_and_b32_e32 v5, 3, v0
	v_and_b32_e32 v8, 48, v0
	v_or_b32_e32 v17, 4, v6
	v_add_u32_e32 v18, 8, v6
	v_sub_u32_e32 v34, v16, v15
	v_and_b32_e32 v7, 7, v0
	v_and_b32_e32 v10, 32, v0
	v_or_b32_e32 v19, 8, v8
	v_add_u32_e32 v20, 16, v8
	v_sub_u32_e32 v35, v18, v17
	v_sub_u32_e32 v38, v5, v34
	v_cmp_ge_i32_e64 s[2:3], v5, v34
	v_and_b32_e32 v2, 62, v0
	v_and_b32_e32 v9, 15, v0
	v_or_b32_e32 v21, 16, v10
	v_add_u32_e32 v22, 32, v10
	v_sub_u32_e32 v36, v20, v19
	v_sub_u32_e32 v40, v7, v35
	v_cndmask_b32_e64 v34, 0, v38, s[2:3]
	v_cmp_ge_i32_e64 s[2:3], v7, v35
	v_and_b32_e32 v3, 1, v0
	v_and_b32_e32 v11, 31, v0
	v_or_b32_e32 v14, 1, v2
	v_sub_u32_e32 v37, v22, v21
	v_sub_u32_e32 v41, v9, v36
	v_cndmask_b32_e64 v35, 0, v40, s[2:3]
	v_cmp_ge_i32_e64 s[2:3], v9, v36
	v_add_u32_e32 v23, -1, v3
	v_sub_u32_e32 v29, v14, v2
	v_cmp_lt_i32_e64 s[0:1], 0, v3
	v_sub_u32_e32 v30, v15, v4
	v_sub_u32_e32 v31, v17, v6
	;; [unrolled: 1-line block ×5, first 2 shown]
	v_cndmask_b32_e64 v36, 0, v41, s[2:3]
	v_cmp_ge_i32_e64 s[2:3], v11, v37
	v_sub_u32_e64 v12, v0, 32 clamp
	v_min_i32_e32 v13, 32, v0
	v_cndmask_b32_e64 v23, 0, v23, s[0:1]
	v_min_i32_e32 v29, v3, v29
	v_min_i32_e32 v30, v5, v30
	;; [unrolled: 1-line block ×5, first 2 shown]
	v_cndmask_b32_e64 v37, 0, v42, s[2:3]
	s_mov_b32 s19, 0
	v_mov_b32_e32 v1, 0
	v_cmp_lt_i32_e32 vcc, v12, v13
	v_add_u32_e32 v24, v14, v3
	v_add_u32_e32 v25, v15, v5
	;; [unrolled: 1-line block ×5, first 2 shown]
	v_cmp_lt_i32_e64 s[0:1], v23, v29
	v_cmp_lt_i32_e64 s[2:3], v34, v30
	v_cmp_lt_i32_e64 s[4:5], v35, v31
	v_cmp_lt_i32_e64 s[6:7], v36, v32
	v_cmp_lt_i32_e64 s[8:9], v37, v33
	v_add_u32_e32 v38, 32, v0
	s_waitcnt vmcnt(0)
	v_add_u16_e32 v40, 1, v39
	s_branch .LBB81_2
.LBB81_1:                               ;   in Loop: Header=BB81_2 Depth=1
	s_or_b64 exec, exec, s[12:13]
	v_sub_u32_e32 v42, v38, v41
	ds_read_u8 v39, v41
	ds_read_u8 v43, v42
	v_cmp_le_i32_e64 s[10:11], 32, v41
	v_cmp_gt_i32_e64 s[12:13], 64, v42
	s_waitcnt lgkmcnt(0)
	; wave barrier
	s_waitcnt lgkmcnt(0)
	v_cmp_lt_u16_sdwa s[16:17], v43, v39 src0_sel:BYTE_0 src1_sel:BYTE_0
	s_or_b64 s[10:11], s[10:11], s[16:17]
	s_and_b64 s[10:11], s[12:13], s[10:11]
	v_cndmask_b32_e64 v41, v41, v42, s[10:11]
	ds_write_b8 v0, v40
	s_waitcnt lgkmcnt(0)
	; wave barrier
	s_waitcnt lgkmcnt(0)
	ds_read_u8 v40, v41
	s_add_i32 s19, s19, 1
	v_cndmask_b32_e64 v39, v39, v43, s[10:11]
	s_cmp_lg_u32 s19, 10
	s_cbranch_scc0 .LBB81_26
.LBB81_2:                               ; =>This Loop Header: Depth=1
                                        ;     Child Loop BB81_4 Depth 2
                                        ;     Child Loop BB81_8 Depth 2
	;; [unrolled: 1-line block ×6, first 2 shown]
	s_waitcnt lgkmcnt(0)
	; wave barrier
	ds_write_b8 v0, v39
	v_mov_b32_e32 v39, v23
	s_waitcnt lgkmcnt(0)
	; wave barrier
	s_waitcnt lgkmcnt(0)
	s_and_saveexec_b64 s[12:13], s[0:1]
	s_cbranch_execz .LBB81_6
; %bb.3:                                ;   in Loop: Header=BB81_2 Depth=1
	s_mov_b64 s[16:17], 0
	v_mov_b32_e32 v39, v23
	v_mov_b32_e32 v41, v29
.LBB81_4:                               ;   Parent Loop BB81_2 Depth=1
                                        ; =>  This Inner Loop Header: Depth=2
	v_sub_u32_e32 v42, v41, v39
	v_lshrrev_b32_e32 v43, 31, v42
	v_add_u32_e32 v42, v42, v43
	v_ashrrev_i32_e32 v42, 1, v42
	v_add_u32_e32 v42, v42, v39
	v_not_b32_e32 v44, v42
	v_add_u32_e32 v43, v2, v42
	v_add3_u32 v44, v3, v44, v14
	ds_read_u8 v43, v43
	ds_read_u8 v44, v44
	v_add_u32_e32 v45, 1, v42
	s_waitcnt lgkmcnt(0)
	v_cmp_lt_u16_e64 s[10:11], v44, v43
	s_nop 1
	v_cndmask_b32_e64 v41, v41, v42, s[10:11]
	v_cndmask_b32_e64 v39, v45, v39, s[10:11]
	v_cmp_ge_i32_e64 s[10:11], v39, v41
	s_or_b64 s[16:17], s[10:11], s[16:17]
	s_andn2_b64 exec, exec, s[16:17]
	s_cbranch_execnz .LBB81_4
; %bb.5:                                ;   in Loop: Header=BB81_2 Depth=1
	s_or_b64 exec, exec, s[16:17]
.LBB81_6:                               ;   in Loop: Header=BB81_2 Depth=1
	s_or_b64 exec, exec, s[12:13]
	v_add_u32_e32 v41, v39, v2
	v_sub_u32_e32 v39, v24, v39
	ds_read_u8 v42, v41
	ds_read_u8 v43, v39
	v_cmp_le_i32_e64 s[12:13], v14, v41
	v_cmp_ge_i32_e64 s[10:11], v14, v39
	s_waitcnt lgkmcnt(0)
	; wave barrier
	s_waitcnt lgkmcnt(0)
	v_cmp_lt_u16_sdwa s[16:17], v43, v42 src0_sel:BYTE_0 src1_sel:BYTE_0
	s_or_b64 s[12:13], s[12:13], s[16:17]
	s_and_b64 s[10:11], s[10:11], s[12:13]
	v_cndmask_b32_e64 v39, v41, v39, s[10:11]
	ds_write_b8 v0, v40
	s_waitcnt lgkmcnt(0)
	; wave barrier
	s_waitcnt lgkmcnt(0)
	ds_read_u8 v39, v39
	v_cndmask_b32_e64 v42, v42, v43, s[10:11]
	v_mov_b32_e32 v40, v34
	s_waitcnt lgkmcnt(0)
	; wave barrier
	s_waitcnt lgkmcnt(0)
	ds_write_b8 v0, v42
	s_waitcnt lgkmcnt(0)
	; wave barrier
	s_waitcnt lgkmcnt(0)
	s_and_saveexec_b64 s[12:13], s[2:3]
	s_cbranch_execz .LBB81_10
; %bb.7:                                ;   in Loop: Header=BB81_2 Depth=1
	s_mov_b64 s[16:17], 0
	v_mov_b32_e32 v40, v34
	v_mov_b32_e32 v41, v30
.LBB81_8:                               ;   Parent Loop BB81_2 Depth=1
                                        ; =>  This Inner Loop Header: Depth=2
	v_sub_u32_e32 v42, v41, v40
	v_lshrrev_b32_e32 v43, 31, v42
	v_add_u32_e32 v42, v42, v43
	v_ashrrev_i32_e32 v42, 1, v42
	v_add_u32_e32 v42, v42, v40
	v_not_b32_e32 v44, v42
	v_add_u32_e32 v43, v4, v42
	v_add3_u32 v44, v5, v44, v15
	ds_read_u8 v43, v43
	ds_read_u8 v44, v44
	v_add_u32_e32 v45, 1, v42
	s_waitcnt lgkmcnt(0)
	v_cmp_lt_u16_e64 s[10:11], v44, v43
	s_nop 1
	v_cndmask_b32_e64 v41, v41, v42, s[10:11]
	v_cndmask_b32_e64 v40, v45, v40, s[10:11]
	v_cmp_ge_i32_e64 s[10:11], v40, v41
	s_or_b64 s[16:17], s[10:11], s[16:17]
	s_andn2_b64 exec, exec, s[16:17]
	s_cbranch_execnz .LBB81_8
; %bb.9:                                ;   in Loop: Header=BB81_2 Depth=1
	s_or_b64 exec, exec, s[16:17]
.LBB81_10:                              ;   in Loop: Header=BB81_2 Depth=1
	s_or_b64 exec, exec, s[12:13]
	v_add_u32_e32 v41, v40, v4
	v_sub_u32_e32 v40, v25, v40
	ds_read_u8 v42, v41
	ds_read_u8 v43, v40
	v_cmp_le_i32_e64 s[12:13], v15, v41
	v_cmp_gt_i32_e64 s[10:11], v16, v40
	s_waitcnt lgkmcnt(0)
	; wave barrier
	s_waitcnt lgkmcnt(0)
	v_cmp_lt_u16_sdwa s[16:17], v43, v42 src0_sel:BYTE_0 src1_sel:BYTE_0
	s_or_b64 s[12:13], s[12:13], s[16:17]
	s_and_b64 s[10:11], s[10:11], s[12:13]
	v_cndmask_b32_e64 v40, v41, v40, s[10:11]
	ds_write_b8 v0, v39
	s_waitcnt lgkmcnt(0)
	; wave barrier
	s_waitcnt lgkmcnt(0)
	ds_read_u8 v39, v40
	v_cndmask_b32_e64 v42, v42, v43, s[10:11]
	v_mov_b32_e32 v40, v35
	s_waitcnt lgkmcnt(0)
	; wave barrier
	s_waitcnt lgkmcnt(0)
	ds_write_b8 v0, v42
	s_waitcnt lgkmcnt(0)
	; wave barrier
	s_waitcnt lgkmcnt(0)
	s_and_saveexec_b64 s[12:13], s[4:5]
	s_cbranch_execz .LBB81_14
; %bb.11:                               ;   in Loop: Header=BB81_2 Depth=1
	s_mov_b64 s[16:17], 0
	v_mov_b32_e32 v40, v35
	v_mov_b32_e32 v41, v31
.LBB81_12:                              ;   Parent Loop BB81_2 Depth=1
                                        ; =>  This Inner Loop Header: Depth=2
	v_sub_u32_e32 v42, v41, v40
	v_lshrrev_b32_e32 v43, 31, v42
	v_add_u32_e32 v42, v42, v43
	v_ashrrev_i32_e32 v42, 1, v42
	v_add_u32_e32 v42, v42, v40
	v_not_b32_e32 v44, v42
	v_add_u32_e32 v43, v6, v42
	v_add3_u32 v44, v7, v44, v17
	ds_read_u8 v43, v43
	ds_read_u8 v44, v44
	v_add_u32_e32 v45, 1, v42
	s_waitcnt lgkmcnt(0)
	v_cmp_lt_u16_e64 s[10:11], v44, v43
	s_nop 1
	v_cndmask_b32_e64 v41, v41, v42, s[10:11]
	v_cndmask_b32_e64 v40, v45, v40, s[10:11]
	v_cmp_ge_i32_e64 s[10:11], v40, v41
	s_or_b64 s[16:17], s[10:11], s[16:17]
	s_andn2_b64 exec, exec, s[16:17]
	s_cbranch_execnz .LBB81_12
; %bb.13:                               ;   in Loop: Header=BB81_2 Depth=1
	s_or_b64 exec, exec, s[16:17]
.LBB81_14:                              ;   in Loop: Header=BB81_2 Depth=1
	s_or_b64 exec, exec, s[12:13]
	v_add_u32_e32 v41, v40, v6
	v_sub_u32_e32 v40, v26, v40
	ds_read_u8 v42, v41
	ds_read_u8 v43, v40
	v_cmp_le_i32_e64 s[12:13], v17, v41
	v_cmp_gt_i32_e64 s[10:11], v18, v40
	s_waitcnt lgkmcnt(0)
	; wave barrier
	s_waitcnt lgkmcnt(0)
	v_cmp_lt_u16_sdwa s[16:17], v43, v42 src0_sel:BYTE_0 src1_sel:BYTE_0
	s_or_b64 s[12:13], s[12:13], s[16:17]
	s_and_b64 s[10:11], s[10:11], s[12:13]
	v_cndmask_b32_e64 v40, v41, v40, s[10:11]
	ds_write_b8 v0, v39
	s_waitcnt lgkmcnt(0)
	; wave barrier
	s_waitcnt lgkmcnt(0)
	ds_read_u8 v39, v40
	v_cndmask_b32_e64 v42, v42, v43, s[10:11]
	v_mov_b32_e32 v40, v36
	s_waitcnt lgkmcnt(0)
	; wave barrier
	s_waitcnt lgkmcnt(0)
	ds_write_b8 v0, v42
	s_waitcnt lgkmcnt(0)
	; wave barrier
	s_waitcnt lgkmcnt(0)
	s_and_saveexec_b64 s[12:13], s[6:7]
	s_cbranch_execz .LBB81_18
; %bb.15:                               ;   in Loop: Header=BB81_2 Depth=1
	s_mov_b64 s[16:17], 0
	v_mov_b32_e32 v40, v36
	v_mov_b32_e32 v41, v32
.LBB81_16:                              ;   Parent Loop BB81_2 Depth=1
                                        ; =>  This Inner Loop Header: Depth=2
	v_sub_u32_e32 v42, v41, v40
	v_lshrrev_b32_e32 v43, 31, v42
	v_add_u32_e32 v42, v42, v43
	v_ashrrev_i32_e32 v42, 1, v42
	v_add_u32_e32 v42, v42, v40
	v_not_b32_e32 v44, v42
	v_add_u32_e32 v43, v8, v42
	v_add3_u32 v44, v9, v44, v19
	ds_read_u8 v43, v43
	ds_read_u8 v44, v44
	v_add_u32_e32 v45, 1, v42
	s_waitcnt lgkmcnt(0)
	v_cmp_lt_u16_e64 s[10:11], v44, v43
	s_nop 1
	v_cndmask_b32_e64 v41, v41, v42, s[10:11]
	v_cndmask_b32_e64 v40, v45, v40, s[10:11]
	v_cmp_ge_i32_e64 s[10:11], v40, v41
	s_or_b64 s[16:17], s[10:11], s[16:17]
	s_andn2_b64 exec, exec, s[16:17]
	s_cbranch_execnz .LBB81_16
; %bb.17:                               ;   in Loop: Header=BB81_2 Depth=1
	s_or_b64 exec, exec, s[16:17]
.LBB81_18:                              ;   in Loop: Header=BB81_2 Depth=1
	;; [unrolled: 59-line block ×3, first 2 shown]
	s_or_b64 exec, exec, s[12:13]
	v_add_u32_e32 v41, v40, v10
	v_sub_u32_e32 v40, v28, v40
	ds_read_u8 v42, v41
	ds_read_u8 v43, v40
	v_cmp_le_i32_e64 s[12:13], v21, v41
	v_cmp_gt_i32_e64 s[10:11], v22, v40
	s_waitcnt lgkmcnt(0)
	; wave barrier
	s_waitcnt lgkmcnt(0)
	v_cmp_lt_u16_sdwa s[16:17], v43, v42 src0_sel:BYTE_0 src1_sel:BYTE_0
	s_or_b64 s[12:13], s[12:13], s[16:17]
	s_and_b64 s[10:11], s[10:11], s[12:13]
	v_cndmask_b32_e64 v40, v41, v40, s[10:11]
	ds_write_b8 v0, v39
	s_waitcnt lgkmcnt(0)
	; wave barrier
	s_waitcnt lgkmcnt(0)
	ds_read_u8 v40, v40
	v_cndmask_b32_e64 v42, v42, v43, s[10:11]
	v_mov_b32_e32 v41, v12
	s_waitcnt lgkmcnt(0)
	; wave barrier
	s_waitcnt lgkmcnt(0)
	ds_write_b8 v0, v42
	s_waitcnt lgkmcnt(0)
	; wave barrier
	s_waitcnt lgkmcnt(0)
	s_and_saveexec_b64 s[12:13], vcc
	s_cbranch_execz .LBB81_1
; %bb.23:                               ;   in Loop: Header=BB81_2 Depth=1
	s_mov_b64 s[16:17], 0
	v_mov_b32_e32 v41, v12
	v_mov_b32_e32 v39, v13
.LBB81_24:                              ;   Parent Loop BB81_2 Depth=1
                                        ; =>  This Inner Loop Header: Depth=2
	v_sub_u32_e32 v42, v39, v41
	v_lshrrev_b32_e32 v43, 31, v42
	v_add_u32_e32 v42, v42, v43
	v_ashrrev_i32_e32 v42, 1, v42
	v_add_u32_e32 v42, v42, v41
	v_not_b32_e32 v43, v42
	v_add3_u32 v43, v0, v43, 32
	ds_read_u8 v44, v42
	ds_read_u8 v43, v43
	v_add_u32_e32 v45, 1, v42
	s_waitcnt lgkmcnt(0)
	v_cmp_lt_u16_e64 s[10:11], v43, v44
	s_nop 1
	v_cndmask_b32_e64 v39, v39, v42, s[10:11]
	v_cndmask_b32_e64 v41, v45, v41, s[10:11]
	v_cmp_ge_i32_e64 s[10:11], v41, v39
	s_or_b64 s[16:17], s[10:11], s[16:17]
	s_andn2_b64 exec, exec, s[16:17]
	s_cbranch_execnz .LBB81_24
; %bb.25:                               ;   in Loop: Header=BB81_2 Depth=1
	s_or_b64 exec, exec, s[16:17]
	s_branch .LBB81_1
.LBB81_26:
	s_add_u32 s0, s14, s18
	s_addc_u32 s1, s15, 0
	s_waitcnt lgkmcnt(0)
	v_add_u16_e32 v2, v39, v40
	v_lshl_add_u64 v[0:1], s[0:1], 0, v[0:1]
	global_store_byte v[0:1], v2, off
	s_endpgm
	.section	.rodata,"a",@progbits
	.p2align	6, 0x0
	.amdhsa_kernel _Z17sort_pairs_kernelIhLj64ELj1EN10test_utils4lessELj10EEvPKT_PS2_T2_
		.amdhsa_group_segment_fixed_size 65
		.amdhsa_private_segment_fixed_size 0
		.amdhsa_kernarg_size 20
		.amdhsa_user_sgpr_count 2
		.amdhsa_user_sgpr_dispatch_ptr 0
		.amdhsa_user_sgpr_queue_ptr 0
		.amdhsa_user_sgpr_kernarg_segment_ptr 1
		.amdhsa_user_sgpr_dispatch_id 0
		.amdhsa_user_sgpr_kernarg_preload_length 0
		.amdhsa_user_sgpr_kernarg_preload_offset 0
		.amdhsa_user_sgpr_private_segment_size 0
		.amdhsa_uses_dynamic_stack 0
		.amdhsa_enable_private_segment 0
		.amdhsa_system_sgpr_workgroup_id_x 1
		.amdhsa_system_sgpr_workgroup_id_y 0
		.amdhsa_system_sgpr_workgroup_id_z 0
		.amdhsa_system_sgpr_workgroup_info 0
		.amdhsa_system_vgpr_workitem_id 0
		.amdhsa_next_free_vgpr 46
		.amdhsa_next_free_sgpr 20
		.amdhsa_accum_offset 48
		.amdhsa_reserve_vcc 1
		.amdhsa_float_round_mode_32 0
		.amdhsa_float_round_mode_16_64 0
		.amdhsa_float_denorm_mode_32 3
		.amdhsa_float_denorm_mode_16_64 3
		.amdhsa_dx10_clamp 1
		.amdhsa_ieee_mode 1
		.amdhsa_fp16_overflow 0
		.amdhsa_tg_split 0
		.amdhsa_exception_fp_ieee_invalid_op 0
		.amdhsa_exception_fp_denorm_src 0
		.amdhsa_exception_fp_ieee_div_zero 0
		.amdhsa_exception_fp_ieee_overflow 0
		.amdhsa_exception_fp_ieee_underflow 0
		.amdhsa_exception_fp_ieee_inexact 0
		.amdhsa_exception_int_div_zero 0
	.end_amdhsa_kernel
	.section	.text._Z17sort_pairs_kernelIhLj64ELj1EN10test_utils4lessELj10EEvPKT_PS2_T2_,"axG",@progbits,_Z17sort_pairs_kernelIhLj64ELj1EN10test_utils4lessELj10EEvPKT_PS2_T2_,comdat
.Lfunc_end81:
	.size	_Z17sort_pairs_kernelIhLj64ELj1EN10test_utils4lessELj10EEvPKT_PS2_T2_, .Lfunc_end81-_Z17sort_pairs_kernelIhLj64ELj1EN10test_utils4lessELj10EEvPKT_PS2_T2_
                                        ; -- End function
	.section	.AMDGPU.csdata,"",@progbits
; Kernel info:
; codeLenInByte = 2012
; NumSgprs: 26
; NumVgprs: 46
; NumAgprs: 0
; TotalNumVgprs: 46
; ScratchSize: 0
; MemoryBound: 0
; FloatMode: 240
; IeeeMode: 1
; LDSByteSize: 65 bytes/workgroup (compile time only)
; SGPRBlocks: 3
; VGPRBlocks: 5
; NumSGPRsForWavesPerEU: 26
; NumVGPRsForWavesPerEU: 46
; AccumOffset: 48
; Occupancy: 8
; WaveLimiterHint : 0
; COMPUTE_PGM_RSRC2:SCRATCH_EN: 0
; COMPUTE_PGM_RSRC2:USER_SGPR: 2
; COMPUTE_PGM_RSRC2:TRAP_HANDLER: 0
; COMPUTE_PGM_RSRC2:TGID_X_EN: 1
; COMPUTE_PGM_RSRC2:TGID_Y_EN: 0
; COMPUTE_PGM_RSRC2:TGID_Z_EN: 0
; COMPUTE_PGM_RSRC2:TIDIG_COMP_CNT: 0
; COMPUTE_PGM_RSRC3_GFX90A:ACCUM_OFFSET: 11
; COMPUTE_PGM_RSRC3_GFX90A:TG_SPLIT: 0
	.section	.text._Z16sort_keys_kernelIhLj64ELj2EN10test_utils4lessELj10EEvPKT_PS2_T2_,"axG",@progbits,_Z16sort_keys_kernelIhLj64ELj2EN10test_utils4lessELj10EEvPKT_PS2_T2_,comdat
	.protected	_Z16sort_keys_kernelIhLj64ELj2EN10test_utils4lessELj10EEvPKT_PS2_T2_ ; -- Begin function _Z16sort_keys_kernelIhLj64ELj2EN10test_utils4lessELj10EEvPKT_PS2_T2_
	.globl	_Z16sort_keys_kernelIhLj64ELj2EN10test_utils4lessELj10EEvPKT_PS2_T2_
	.p2align	8
	.type	_Z16sort_keys_kernelIhLj64ELj2EN10test_utils4lessELj10EEvPKT_PS2_T2_,@function
_Z16sort_keys_kernelIhLj64ELj2EN10test_utils4lessELj10EEvPKT_PS2_T2_: ; @_Z16sort_keys_kernelIhLj64ELj2EN10test_utils4lessELj10EEvPKT_PS2_T2_
; %bb.0:
	s_load_dwordx4 s[12:15], s[0:1], 0x0
	s_lshl_b32 s18, s2, 7
	v_lshlrev_b32_e32 v2, 1, v0
	v_and_b32_e32 v3, 0x7c, v2
	v_and_b32_e32 v5, 0x78, v2
	s_waitcnt lgkmcnt(0)
	s_add_u32 s0, s12, s18
	s_addc_u32 s1, s13, 0
	global_load_ubyte v41, v0, s[0:1] offset:64
	global_load_ubyte v42, v0, s[0:1]
	v_or_b32_e32 v16, 2, v3
	v_add_u32_e32 v17, 4, v3
	v_and_b32_e32 v4, 2, v2
	v_and_b32_e32 v7, 0x70, v2
	v_or_b32_e32 v18, 4, v5
	v_add_u32_e32 v19, 8, v5
	v_sub_u32_e32 v36, v17, v16
	v_and_b32_e32 v6, 6, v2
	v_and_b32_e32 v9, 0x60, v2
	v_or_b32_e32 v20, 8, v7
	v_add_u32_e32 v21, 16, v7
	v_sub_u32_e32 v37, v19, v18
	v_sub_u32_e32 v43, v4, v36
	v_cmp_ge_i32_e64 s[0:1], v4, v36
	v_and_b32_e32 v8, 14, v2
	v_and_b32_e32 v11, 64, v2
	v_or_b32_e32 v22, 16, v9
	v_add_u32_e32 v23, 32, v9
	v_sub_u32_e32 v38, v21, v20
	v_sub_u32_e32 v44, v6, v37
	v_cndmask_b32_e64 v36, 0, v43, s[0:1]
	v_cmp_ge_i32_e64 s[0:1], v6, v37
	v_and_b32_e32 v10, 30, v2
	v_or_b32_e32 v24, 32, v11
	v_add_u32_e32 v25, 64, v11
	v_sub_u32_e32 v39, v23, v22
	v_sub_u32_e32 v45, v8, v38
	v_cndmask_b32_e64 v37, 0, v44, s[0:1]
	v_cmp_ge_i32_e64 s[0:1], v8, v38
	v_and_b32_e32 v12, 62, v2
	v_sub_u32_e32 v40, v25, v24
	v_sub_u32_e32 v46, v10, v39
	v_cndmask_b32_e64 v38, 0, v45, s[0:1]
	v_cmp_ge_i32_e64 s[0:1], v10, v39
	v_sub_u32_e32 v31, v16, v3
	v_sub_u32_e32 v32, v18, v5
	;; [unrolled: 1-line block ×6, first 2 shown]
	v_cndmask_b32_e64 v39, 0, v46, s[0:1]
	v_cmp_ge_i32_e64 s[0:1], v12, v40
	v_sub_u32_e64 v13, v2, 64 clamp
	v_min_i32_e32 v14, 64, v2
	v_min_i32_e32 v31, v4, v31
	;; [unrolled: 1-line block ×6, first 2 shown]
	v_cndmask_b32_e64 v40, 0, v47, s[0:1]
	s_mov_b32 s19, 0
	v_mov_b32_e32 v1, 0
	s_mov_b32 s20, 0xc0c0001
	v_add_u32_e32 v15, 64, v2
	v_cmp_lt_i32_e32 vcc, v13, v14
	v_add_u32_e32 v26, v16, v4
	v_add_u32_e32 v27, v18, v6
	;; [unrolled: 1-line block ×5, first 2 shown]
	v_cmp_lt_i32_e64 s[0:1], v36, v31
	v_cmp_lt_i32_e64 s[2:3], v37, v32
	;; [unrolled: 1-line block ×5, first 2 shown]
	s_movk_i32 s21, 0x80
	s_waitcnt vmcnt(1)
	v_lshlrev_b16_e32 v41, 8, v41
	s_waitcnt vmcnt(0)
	v_or_b32_e32 v41, v42, v41
	v_and_b32_e32 v43, 0xffff, v41
	s_branch .LBB82_2
.LBB82_1:                               ;   in Loop: Header=BB82_2 Depth=1
	s_or_b64 exec, exec, s[12:13]
	v_cmp_le_i32_e64 s[12:13], 64, v47
	s_waitcnt lgkmcnt(0)
	v_cmp_lt_u16_sdwa s[16:17], v45, v46 src0_sel:BYTE_0 src1_sel:BYTE_0
	v_cndmask_b32_e64 v41, v42, v44, s[10:11]
	v_cmp_gt_i32_e64 s[10:11], s21, v43
	s_or_b64 s[12:13], s[12:13], s[16:17]
	s_and_b64 s[10:11], s[10:11], s[12:13]
	v_cndmask_b32_e64 v42, v46, v45, s[10:11]
	v_lshlrev_b16_e32 v43, 8, v42
	v_or_b32_sdwa v43, v41, v43 dst_sel:DWORD dst_unused:UNUSED_PAD src0_sel:BYTE_0 src1_sel:DWORD
	s_add_i32 s19, s19, 1
	s_cmp_eq_u32 s19, 10
	v_and_b32_e32 v43, 0xffff, v43
	s_cbranch_scc1 .LBB82_50
.LBB82_2:                               ; =>This Loop Header: Depth=1
                                        ;     Child Loop BB82_4 Depth 2
                                        ;     Child Loop BB82_12 Depth 2
	;; [unrolled: 1-line block ×6, first 2 shown]
	v_perm_b32 v41, 0, v43, s20
	v_cmp_lt_u16_sdwa s[10:11], v43, v43 src0_sel:BYTE_1 src1_sel:BYTE_0
	s_waitcnt lgkmcnt(0)
	; wave barrier
	s_nop 0
	v_cndmask_b32_e64 v41, v43, v41, s[10:11]
	ds_write_b8 v2, v41
	v_lshrrev_b16_e32 v41, 8, v41
	v_mov_b32_e32 v42, v36
	ds_write_b8 v2, v41 offset:1
	s_waitcnt lgkmcnt(0)
	; wave barrier
	s_waitcnt lgkmcnt(0)
	s_and_saveexec_b64 s[12:13], s[0:1]
	s_cbranch_execz .LBB82_6
; %bb.3:                                ;   in Loop: Header=BB82_2 Depth=1
	s_mov_b64 s[16:17], 0
	v_mov_b32_e32 v42, v36
	v_mov_b32_e32 v41, v31
.LBB82_4:                               ;   Parent Loop BB82_2 Depth=1
                                        ; =>  This Inner Loop Header: Depth=2
	v_sub_u32_e32 v43, v41, v42
	v_lshrrev_b32_e32 v44, 31, v43
	v_add_u32_e32 v43, v43, v44
	v_ashrrev_i32_e32 v43, 1, v43
	v_add_u32_e32 v43, v43, v42
	v_not_b32_e32 v45, v43
	v_add_u32_e32 v44, v3, v43
	v_add3_u32 v45, v4, v45, v16
	ds_read_u8 v44, v44
	ds_read_u8 v45, v45
	v_add_u32_e32 v46, 1, v43
	s_waitcnt lgkmcnt(0)
	v_cmp_lt_u16_e64 s[10:11], v45, v44
	s_nop 1
	v_cndmask_b32_e64 v41, v41, v43, s[10:11]
	v_cndmask_b32_e64 v42, v46, v42, s[10:11]
	v_cmp_ge_i32_e64 s[10:11], v42, v41
	s_or_b64 s[16:17], s[10:11], s[16:17]
	s_andn2_b64 exec, exec, s[16:17]
	s_cbranch_execnz .LBB82_4
; %bb.5:                                ;   in Loop: Header=BB82_2 Depth=1
	s_or_b64 exec, exec, s[16:17]
.LBB82_6:                               ;   in Loop: Header=BB82_2 Depth=1
	s_or_b64 exec, exec, s[12:13]
	v_add_u32_e32 v41, v42, v3
	v_sub_u32_e32 v42, v26, v42
	ds_read_u8 v43, v41
	ds_read_u8 v44, v42
	v_cmp_le_i32_e64 s[12:13], v16, v41
	v_cmp_gt_i32_e64 s[10:11], v17, v42
                                        ; implicit-def: $vgpr45
                                        ; implicit-def: $vgpr46
	s_waitcnt lgkmcnt(0)
	v_cmp_lt_u16_sdwa s[16:17], v44, v43 src0_sel:BYTE_0 src1_sel:BYTE_0
	s_or_b64 s[12:13], s[12:13], s[16:17]
	s_and_b64 s[10:11], s[10:11], s[12:13]
	s_xor_b64 s[12:13], s[10:11], -1
	s_and_saveexec_b64 s[16:17], s[12:13]
	s_xor_b64 s[12:13], exec, s[16:17]
	s_cbranch_execz .LBB82_8
; %bb.7:                                ;   in Loop: Header=BB82_2 Depth=1
	ds_read_u8 v46, v41 offset:1
	v_mov_b32_e32 v45, v44
.LBB82_8:                               ;   in Loop: Header=BB82_2 Depth=1
	s_andn2_saveexec_b64 s[12:13], s[12:13]
	s_cbranch_execz .LBB82_10
; %bb.9:                                ;   in Loop: Header=BB82_2 Depth=1
	ds_read_u8 v45, v42 offset:1
	s_waitcnt lgkmcnt(1)
	v_mov_b32_e32 v46, v43
.LBB82_10:                              ;   in Loop: Header=BB82_2 Depth=1
	s_or_b64 exec, exec, s[12:13]
	v_add_u32_e32 v47, 1, v41
	v_cndmask_b32_e64 v43, v43, v44, s[10:11]
	v_add_u32_e32 v44, 1, v42
	v_cndmask_b32_e64 v41, v47, v41, s[10:11]
	v_cndmask_b32_e64 v42, v42, v44, s[10:11]
	v_cmp_ge_i32_e64 s[12:13], v41, v16
	s_waitcnt lgkmcnt(0)
	v_cmp_lt_u16_sdwa s[16:17], v45, v46 src0_sel:BYTE_0 src1_sel:BYTE_0
	v_cmp_lt_i32_e64 s[10:11], v42, v17
	s_or_b64 s[12:13], s[12:13], s[16:17]
	s_and_b64 s[10:11], s[10:11], s[12:13]
	v_cndmask_b32_e64 v41, v46, v45, s[10:11]
	s_waitcnt lgkmcnt(0)
	; wave barrier
	ds_write_b8 v2, v43
	ds_write_b8 v2, v41 offset:1
	v_mov_b32_e32 v41, v37
	s_waitcnt lgkmcnt(0)
	; wave barrier
	s_waitcnt lgkmcnt(0)
	s_and_saveexec_b64 s[12:13], s[2:3]
	s_cbranch_execz .LBB82_14
; %bb.11:                               ;   in Loop: Header=BB82_2 Depth=1
	s_mov_b64 s[16:17], 0
	v_mov_b32_e32 v41, v37
	v_mov_b32_e32 v42, v32
.LBB82_12:                              ;   Parent Loop BB82_2 Depth=1
                                        ; =>  This Inner Loop Header: Depth=2
	v_sub_u32_e32 v43, v42, v41
	v_lshrrev_b32_e32 v44, 31, v43
	v_add_u32_e32 v43, v43, v44
	v_ashrrev_i32_e32 v43, 1, v43
	v_add_u32_e32 v43, v43, v41
	v_not_b32_e32 v45, v43
	v_add_u32_e32 v44, v5, v43
	v_add3_u32 v45, v6, v45, v18
	ds_read_u8 v44, v44
	ds_read_u8 v45, v45
	v_add_u32_e32 v46, 1, v43
	s_waitcnt lgkmcnt(0)
	v_cmp_lt_u16_e64 s[10:11], v45, v44
	s_nop 1
	v_cndmask_b32_e64 v42, v42, v43, s[10:11]
	v_cndmask_b32_e64 v41, v46, v41, s[10:11]
	v_cmp_ge_i32_e64 s[10:11], v41, v42
	s_or_b64 s[16:17], s[10:11], s[16:17]
	s_andn2_b64 exec, exec, s[16:17]
	s_cbranch_execnz .LBB82_12
; %bb.13:                               ;   in Loop: Header=BB82_2 Depth=1
	s_or_b64 exec, exec, s[16:17]
.LBB82_14:                              ;   in Loop: Header=BB82_2 Depth=1
	s_or_b64 exec, exec, s[12:13]
	v_add_u32_e32 v42, v41, v5
	v_sub_u32_e32 v41, v27, v41
	ds_read_u8 v43, v42
	ds_read_u8 v44, v41
	v_cmp_le_i32_e64 s[12:13], v18, v42
	v_cmp_gt_i32_e64 s[10:11], v19, v41
                                        ; implicit-def: $vgpr45
                                        ; implicit-def: $vgpr46
	s_waitcnt lgkmcnt(0)
	v_cmp_lt_u16_sdwa s[16:17], v44, v43 src0_sel:BYTE_0 src1_sel:BYTE_0
	s_or_b64 s[12:13], s[12:13], s[16:17]
	s_and_b64 s[10:11], s[10:11], s[12:13]
	s_xor_b64 s[12:13], s[10:11], -1
	s_and_saveexec_b64 s[16:17], s[12:13]
	s_xor_b64 s[12:13], exec, s[16:17]
	s_cbranch_execz .LBB82_16
; %bb.15:                               ;   in Loop: Header=BB82_2 Depth=1
	ds_read_u8 v46, v42 offset:1
	v_mov_b32_e32 v45, v44
.LBB82_16:                              ;   in Loop: Header=BB82_2 Depth=1
	s_andn2_saveexec_b64 s[12:13], s[12:13]
	s_cbranch_execz .LBB82_18
; %bb.17:                               ;   in Loop: Header=BB82_2 Depth=1
	ds_read_u8 v45, v41 offset:1
	s_waitcnt lgkmcnt(1)
	v_mov_b32_e32 v46, v43
.LBB82_18:                              ;   in Loop: Header=BB82_2 Depth=1
	s_or_b64 exec, exec, s[12:13]
	v_add_u32_e32 v47, 1, v42
	v_cndmask_b32_e64 v43, v43, v44, s[10:11]
	v_add_u32_e32 v44, 1, v41
	v_cndmask_b32_e64 v42, v47, v42, s[10:11]
	v_cndmask_b32_e64 v41, v41, v44, s[10:11]
	v_cmp_ge_i32_e64 s[12:13], v42, v18
	s_waitcnt lgkmcnt(0)
	v_cmp_lt_u16_sdwa s[16:17], v45, v46 src0_sel:BYTE_0 src1_sel:BYTE_0
	v_cmp_lt_i32_e64 s[10:11], v41, v19
	s_or_b64 s[12:13], s[12:13], s[16:17]
	s_and_b64 s[10:11], s[10:11], s[12:13]
	v_cndmask_b32_e64 v41, v46, v45, s[10:11]
	s_waitcnt lgkmcnt(0)
	; wave barrier
	ds_write_b8 v2, v43
	ds_write_b8 v2, v41 offset:1
	v_mov_b32_e32 v41, v38
	s_waitcnt lgkmcnt(0)
	; wave barrier
	s_waitcnt lgkmcnt(0)
	s_and_saveexec_b64 s[12:13], s[4:5]
	s_cbranch_execz .LBB82_22
; %bb.19:                               ;   in Loop: Header=BB82_2 Depth=1
	s_mov_b64 s[16:17], 0
	v_mov_b32_e32 v41, v38
	v_mov_b32_e32 v42, v33
.LBB82_20:                              ;   Parent Loop BB82_2 Depth=1
                                        ; =>  This Inner Loop Header: Depth=2
	v_sub_u32_e32 v43, v42, v41
	v_lshrrev_b32_e32 v44, 31, v43
	v_add_u32_e32 v43, v43, v44
	v_ashrrev_i32_e32 v43, 1, v43
	v_add_u32_e32 v43, v43, v41
	v_not_b32_e32 v45, v43
	v_add_u32_e32 v44, v7, v43
	v_add3_u32 v45, v8, v45, v20
	ds_read_u8 v44, v44
	ds_read_u8 v45, v45
	v_add_u32_e32 v46, 1, v43
	s_waitcnt lgkmcnt(0)
	v_cmp_lt_u16_e64 s[10:11], v45, v44
	s_nop 1
	v_cndmask_b32_e64 v42, v42, v43, s[10:11]
	v_cndmask_b32_e64 v41, v46, v41, s[10:11]
	v_cmp_ge_i32_e64 s[10:11], v41, v42
	s_or_b64 s[16:17], s[10:11], s[16:17]
	s_andn2_b64 exec, exec, s[16:17]
	s_cbranch_execnz .LBB82_20
; %bb.21:                               ;   in Loop: Header=BB82_2 Depth=1
	s_or_b64 exec, exec, s[16:17]
.LBB82_22:                              ;   in Loop: Header=BB82_2 Depth=1
	s_or_b64 exec, exec, s[12:13]
	v_add_u32_e32 v42, v41, v7
	v_sub_u32_e32 v41, v28, v41
	ds_read_u8 v43, v42
	ds_read_u8 v44, v41
	v_cmp_le_i32_e64 s[12:13], v20, v42
	v_cmp_gt_i32_e64 s[10:11], v21, v41
                                        ; implicit-def: $vgpr45
                                        ; implicit-def: $vgpr46
	s_waitcnt lgkmcnt(0)
	v_cmp_lt_u16_sdwa s[16:17], v44, v43 src0_sel:BYTE_0 src1_sel:BYTE_0
	s_or_b64 s[12:13], s[12:13], s[16:17]
	s_and_b64 s[10:11], s[10:11], s[12:13]
	s_xor_b64 s[12:13], s[10:11], -1
	s_and_saveexec_b64 s[16:17], s[12:13]
	s_xor_b64 s[12:13], exec, s[16:17]
	s_cbranch_execz .LBB82_24
; %bb.23:                               ;   in Loop: Header=BB82_2 Depth=1
	ds_read_u8 v46, v42 offset:1
	v_mov_b32_e32 v45, v44
.LBB82_24:                              ;   in Loop: Header=BB82_2 Depth=1
	s_andn2_saveexec_b64 s[12:13], s[12:13]
	s_cbranch_execz .LBB82_26
; %bb.25:                               ;   in Loop: Header=BB82_2 Depth=1
	ds_read_u8 v45, v41 offset:1
	s_waitcnt lgkmcnt(1)
	v_mov_b32_e32 v46, v43
.LBB82_26:                              ;   in Loop: Header=BB82_2 Depth=1
	s_or_b64 exec, exec, s[12:13]
	v_add_u32_e32 v47, 1, v42
	v_cndmask_b32_e64 v43, v43, v44, s[10:11]
	v_add_u32_e32 v44, 1, v41
	v_cndmask_b32_e64 v42, v47, v42, s[10:11]
	v_cndmask_b32_e64 v41, v41, v44, s[10:11]
	v_cmp_ge_i32_e64 s[12:13], v42, v20
	s_waitcnt lgkmcnt(0)
	v_cmp_lt_u16_sdwa s[16:17], v45, v46 src0_sel:BYTE_0 src1_sel:BYTE_0
	v_cmp_lt_i32_e64 s[10:11], v41, v21
	s_or_b64 s[12:13], s[12:13], s[16:17]
	s_and_b64 s[10:11], s[10:11], s[12:13]
	v_cndmask_b32_e64 v41, v46, v45, s[10:11]
	s_waitcnt lgkmcnt(0)
	; wave barrier
	ds_write_b8 v2, v43
	ds_write_b8 v2, v41 offset:1
	v_mov_b32_e32 v41, v39
	s_waitcnt lgkmcnt(0)
	; wave barrier
	s_waitcnt lgkmcnt(0)
	s_and_saveexec_b64 s[12:13], s[6:7]
	s_cbranch_execz .LBB82_30
; %bb.27:                               ;   in Loop: Header=BB82_2 Depth=1
	s_mov_b64 s[16:17], 0
	v_mov_b32_e32 v41, v39
	v_mov_b32_e32 v42, v34
.LBB82_28:                              ;   Parent Loop BB82_2 Depth=1
                                        ; =>  This Inner Loop Header: Depth=2
	v_sub_u32_e32 v43, v42, v41
	v_lshrrev_b32_e32 v44, 31, v43
	v_add_u32_e32 v43, v43, v44
	v_ashrrev_i32_e32 v43, 1, v43
	v_add_u32_e32 v43, v43, v41
	v_not_b32_e32 v45, v43
	v_add_u32_e32 v44, v9, v43
	v_add3_u32 v45, v10, v45, v22
	ds_read_u8 v44, v44
	ds_read_u8 v45, v45
	v_add_u32_e32 v46, 1, v43
	s_waitcnt lgkmcnt(0)
	v_cmp_lt_u16_e64 s[10:11], v45, v44
	s_nop 1
	v_cndmask_b32_e64 v42, v42, v43, s[10:11]
	v_cndmask_b32_e64 v41, v46, v41, s[10:11]
	v_cmp_ge_i32_e64 s[10:11], v41, v42
	s_or_b64 s[16:17], s[10:11], s[16:17]
	s_andn2_b64 exec, exec, s[16:17]
	s_cbranch_execnz .LBB82_28
; %bb.29:                               ;   in Loop: Header=BB82_2 Depth=1
	s_or_b64 exec, exec, s[16:17]
.LBB82_30:                              ;   in Loop: Header=BB82_2 Depth=1
	s_or_b64 exec, exec, s[12:13]
	v_add_u32_e32 v42, v41, v9
	v_sub_u32_e32 v41, v29, v41
	ds_read_u8 v43, v42
	ds_read_u8 v44, v41
	v_cmp_le_i32_e64 s[12:13], v22, v42
	v_cmp_gt_i32_e64 s[10:11], v23, v41
                                        ; implicit-def: $vgpr45
                                        ; implicit-def: $vgpr46
	s_waitcnt lgkmcnt(0)
	v_cmp_lt_u16_sdwa s[16:17], v44, v43 src0_sel:BYTE_0 src1_sel:BYTE_0
	s_or_b64 s[12:13], s[12:13], s[16:17]
	s_and_b64 s[10:11], s[10:11], s[12:13]
	s_xor_b64 s[12:13], s[10:11], -1
	s_and_saveexec_b64 s[16:17], s[12:13]
	s_xor_b64 s[12:13], exec, s[16:17]
	s_cbranch_execz .LBB82_32
; %bb.31:                               ;   in Loop: Header=BB82_2 Depth=1
	ds_read_u8 v46, v42 offset:1
	v_mov_b32_e32 v45, v44
.LBB82_32:                              ;   in Loop: Header=BB82_2 Depth=1
	s_andn2_saveexec_b64 s[12:13], s[12:13]
	s_cbranch_execz .LBB82_34
; %bb.33:                               ;   in Loop: Header=BB82_2 Depth=1
	ds_read_u8 v45, v41 offset:1
	s_waitcnt lgkmcnt(1)
	v_mov_b32_e32 v46, v43
.LBB82_34:                              ;   in Loop: Header=BB82_2 Depth=1
	s_or_b64 exec, exec, s[12:13]
	v_add_u32_e32 v47, 1, v42
	v_cndmask_b32_e64 v43, v43, v44, s[10:11]
	v_add_u32_e32 v44, 1, v41
	v_cndmask_b32_e64 v42, v47, v42, s[10:11]
	v_cndmask_b32_e64 v41, v41, v44, s[10:11]
	v_cmp_ge_i32_e64 s[12:13], v42, v22
	s_waitcnt lgkmcnt(0)
	v_cmp_lt_u16_sdwa s[16:17], v45, v46 src0_sel:BYTE_0 src1_sel:BYTE_0
	v_cmp_lt_i32_e64 s[10:11], v41, v23
	s_or_b64 s[12:13], s[12:13], s[16:17]
	s_and_b64 s[10:11], s[10:11], s[12:13]
	v_cndmask_b32_e64 v41, v46, v45, s[10:11]
	s_waitcnt lgkmcnt(0)
	; wave barrier
	ds_write_b8 v2, v43
	ds_write_b8 v2, v41 offset:1
	v_mov_b32_e32 v41, v40
	s_waitcnt lgkmcnt(0)
	; wave barrier
	s_waitcnt lgkmcnt(0)
	s_and_saveexec_b64 s[12:13], s[8:9]
	s_cbranch_execz .LBB82_38
; %bb.35:                               ;   in Loop: Header=BB82_2 Depth=1
	s_mov_b64 s[16:17], 0
	v_mov_b32_e32 v41, v40
	v_mov_b32_e32 v42, v35
.LBB82_36:                              ;   Parent Loop BB82_2 Depth=1
                                        ; =>  This Inner Loop Header: Depth=2
	v_sub_u32_e32 v43, v42, v41
	v_lshrrev_b32_e32 v44, 31, v43
	v_add_u32_e32 v43, v43, v44
	v_ashrrev_i32_e32 v43, 1, v43
	v_add_u32_e32 v43, v43, v41
	v_not_b32_e32 v45, v43
	v_add_u32_e32 v44, v11, v43
	v_add3_u32 v45, v12, v45, v24
	ds_read_u8 v44, v44
	ds_read_u8 v45, v45
	v_add_u32_e32 v46, 1, v43
	s_waitcnt lgkmcnt(0)
	v_cmp_lt_u16_e64 s[10:11], v45, v44
	s_nop 1
	v_cndmask_b32_e64 v42, v42, v43, s[10:11]
	v_cndmask_b32_e64 v41, v46, v41, s[10:11]
	v_cmp_ge_i32_e64 s[10:11], v41, v42
	s_or_b64 s[16:17], s[10:11], s[16:17]
	s_andn2_b64 exec, exec, s[16:17]
	s_cbranch_execnz .LBB82_36
; %bb.37:                               ;   in Loop: Header=BB82_2 Depth=1
	s_or_b64 exec, exec, s[16:17]
.LBB82_38:                              ;   in Loop: Header=BB82_2 Depth=1
	s_or_b64 exec, exec, s[12:13]
	v_add_u32_e32 v42, v41, v11
	v_sub_u32_e32 v41, v30, v41
	ds_read_u8 v43, v42
	ds_read_u8 v44, v41
	v_cmp_le_i32_e64 s[12:13], v24, v42
	v_cmp_gt_i32_e64 s[10:11], v25, v41
                                        ; implicit-def: $vgpr45
                                        ; implicit-def: $vgpr46
	s_waitcnt lgkmcnt(0)
	v_cmp_lt_u16_sdwa s[16:17], v44, v43 src0_sel:BYTE_0 src1_sel:BYTE_0
	s_or_b64 s[12:13], s[12:13], s[16:17]
	s_and_b64 s[10:11], s[10:11], s[12:13]
	s_xor_b64 s[12:13], s[10:11], -1
	s_and_saveexec_b64 s[16:17], s[12:13]
	s_xor_b64 s[12:13], exec, s[16:17]
	s_cbranch_execz .LBB82_40
; %bb.39:                               ;   in Loop: Header=BB82_2 Depth=1
	ds_read_u8 v46, v42 offset:1
	v_mov_b32_e32 v45, v44
.LBB82_40:                              ;   in Loop: Header=BB82_2 Depth=1
	s_andn2_saveexec_b64 s[12:13], s[12:13]
	s_cbranch_execz .LBB82_42
; %bb.41:                               ;   in Loop: Header=BB82_2 Depth=1
	ds_read_u8 v45, v41 offset:1
	s_waitcnt lgkmcnt(1)
	v_mov_b32_e32 v46, v43
.LBB82_42:                              ;   in Loop: Header=BB82_2 Depth=1
	s_or_b64 exec, exec, s[12:13]
	v_add_u32_e32 v47, 1, v42
	v_cndmask_b32_e64 v43, v43, v44, s[10:11]
	v_add_u32_e32 v44, 1, v41
	v_cndmask_b32_e64 v42, v47, v42, s[10:11]
	v_cndmask_b32_e64 v41, v41, v44, s[10:11]
	v_cmp_ge_i32_e64 s[12:13], v42, v24
	s_waitcnt lgkmcnt(0)
	v_cmp_lt_u16_sdwa s[16:17], v45, v46 src0_sel:BYTE_0 src1_sel:BYTE_0
	v_cmp_lt_i32_e64 s[10:11], v41, v25
	s_or_b64 s[12:13], s[12:13], s[16:17]
	s_and_b64 s[10:11], s[10:11], s[12:13]
	v_cndmask_b32_e64 v41, v46, v45, s[10:11]
	s_waitcnt lgkmcnt(0)
	; wave barrier
	ds_write_b8 v2, v43
	ds_write_b8 v2, v41 offset:1
	v_mov_b32_e32 v41, v13
	s_waitcnt lgkmcnt(0)
	; wave barrier
	s_waitcnt lgkmcnt(0)
	s_and_saveexec_b64 s[12:13], vcc
	s_cbranch_execz .LBB82_46
; %bb.43:                               ;   in Loop: Header=BB82_2 Depth=1
	s_mov_b64 s[16:17], 0
	v_mov_b32_e32 v41, v13
	v_mov_b32_e32 v42, v14
.LBB82_44:                              ;   Parent Loop BB82_2 Depth=1
                                        ; =>  This Inner Loop Header: Depth=2
	v_sub_u32_e32 v43, v42, v41
	v_lshrrev_b32_e32 v44, 31, v43
	v_add_u32_e32 v43, v43, v44
	v_ashrrev_i32_e32 v43, 1, v43
	v_add_u32_e32 v43, v43, v41
	v_not_b32_e32 v44, v43
	v_add3_u32 v44, v2, v44, 64
	ds_read_u8 v45, v43
	ds_read_u8 v44, v44
	v_add_u32_e32 v46, 1, v43
	s_waitcnt lgkmcnt(0)
	v_cmp_lt_u16_e64 s[10:11], v44, v45
	s_nop 1
	v_cndmask_b32_e64 v42, v42, v43, s[10:11]
	v_cndmask_b32_e64 v41, v46, v41, s[10:11]
	v_cmp_ge_i32_e64 s[10:11], v41, v42
	s_or_b64 s[16:17], s[10:11], s[16:17]
	s_andn2_b64 exec, exec, s[16:17]
	s_cbranch_execnz .LBB82_44
; %bb.45:                               ;   in Loop: Header=BB82_2 Depth=1
	s_or_b64 exec, exec, s[16:17]
.LBB82_46:                              ;   in Loop: Header=BB82_2 Depth=1
	s_or_b64 exec, exec, s[12:13]
	v_sub_u32_e32 v43, v15, v41
	ds_read_u8 v42, v41
	ds_read_u8 v44, v43
	v_cmp_le_i32_e64 s[12:13], 64, v41
	v_cmp_gt_i32_e64 s[10:11], s21, v43
                                        ; implicit-def: $vgpr45
                                        ; implicit-def: $vgpr46
                                        ; implicit-def: $vgpr47
	s_waitcnt lgkmcnt(0)
	v_cmp_lt_u16_sdwa s[16:17], v44, v42 src0_sel:BYTE_0 src1_sel:BYTE_0
	s_or_b64 s[12:13], s[12:13], s[16:17]
	s_and_b64 s[10:11], s[10:11], s[12:13]
	s_xor_b64 s[12:13], s[10:11], -1
	s_and_saveexec_b64 s[16:17], s[12:13]
	s_xor_b64 s[12:13], exec, s[16:17]
	s_cbranch_execz .LBB82_48
; %bb.47:                               ;   in Loop: Header=BB82_2 Depth=1
	ds_read_u8 v46, v41 offset:1
	v_add_u32_e32 v47, 1, v41
	v_mov_b32_e32 v45, v44
                                        ; implicit-def: $vgpr41
.LBB82_48:                              ;   in Loop: Header=BB82_2 Depth=1
	s_andn2_saveexec_b64 s[12:13], s[12:13]
	s_cbranch_execz .LBB82_1
; %bb.49:                               ;   in Loop: Header=BB82_2 Depth=1
	ds_read_u8 v45, v43 offset:1
	v_add_u32_e32 v43, 1, v43
	v_mov_b32_e32 v47, v41
	s_waitcnt lgkmcnt(1)
	v_mov_b32_e32 v46, v42
	s_branch .LBB82_1
.LBB82_50:
	s_add_u32 s0, s14, s18
	s_addc_u32 s1, s15, 0
	v_lshl_add_u64 v[0:1], s[0:1], 0, v[0:1]
	global_store_byte v[0:1], v41, off
	global_store_byte v[0:1], v42, off offset:64
	s_endpgm
	.section	.rodata,"a",@progbits
	.p2align	6, 0x0
	.amdhsa_kernel _Z16sort_keys_kernelIhLj64ELj2EN10test_utils4lessELj10EEvPKT_PS2_T2_
		.amdhsa_group_segment_fixed_size 129
		.amdhsa_private_segment_fixed_size 0
		.amdhsa_kernarg_size 20
		.amdhsa_user_sgpr_count 2
		.amdhsa_user_sgpr_dispatch_ptr 0
		.amdhsa_user_sgpr_queue_ptr 0
		.amdhsa_user_sgpr_kernarg_segment_ptr 1
		.amdhsa_user_sgpr_dispatch_id 0
		.amdhsa_user_sgpr_kernarg_preload_length 0
		.amdhsa_user_sgpr_kernarg_preload_offset 0
		.amdhsa_user_sgpr_private_segment_size 0
		.amdhsa_uses_dynamic_stack 0
		.amdhsa_enable_private_segment 0
		.amdhsa_system_sgpr_workgroup_id_x 1
		.amdhsa_system_sgpr_workgroup_id_y 0
		.amdhsa_system_sgpr_workgroup_id_z 0
		.amdhsa_system_sgpr_workgroup_info 0
		.amdhsa_system_vgpr_workitem_id 0
		.amdhsa_next_free_vgpr 48
		.amdhsa_next_free_sgpr 22
		.amdhsa_accum_offset 48
		.amdhsa_reserve_vcc 1
		.amdhsa_float_round_mode_32 0
		.amdhsa_float_round_mode_16_64 0
		.amdhsa_float_denorm_mode_32 3
		.amdhsa_float_denorm_mode_16_64 3
		.amdhsa_dx10_clamp 1
		.amdhsa_ieee_mode 1
		.amdhsa_fp16_overflow 0
		.amdhsa_tg_split 0
		.amdhsa_exception_fp_ieee_invalid_op 0
		.amdhsa_exception_fp_denorm_src 0
		.amdhsa_exception_fp_ieee_div_zero 0
		.amdhsa_exception_fp_ieee_overflow 0
		.amdhsa_exception_fp_ieee_underflow 0
		.amdhsa_exception_fp_ieee_inexact 0
		.amdhsa_exception_int_div_zero 0
	.end_amdhsa_kernel
	.section	.text._Z16sort_keys_kernelIhLj64ELj2EN10test_utils4lessELj10EEvPKT_PS2_T2_,"axG",@progbits,_Z16sort_keys_kernelIhLj64ELj2EN10test_utils4lessELj10EEvPKT_PS2_T2_,comdat
.Lfunc_end82:
	.size	_Z16sort_keys_kernelIhLj64ELj2EN10test_utils4lessELj10EEvPKT_PS2_T2_, .Lfunc_end82-_Z16sort_keys_kernelIhLj64ELj2EN10test_utils4lessELj10EEvPKT_PS2_T2_
                                        ; -- End function
	.section	.AMDGPU.csdata,"",@progbits
; Kernel info:
; codeLenInByte = 2672
; NumSgprs: 28
; NumVgprs: 48
; NumAgprs: 0
; TotalNumVgprs: 48
; ScratchSize: 0
; MemoryBound: 0
; FloatMode: 240
; IeeeMode: 1
; LDSByteSize: 129 bytes/workgroup (compile time only)
; SGPRBlocks: 3
; VGPRBlocks: 5
; NumSGPRsForWavesPerEU: 28
; NumVGPRsForWavesPerEU: 48
; AccumOffset: 48
; Occupancy: 8
; WaveLimiterHint : 0
; COMPUTE_PGM_RSRC2:SCRATCH_EN: 0
; COMPUTE_PGM_RSRC2:USER_SGPR: 2
; COMPUTE_PGM_RSRC2:TRAP_HANDLER: 0
; COMPUTE_PGM_RSRC2:TGID_X_EN: 1
; COMPUTE_PGM_RSRC2:TGID_Y_EN: 0
; COMPUTE_PGM_RSRC2:TGID_Z_EN: 0
; COMPUTE_PGM_RSRC2:TIDIG_COMP_CNT: 0
; COMPUTE_PGM_RSRC3_GFX90A:ACCUM_OFFSET: 11
; COMPUTE_PGM_RSRC3_GFX90A:TG_SPLIT: 0
	.section	.text._Z17sort_pairs_kernelIhLj64ELj2EN10test_utils4lessELj10EEvPKT_PS2_T2_,"axG",@progbits,_Z17sort_pairs_kernelIhLj64ELj2EN10test_utils4lessELj10EEvPKT_PS2_T2_,comdat
	.protected	_Z17sort_pairs_kernelIhLj64ELj2EN10test_utils4lessELj10EEvPKT_PS2_T2_ ; -- Begin function _Z17sort_pairs_kernelIhLj64ELj2EN10test_utils4lessELj10EEvPKT_PS2_T2_
	.globl	_Z17sort_pairs_kernelIhLj64ELj2EN10test_utils4lessELj10EEvPKT_PS2_T2_
	.p2align	8
	.type	_Z17sort_pairs_kernelIhLj64ELj2EN10test_utils4lessELj10EEvPKT_PS2_T2_,@function
_Z17sort_pairs_kernelIhLj64ELj2EN10test_utils4lessELj10EEvPKT_PS2_T2_: ; @_Z17sort_pairs_kernelIhLj64ELj2EN10test_utils4lessELj10EEvPKT_PS2_T2_
; %bb.0:
	s_load_dwordx4 s[16:19], s[0:1], 0x0
	s_lshl_b32 s20, s2, 7
	v_lshlrev_b32_e32 v5, 1, v0
	v_and_b32_e32 v6, 0x7c, v5
	v_and_b32_e32 v8, 0x78, v5
	s_waitcnt lgkmcnt(0)
	s_add_u32 s0, s16, s20
	s_addc_u32 s1, s17, 0
	global_load_ubyte v2, v0, s[0:1] offset:64
	global_load_ubyte v3, v0, s[0:1]
	v_or_b32_e32 v19, 2, v6
	v_add_u32_e32 v20, 4, v6
	v_and_b32_e32 v7, 2, v5
	v_and_b32_e32 v10, 0x70, v5
	v_or_b32_e32 v21, 4, v8
	v_add_u32_e32 v22, 8, v8
	v_sub_u32_e32 v39, v20, v19
	v_and_b32_e32 v9, 6, v5
	v_and_b32_e32 v12, 0x60, v5
	v_or_b32_e32 v23, 8, v10
	v_add_u32_e32 v24, 16, v10
	v_sub_u32_e32 v4, v19, v6
	v_sub_u32_e32 v40, v22, v21
	;; [unrolled: 1-line block ×3, first 2 shown]
	v_cmp_ge_i32_e64 s[0:1], v7, v39
	v_and_b32_e32 v11, 14, v5
	v_and_b32_e32 v14, 64, v5
	v_or_b32_e32 v25, 16, v12
	v_add_u32_e32 v26, 32, v12
	v_sub_u32_e32 v41, v24, v23
	v_min_i32_e32 v34, v7, v4
	v_sub_u32_e32 v4, v9, v40
	v_cndmask_b32_e64 v39, 0, v44, s[0:1]
	v_cmp_ge_i32_e64 s[0:1], v9, v40
	v_and_b32_e32 v13, 30, v5
	v_or_b32_e32 v27, 32, v14
	v_add_u32_e32 v28, 64, v14
	v_sub_u32_e32 v42, v26, v25
	v_sub_u32_e32 v45, v11, v41
	v_cndmask_b32_e64 v40, 0, v4, s[0:1]
	v_cmp_ge_i32_e64 s[0:1], v11, v41
	v_and_b32_e32 v15, 62, v5
	v_sub_u32_e32 v43, v28, v27
	v_sub_u32_e32 v46, v13, v42
	v_cndmask_b32_e64 v41, 0, v45, s[0:1]
	v_cmp_ge_i32_e64 s[0:1], v13, v42
	v_sub_u32_e32 v35, v21, v8
	v_sub_u32_e32 v36, v23, v10
	v_sub_u32_e32 v37, v25, v12
	v_sub_u32_e32 v38, v27, v14
	v_sub_u32_e32 v47, v15, v43
	v_cndmask_b32_e64 v42, 0, v46, s[0:1]
	v_cmp_ge_i32_e64 s[0:1], v15, v43
	v_sub_u32_e64 v16, v5, 64 clamp
	v_min_i32_e32 v17, 64, v5
	v_min_i32_e32 v35, v9, v35
	;; [unrolled: 1-line block ×5, first 2 shown]
	v_cndmask_b32_e64 v43, 0, v47, s[0:1]
	s_mov_b32 s21, 0
	v_mov_b32_e32 v1, 0
	s_mov_b32 s22, 0xc0c0001
	v_add_u32_e32 v18, 64, v5
	v_cmp_lt_i32_e32 vcc, v16, v17
	v_add_u32_e32 v29, v19, v7
	v_add_u32_e32 v30, v21, v9
	;; [unrolled: 1-line block ×5, first 2 shown]
	v_cmp_lt_i32_e64 s[0:1], v39, v34
	v_cmp_lt_i32_e64 s[2:3], v40, v35
	;; [unrolled: 1-line block ×5, first 2 shown]
	s_movk_i32 s23, 0x80
	s_waitcnt vmcnt(1)
	v_lshlrev_b16_e32 v2, 8, v2
	s_waitcnt vmcnt(0)
	v_add_u16_e32 v4, 1, v3
	v_or_b32_e32 v3, v3, v2
	v_or_b32_sdwa v2, v2, v4 dst_sel:DWORD dst_unused:UNUSED_PAD src0_sel:DWORD src1_sel:BYTE_0
	v_and_b32_e32 v4, 0xffff, v3
	v_add_u16_e32 v2, 0x100, v2
	s_branch .LBB83_2
.LBB83_1:                               ;   in Loop: Header=BB83_2 Depth=1
	s_or_b64 exec, exec, s[12:13]
	v_cmp_le_i32_e64 s[14:15], 64, v48
	s_waitcnt lgkmcnt(0)
	v_cmp_lt_u16_sdwa s[16:17], v49, v3 src0_sel:BYTE_0 src1_sel:BYTE_0
	v_cmp_gt_i32_e64 s[12:13], s23, v4
	s_or_b64 s[14:15], s[14:15], s[16:17]
	s_and_b64 s[12:13], s[12:13], s[14:15]
	v_cndmask_b32_e64 v4, v48, v4, s[12:13]
	s_waitcnt lgkmcnt(0)
	; wave barrier
	ds_write_b8 v5, v44
	ds_write_b8 v5, v45 offset:1
	s_waitcnt lgkmcnt(0)
	; wave barrier
	s_waitcnt lgkmcnt(0)
	ds_read_u8 v44, v2
	ds_read_u8 v45, v4
	v_cndmask_b32_e64 v3, v3, v49, s[12:13]
	v_cndmask_b32_e64 v46, v46, v47, s[10:11]
	v_lshlrev_b16_e32 v2, 8, v3
	v_or_b32_sdwa v2, v46, v2 dst_sel:DWORD dst_unused:UNUSED_PAD src0_sel:BYTE_0 src1_sel:DWORD
	v_and_b32_e32 v4, 0xffff, v2
	s_waitcnt lgkmcnt(0)
	v_lshlrev_b16_e32 v2, 8, v45
	v_or_b32_e32 v2, v44, v2
	s_add_i32 s21, s21, 1
	s_cmp_eq_u32 s21, 10
	v_and_b32_e32 v2, 0xffff, v2
	s_cbranch_scc1 .LBB83_50
.LBB83_2:                               ; =>This Loop Header: Depth=1
                                        ;     Child Loop BB83_4 Depth 2
                                        ;     Child Loop BB83_12 Depth 2
	;; [unrolled: 1-line block ×6, first 2 shown]
	v_perm_b32 v3, 0, v4, s22
	v_cmp_lt_u16_sdwa s[10:11], v4, v4 src0_sel:BYTE_1 src1_sel:BYTE_0
	s_waitcnt lgkmcnt(0)
	; wave barrier
	s_nop 0
	v_cndmask_b32_e64 v3, v4, v3, s[10:11]
	ds_write_b8 v5, v3
	v_lshrrev_b16_e32 v3, 8, v3
	v_mov_b32_e32 v4, v39
	ds_write_b8 v5, v3 offset:1
	s_waitcnt lgkmcnt(0)
	; wave barrier
	s_waitcnt lgkmcnt(0)
	s_and_saveexec_b64 s[14:15], s[0:1]
	s_cbranch_execz .LBB83_6
; %bb.3:                                ;   in Loop: Header=BB83_2 Depth=1
	s_mov_b64 s[16:17], 0
	v_mov_b32_e32 v4, v39
	v_mov_b32_e32 v3, v34
.LBB83_4:                               ;   Parent Loop BB83_2 Depth=1
                                        ; =>  This Inner Loop Header: Depth=2
	v_sub_u32_e32 v44, v3, v4
	v_lshrrev_b32_e32 v45, 31, v44
	v_add_u32_e32 v44, v44, v45
	v_ashrrev_i32_e32 v44, 1, v44
	v_add_u32_e32 v44, v44, v4
	v_not_b32_e32 v46, v44
	v_add_u32_e32 v45, v6, v44
	v_add3_u32 v46, v7, v46, v19
	ds_read_u8 v45, v45
	ds_read_u8 v46, v46
	v_add_u32_e32 v47, 1, v44
	s_waitcnt lgkmcnt(0)
	v_cmp_lt_u16_e64 s[12:13], v46, v45
	s_nop 1
	v_cndmask_b32_e64 v3, v3, v44, s[12:13]
	v_cndmask_b32_e64 v4, v47, v4, s[12:13]
	v_cmp_ge_i32_e64 s[12:13], v4, v3
	s_or_b64 s[16:17], s[12:13], s[16:17]
	s_andn2_b64 exec, exec, s[16:17]
	s_cbranch_execnz .LBB83_4
; %bb.5:                                ;   in Loop: Header=BB83_2 Depth=1
	s_or_b64 exec, exec, s[16:17]
.LBB83_6:                               ;   in Loop: Header=BB83_2 Depth=1
	s_or_b64 exec, exec, s[14:15]
	v_add_u32_e32 v3, v4, v6
	v_sub_u32_e32 v4, v29, v4
	ds_read_u8 v44, v3
	ds_read_u8 v45, v4
	v_cmp_le_i32_e64 s[14:15], v19, v3
	v_cmp_gt_i32_e64 s[12:13], v20, v4
                                        ; implicit-def: $vgpr46
                                        ; implicit-def: $vgpr47
	s_waitcnt lgkmcnt(0)
	v_cmp_lt_u16_sdwa s[16:17], v45, v44 src0_sel:BYTE_0 src1_sel:BYTE_0
	s_or_b64 s[14:15], s[14:15], s[16:17]
	s_and_b64 s[12:13], s[12:13], s[14:15]
	s_xor_b64 s[14:15], s[12:13], -1
	s_and_saveexec_b64 s[16:17], s[14:15]
	s_xor_b64 s[14:15], exec, s[16:17]
	s_cbranch_execz .LBB83_8
; %bb.7:                                ;   in Loop: Header=BB83_2 Depth=1
	ds_read_u8 v47, v3 offset:1
	v_mov_b32_e32 v46, v45
.LBB83_8:                               ;   in Loop: Header=BB83_2 Depth=1
	s_andn2_saveexec_b64 s[14:15], s[14:15]
	s_cbranch_execz .LBB83_10
; %bb.9:                                ;   in Loop: Header=BB83_2 Depth=1
	ds_read_u8 v46, v4 offset:1
	s_waitcnt lgkmcnt(1)
	v_mov_b32_e32 v47, v44
.LBB83_10:                              ;   in Loop: Header=BB83_2 Depth=1
	s_or_b64 exec, exec, s[14:15]
	v_add_u32_e32 v49, 1, v3
	v_cndmask_b32_e64 v44, v44, v45, s[12:13]
	v_add_u32_e32 v45, 1, v4
	v_cndmask_b32_e64 v49, v49, v3, s[12:13]
	v_perm_b32 v48, 0, v2, s22
	v_cndmask_b32_e64 v45, v4, v45, s[12:13]
	v_cndmask_b32_e64 v3, v3, v4, s[12:13]
	v_cmp_ge_i32_e64 s[12:13], v49, v19
	s_waitcnt lgkmcnt(0)
	v_cmp_lt_u16_sdwa s[14:15], v46, v47 src0_sel:BYTE_0 src1_sel:BYTE_0
	v_cndmask_b32_e64 v2, v2, v48, s[10:11]
	v_cmp_lt_i32_e64 s[10:11], v45, v20
	s_or_b64 s[12:13], s[12:13], s[14:15]
	s_and_b64 s[10:11], s[10:11], s[12:13]
	s_waitcnt lgkmcnt(0)
	; wave barrier
	ds_write_b8 v5, v2
	v_lshrrev_b16_e32 v2, 8, v2
	v_cndmask_b32_e64 v45, v49, v45, s[10:11]
	ds_write_b8 v5, v2 offset:1
	s_waitcnt lgkmcnt(0)
	; wave barrier
	s_waitcnt lgkmcnt(0)
	ds_read_u8 v2, v3
	ds_read_u8 v3, v45
	v_cndmask_b32_e64 v4, v47, v46, s[10:11]
	s_waitcnt lgkmcnt(0)
	; wave barrier
	s_waitcnt lgkmcnt(0)
	ds_write_b8 v5, v44
	ds_write_b8 v5, v4 offset:1
	v_mov_b32_e32 v44, v40
	s_waitcnt lgkmcnt(0)
	; wave barrier
	s_waitcnt lgkmcnt(0)
	s_and_saveexec_b64 s[12:13], s[2:3]
	s_cbranch_execz .LBB83_14
; %bb.11:                               ;   in Loop: Header=BB83_2 Depth=1
	s_mov_b64 s[14:15], 0
	v_mov_b32_e32 v44, v40
	v_mov_b32_e32 v4, v35
.LBB83_12:                              ;   Parent Loop BB83_2 Depth=1
                                        ; =>  This Inner Loop Header: Depth=2
	v_sub_u32_e32 v45, v4, v44
	v_lshrrev_b32_e32 v46, 31, v45
	v_add_u32_e32 v45, v45, v46
	v_ashrrev_i32_e32 v45, 1, v45
	v_add_u32_e32 v45, v45, v44
	v_not_b32_e32 v47, v45
	v_add_u32_e32 v46, v8, v45
	v_add3_u32 v47, v9, v47, v21
	ds_read_u8 v46, v46
	ds_read_u8 v47, v47
	v_add_u32_e32 v48, 1, v45
	s_waitcnt lgkmcnt(0)
	v_cmp_lt_u16_e64 s[10:11], v47, v46
	s_nop 1
	v_cndmask_b32_e64 v4, v4, v45, s[10:11]
	v_cndmask_b32_e64 v44, v48, v44, s[10:11]
	v_cmp_ge_i32_e64 s[10:11], v44, v4
	s_or_b64 s[14:15], s[10:11], s[14:15]
	s_andn2_b64 exec, exec, s[14:15]
	s_cbranch_execnz .LBB83_12
; %bb.13:                               ;   in Loop: Header=BB83_2 Depth=1
	s_or_b64 exec, exec, s[14:15]
.LBB83_14:                              ;   in Loop: Header=BB83_2 Depth=1
	s_or_b64 exec, exec, s[12:13]
	v_add_u32_e32 v4, v44, v8
	v_sub_u32_e32 v44, v30, v44
	ds_read_u8 v45, v4
	ds_read_u8 v46, v44
	v_cmp_le_i32_e64 s[12:13], v21, v4
	v_cmp_gt_i32_e64 s[10:11], v22, v44
                                        ; implicit-def: $vgpr47
                                        ; implicit-def: $vgpr48
	s_waitcnt lgkmcnt(0)
	v_cmp_lt_u16_sdwa s[14:15], v46, v45 src0_sel:BYTE_0 src1_sel:BYTE_0
	s_or_b64 s[12:13], s[12:13], s[14:15]
	s_and_b64 s[10:11], s[10:11], s[12:13]
	s_xor_b64 s[12:13], s[10:11], -1
	s_and_saveexec_b64 s[14:15], s[12:13]
	s_xor_b64 s[12:13], exec, s[14:15]
	s_cbranch_execz .LBB83_16
; %bb.15:                               ;   in Loop: Header=BB83_2 Depth=1
	ds_read_u8 v48, v4 offset:1
	v_mov_b32_e32 v47, v46
.LBB83_16:                              ;   in Loop: Header=BB83_2 Depth=1
	s_andn2_saveexec_b64 s[12:13], s[12:13]
	s_cbranch_execz .LBB83_18
; %bb.17:                               ;   in Loop: Header=BB83_2 Depth=1
	ds_read_u8 v47, v44 offset:1
	s_waitcnt lgkmcnt(1)
	v_mov_b32_e32 v48, v45
.LBB83_18:                              ;   in Loop: Header=BB83_2 Depth=1
	s_or_b64 exec, exec, s[12:13]
	v_add_u32_e32 v49, 1, v4
	v_cndmask_b32_e64 v45, v45, v46, s[10:11]
	v_add_u32_e32 v46, 1, v44
	v_cndmask_b32_e64 v49, v49, v4, s[10:11]
	v_cndmask_b32_e64 v46, v44, v46, s[10:11]
	v_cmp_ge_i32_e64 s[12:13], v49, v21
	s_waitcnt lgkmcnt(0)
	v_cmp_lt_u16_sdwa s[14:15], v47, v48 src0_sel:BYTE_0 src1_sel:BYTE_0
	v_cndmask_b32_e64 v4, v4, v44, s[10:11]
	v_cmp_lt_i32_e64 s[10:11], v46, v22
	s_or_b64 s[12:13], s[12:13], s[14:15]
	s_and_b64 s[10:11], s[10:11], s[12:13]
	v_cndmask_b32_e64 v46, v49, v46, s[10:11]
	s_waitcnt lgkmcnt(0)
	; wave barrier
	ds_write_b8 v5, v2
	ds_write_b8 v5, v3 offset:1
	s_waitcnt lgkmcnt(0)
	; wave barrier
	s_waitcnt lgkmcnt(0)
	ds_read_u8 v2, v4
	ds_read_u8 v3, v46
	v_cndmask_b32_e64 v44, v48, v47, s[10:11]
	s_waitcnt lgkmcnt(0)
	; wave barrier
	s_waitcnt lgkmcnt(0)
	ds_write_b8 v5, v45
	ds_write_b8 v5, v44 offset:1
	v_mov_b32_e32 v44, v41
	s_waitcnt lgkmcnt(0)
	; wave barrier
	s_waitcnt lgkmcnt(0)
	s_and_saveexec_b64 s[12:13], s[4:5]
	s_cbranch_execz .LBB83_22
; %bb.19:                               ;   in Loop: Header=BB83_2 Depth=1
	s_mov_b64 s[14:15], 0
	v_mov_b32_e32 v44, v41
	v_mov_b32_e32 v4, v36
.LBB83_20:                              ;   Parent Loop BB83_2 Depth=1
                                        ; =>  This Inner Loop Header: Depth=2
	v_sub_u32_e32 v45, v4, v44
	v_lshrrev_b32_e32 v46, 31, v45
	v_add_u32_e32 v45, v45, v46
	v_ashrrev_i32_e32 v45, 1, v45
	v_add_u32_e32 v45, v45, v44
	v_not_b32_e32 v47, v45
	v_add_u32_e32 v46, v10, v45
	v_add3_u32 v47, v11, v47, v23
	ds_read_u8 v46, v46
	ds_read_u8 v47, v47
	v_add_u32_e32 v48, 1, v45
	s_waitcnt lgkmcnt(0)
	v_cmp_lt_u16_e64 s[10:11], v47, v46
	s_nop 1
	v_cndmask_b32_e64 v4, v4, v45, s[10:11]
	v_cndmask_b32_e64 v44, v48, v44, s[10:11]
	v_cmp_ge_i32_e64 s[10:11], v44, v4
	s_or_b64 s[14:15], s[10:11], s[14:15]
	s_andn2_b64 exec, exec, s[14:15]
	s_cbranch_execnz .LBB83_20
; %bb.21:                               ;   in Loop: Header=BB83_2 Depth=1
	s_or_b64 exec, exec, s[14:15]
.LBB83_22:                              ;   in Loop: Header=BB83_2 Depth=1
	s_or_b64 exec, exec, s[12:13]
	v_add_u32_e32 v4, v44, v10
	v_sub_u32_e32 v44, v31, v44
	ds_read_u8 v45, v4
	ds_read_u8 v46, v44
	v_cmp_le_i32_e64 s[12:13], v23, v4
	v_cmp_gt_i32_e64 s[10:11], v24, v44
                                        ; implicit-def: $vgpr47
                                        ; implicit-def: $vgpr48
	s_waitcnt lgkmcnt(0)
	v_cmp_lt_u16_sdwa s[14:15], v46, v45 src0_sel:BYTE_0 src1_sel:BYTE_0
	s_or_b64 s[12:13], s[12:13], s[14:15]
	s_and_b64 s[10:11], s[10:11], s[12:13]
	s_xor_b64 s[12:13], s[10:11], -1
	s_and_saveexec_b64 s[14:15], s[12:13]
	s_xor_b64 s[12:13], exec, s[14:15]
	s_cbranch_execz .LBB83_24
; %bb.23:                               ;   in Loop: Header=BB83_2 Depth=1
	ds_read_u8 v48, v4 offset:1
	v_mov_b32_e32 v47, v46
.LBB83_24:                              ;   in Loop: Header=BB83_2 Depth=1
	s_andn2_saveexec_b64 s[12:13], s[12:13]
	s_cbranch_execz .LBB83_26
; %bb.25:                               ;   in Loop: Header=BB83_2 Depth=1
	ds_read_u8 v47, v44 offset:1
	s_waitcnt lgkmcnt(1)
	v_mov_b32_e32 v48, v45
.LBB83_26:                              ;   in Loop: Header=BB83_2 Depth=1
	s_or_b64 exec, exec, s[12:13]
	v_add_u32_e32 v49, 1, v4
	v_cndmask_b32_e64 v45, v45, v46, s[10:11]
	v_add_u32_e32 v46, 1, v44
	v_cndmask_b32_e64 v49, v49, v4, s[10:11]
	v_cndmask_b32_e64 v46, v44, v46, s[10:11]
	v_cmp_ge_i32_e64 s[12:13], v49, v23
	s_waitcnt lgkmcnt(0)
	v_cmp_lt_u16_sdwa s[14:15], v47, v48 src0_sel:BYTE_0 src1_sel:BYTE_0
	v_cndmask_b32_e64 v4, v4, v44, s[10:11]
	v_cmp_lt_i32_e64 s[10:11], v46, v24
	s_or_b64 s[12:13], s[12:13], s[14:15]
	s_and_b64 s[10:11], s[10:11], s[12:13]
	v_cndmask_b32_e64 v46, v49, v46, s[10:11]
	s_waitcnt lgkmcnt(0)
	; wave barrier
	ds_write_b8 v5, v2
	ds_write_b8 v5, v3 offset:1
	s_waitcnt lgkmcnt(0)
	; wave barrier
	s_waitcnt lgkmcnt(0)
	ds_read_u8 v2, v4
	ds_read_u8 v3, v46
	v_cndmask_b32_e64 v44, v48, v47, s[10:11]
	s_waitcnt lgkmcnt(0)
	; wave barrier
	s_waitcnt lgkmcnt(0)
	ds_write_b8 v5, v45
	ds_write_b8 v5, v44 offset:1
	v_mov_b32_e32 v44, v42
	s_waitcnt lgkmcnt(0)
	; wave barrier
	s_waitcnt lgkmcnt(0)
	s_and_saveexec_b64 s[12:13], s[6:7]
	s_cbranch_execz .LBB83_30
; %bb.27:                               ;   in Loop: Header=BB83_2 Depth=1
	s_mov_b64 s[14:15], 0
	v_mov_b32_e32 v44, v42
	v_mov_b32_e32 v4, v37
.LBB83_28:                              ;   Parent Loop BB83_2 Depth=1
                                        ; =>  This Inner Loop Header: Depth=2
	v_sub_u32_e32 v45, v4, v44
	v_lshrrev_b32_e32 v46, 31, v45
	v_add_u32_e32 v45, v45, v46
	v_ashrrev_i32_e32 v45, 1, v45
	v_add_u32_e32 v45, v45, v44
	v_not_b32_e32 v47, v45
	v_add_u32_e32 v46, v12, v45
	v_add3_u32 v47, v13, v47, v25
	ds_read_u8 v46, v46
	ds_read_u8 v47, v47
	v_add_u32_e32 v48, 1, v45
	s_waitcnt lgkmcnt(0)
	v_cmp_lt_u16_e64 s[10:11], v47, v46
	s_nop 1
	v_cndmask_b32_e64 v4, v4, v45, s[10:11]
	v_cndmask_b32_e64 v44, v48, v44, s[10:11]
	v_cmp_ge_i32_e64 s[10:11], v44, v4
	s_or_b64 s[14:15], s[10:11], s[14:15]
	s_andn2_b64 exec, exec, s[14:15]
	s_cbranch_execnz .LBB83_28
; %bb.29:                               ;   in Loop: Header=BB83_2 Depth=1
	s_or_b64 exec, exec, s[14:15]
.LBB83_30:                              ;   in Loop: Header=BB83_2 Depth=1
	s_or_b64 exec, exec, s[12:13]
	v_add_u32_e32 v4, v44, v12
	v_sub_u32_e32 v44, v32, v44
	ds_read_u8 v45, v4
	ds_read_u8 v46, v44
	v_cmp_le_i32_e64 s[12:13], v25, v4
	v_cmp_gt_i32_e64 s[10:11], v26, v44
                                        ; implicit-def: $vgpr47
                                        ; implicit-def: $vgpr48
	s_waitcnt lgkmcnt(0)
	v_cmp_lt_u16_sdwa s[14:15], v46, v45 src0_sel:BYTE_0 src1_sel:BYTE_0
	s_or_b64 s[12:13], s[12:13], s[14:15]
	s_and_b64 s[10:11], s[10:11], s[12:13]
	s_xor_b64 s[12:13], s[10:11], -1
	s_and_saveexec_b64 s[14:15], s[12:13]
	s_xor_b64 s[12:13], exec, s[14:15]
	s_cbranch_execz .LBB83_32
; %bb.31:                               ;   in Loop: Header=BB83_2 Depth=1
	ds_read_u8 v48, v4 offset:1
	v_mov_b32_e32 v47, v46
.LBB83_32:                              ;   in Loop: Header=BB83_2 Depth=1
	s_andn2_saveexec_b64 s[12:13], s[12:13]
	s_cbranch_execz .LBB83_34
; %bb.33:                               ;   in Loop: Header=BB83_2 Depth=1
	ds_read_u8 v47, v44 offset:1
	s_waitcnt lgkmcnt(1)
	v_mov_b32_e32 v48, v45
.LBB83_34:                              ;   in Loop: Header=BB83_2 Depth=1
	s_or_b64 exec, exec, s[12:13]
	v_add_u32_e32 v49, 1, v4
	v_cndmask_b32_e64 v45, v45, v46, s[10:11]
	v_add_u32_e32 v46, 1, v44
	v_cndmask_b32_e64 v49, v49, v4, s[10:11]
	v_cndmask_b32_e64 v46, v44, v46, s[10:11]
	v_cmp_ge_i32_e64 s[12:13], v49, v25
	s_waitcnt lgkmcnt(0)
	v_cmp_lt_u16_sdwa s[14:15], v47, v48 src0_sel:BYTE_0 src1_sel:BYTE_0
	v_cndmask_b32_e64 v4, v4, v44, s[10:11]
	v_cmp_lt_i32_e64 s[10:11], v46, v26
	s_or_b64 s[12:13], s[12:13], s[14:15]
	s_and_b64 s[10:11], s[10:11], s[12:13]
	v_cndmask_b32_e64 v46, v49, v46, s[10:11]
	s_waitcnt lgkmcnt(0)
	; wave barrier
	ds_write_b8 v5, v2
	ds_write_b8 v5, v3 offset:1
	s_waitcnt lgkmcnt(0)
	; wave barrier
	s_waitcnt lgkmcnt(0)
	ds_read_u8 v2, v4
	ds_read_u8 v3, v46
	v_cndmask_b32_e64 v44, v48, v47, s[10:11]
	s_waitcnt lgkmcnt(0)
	; wave barrier
	s_waitcnt lgkmcnt(0)
	ds_write_b8 v5, v45
	ds_write_b8 v5, v44 offset:1
	v_mov_b32_e32 v44, v43
	s_waitcnt lgkmcnt(0)
	; wave barrier
	s_waitcnt lgkmcnt(0)
	s_and_saveexec_b64 s[12:13], s[8:9]
	s_cbranch_execz .LBB83_38
; %bb.35:                               ;   in Loop: Header=BB83_2 Depth=1
	s_mov_b64 s[14:15], 0
	v_mov_b32_e32 v44, v43
	v_mov_b32_e32 v4, v38
.LBB83_36:                              ;   Parent Loop BB83_2 Depth=1
                                        ; =>  This Inner Loop Header: Depth=2
	v_sub_u32_e32 v45, v4, v44
	v_lshrrev_b32_e32 v46, 31, v45
	v_add_u32_e32 v45, v45, v46
	v_ashrrev_i32_e32 v45, 1, v45
	v_add_u32_e32 v45, v45, v44
	v_not_b32_e32 v47, v45
	v_add_u32_e32 v46, v14, v45
	v_add3_u32 v47, v15, v47, v27
	ds_read_u8 v46, v46
	ds_read_u8 v47, v47
	v_add_u32_e32 v48, 1, v45
	s_waitcnt lgkmcnt(0)
	v_cmp_lt_u16_e64 s[10:11], v47, v46
	s_nop 1
	v_cndmask_b32_e64 v4, v4, v45, s[10:11]
	v_cndmask_b32_e64 v44, v48, v44, s[10:11]
	v_cmp_ge_i32_e64 s[10:11], v44, v4
	s_or_b64 s[14:15], s[10:11], s[14:15]
	s_andn2_b64 exec, exec, s[14:15]
	s_cbranch_execnz .LBB83_36
; %bb.37:                               ;   in Loop: Header=BB83_2 Depth=1
	s_or_b64 exec, exec, s[14:15]
.LBB83_38:                              ;   in Loop: Header=BB83_2 Depth=1
	s_or_b64 exec, exec, s[12:13]
	v_add_u32_e32 v4, v44, v14
	v_sub_u32_e32 v44, v33, v44
	ds_read_u8 v45, v4
	ds_read_u8 v46, v44
	v_cmp_le_i32_e64 s[12:13], v27, v4
	v_cmp_gt_i32_e64 s[10:11], v28, v44
                                        ; implicit-def: $vgpr47
                                        ; implicit-def: $vgpr48
	s_waitcnt lgkmcnt(0)
	v_cmp_lt_u16_sdwa s[14:15], v46, v45 src0_sel:BYTE_0 src1_sel:BYTE_0
	s_or_b64 s[12:13], s[12:13], s[14:15]
	s_and_b64 s[10:11], s[10:11], s[12:13]
	s_xor_b64 s[12:13], s[10:11], -1
	s_and_saveexec_b64 s[14:15], s[12:13]
	s_xor_b64 s[12:13], exec, s[14:15]
	s_cbranch_execz .LBB83_40
; %bb.39:                               ;   in Loop: Header=BB83_2 Depth=1
	ds_read_u8 v48, v4 offset:1
	v_mov_b32_e32 v47, v46
.LBB83_40:                              ;   in Loop: Header=BB83_2 Depth=1
	s_andn2_saveexec_b64 s[12:13], s[12:13]
	s_cbranch_execz .LBB83_42
; %bb.41:                               ;   in Loop: Header=BB83_2 Depth=1
	ds_read_u8 v47, v44 offset:1
	s_waitcnt lgkmcnt(1)
	v_mov_b32_e32 v48, v45
.LBB83_42:                              ;   in Loop: Header=BB83_2 Depth=1
	s_or_b64 exec, exec, s[12:13]
	v_add_u32_e32 v49, 1, v4
	v_cndmask_b32_e64 v46, v45, v46, s[10:11]
	v_add_u32_e32 v45, 1, v44
	v_cndmask_b32_e64 v49, v49, v4, s[10:11]
	v_cndmask_b32_e64 v45, v44, v45, s[10:11]
	v_cmp_ge_i32_e64 s[12:13], v49, v27
	s_waitcnt lgkmcnt(0)
	v_cmp_lt_u16_sdwa s[14:15], v47, v48 src0_sel:BYTE_0 src1_sel:BYTE_0
	v_cndmask_b32_e64 v4, v4, v44, s[10:11]
	v_cmp_lt_i32_e64 s[10:11], v45, v28
	s_or_b64 s[12:13], s[12:13], s[14:15]
	s_and_b64 s[10:11], s[10:11], s[12:13]
	v_cndmask_b32_e64 v45, v49, v45, s[10:11]
	s_waitcnt lgkmcnt(0)
	; wave barrier
	ds_write_b8 v5, v2
	ds_write_b8 v5, v3 offset:1
	s_waitcnt lgkmcnt(0)
	; wave barrier
	s_waitcnt lgkmcnt(0)
	ds_read_u8 v44, v4
	ds_read_u8 v45, v45
	v_mov_b32_e32 v2, v16
	v_cndmask_b32_e64 v47, v48, v47, s[10:11]
	s_waitcnt lgkmcnt(0)
	; wave barrier
	s_waitcnt lgkmcnt(0)
	ds_write_b8 v5, v46
	ds_write_b8 v5, v47 offset:1
	s_waitcnt lgkmcnt(0)
	; wave barrier
	s_waitcnt lgkmcnt(0)
	s_and_saveexec_b64 s[12:13], vcc
	s_cbranch_execz .LBB83_46
; %bb.43:                               ;   in Loop: Header=BB83_2 Depth=1
	s_mov_b64 s[14:15], 0
	v_mov_b32_e32 v2, v16
	v_mov_b32_e32 v3, v17
.LBB83_44:                              ;   Parent Loop BB83_2 Depth=1
                                        ; =>  This Inner Loop Header: Depth=2
	v_sub_u32_e32 v4, v3, v2
	v_lshrrev_b32_e32 v46, 31, v4
	v_add_u32_e32 v4, v4, v46
	v_ashrrev_i32_e32 v4, 1, v4
	v_add_u32_e32 v4, v4, v2
	v_not_b32_e32 v46, v4
	v_add3_u32 v46, v5, v46, 64
	ds_read_u8 v47, v4
	ds_read_u8 v46, v46
	v_add_u32_e32 v48, 1, v4
	s_waitcnt lgkmcnt(0)
	v_cmp_lt_u16_e64 s[10:11], v46, v47
	s_nop 1
	v_cndmask_b32_e64 v3, v3, v4, s[10:11]
	v_cndmask_b32_e64 v2, v48, v2, s[10:11]
	v_cmp_ge_i32_e64 s[10:11], v2, v3
	s_or_b64 s[14:15], s[10:11], s[14:15]
	s_andn2_b64 exec, exec, s[14:15]
	s_cbranch_execnz .LBB83_44
; %bb.45:                               ;   in Loop: Header=BB83_2 Depth=1
	s_or_b64 exec, exec, s[14:15]
.LBB83_46:                              ;   in Loop: Header=BB83_2 Depth=1
	s_or_b64 exec, exec, s[12:13]
	v_sub_u32_e32 v4, v18, v2
	ds_read_u8 v46, v2
	ds_read_u8 v47, v4
	v_cmp_le_i32_e64 s[12:13], 64, v2
	v_cmp_gt_i32_e64 s[10:11], s23, v4
                                        ; implicit-def: $vgpr49
                                        ; implicit-def: $vgpr3
                                        ; implicit-def: $vgpr48
	s_waitcnt lgkmcnt(0)
	v_cmp_lt_u16_sdwa s[14:15], v47, v46 src0_sel:BYTE_0 src1_sel:BYTE_0
	s_or_b64 s[12:13], s[12:13], s[14:15]
	s_and_b64 s[10:11], s[10:11], s[12:13]
	s_xor_b64 s[12:13], s[10:11], -1
	s_and_saveexec_b64 s[14:15], s[12:13]
	s_xor_b64 s[12:13], exec, s[14:15]
	s_cbranch_execz .LBB83_48
; %bb.47:                               ;   in Loop: Header=BB83_2 Depth=1
	ds_read_u8 v3, v2 offset:1
	v_add_u32_e32 v48, 1, v2
	v_mov_b32_e32 v49, v47
.LBB83_48:                              ;   in Loop: Header=BB83_2 Depth=1
	s_andn2_saveexec_b64 s[12:13], s[12:13]
	s_cbranch_execz .LBB83_1
; %bb.49:                               ;   in Loop: Header=BB83_2 Depth=1
	ds_read_u8 v49, v4 offset:1
	v_mov_b32_e32 v48, v2
	v_add_u32_e32 v50, 1, v4
	s_waitcnt lgkmcnt(1)
	v_mov_b64_e32 v[2:3], v[4:5]
	v_mov_b32_e32 v4, v50
	v_mov_b32_e32 v3, v46
	s_branch .LBB83_1
.LBB83_50:
	s_add_u32 s0, s18, s20
	s_addc_u32 s1, s19, 0
	v_add_u16_e32 v2, v46, v44
	v_lshl_add_u64 v[0:1], s[0:1], 0, v[0:1]
	v_add_u16_e32 v3, v3, v45
	global_store_byte v[0:1], v2, off
	global_store_byte v[0:1], v3, off offset:64
	s_endpgm
	.section	.rodata,"a",@progbits
	.p2align	6, 0x0
	.amdhsa_kernel _Z17sort_pairs_kernelIhLj64ELj2EN10test_utils4lessELj10EEvPKT_PS2_T2_
		.amdhsa_group_segment_fixed_size 129
		.amdhsa_private_segment_fixed_size 0
		.amdhsa_kernarg_size 20
		.amdhsa_user_sgpr_count 2
		.amdhsa_user_sgpr_dispatch_ptr 0
		.amdhsa_user_sgpr_queue_ptr 0
		.amdhsa_user_sgpr_kernarg_segment_ptr 1
		.amdhsa_user_sgpr_dispatch_id 0
		.amdhsa_user_sgpr_kernarg_preload_length 0
		.amdhsa_user_sgpr_kernarg_preload_offset 0
		.amdhsa_user_sgpr_private_segment_size 0
		.amdhsa_uses_dynamic_stack 0
		.amdhsa_enable_private_segment 0
		.amdhsa_system_sgpr_workgroup_id_x 1
		.amdhsa_system_sgpr_workgroup_id_y 0
		.amdhsa_system_sgpr_workgroup_id_z 0
		.amdhsa_system_sgpr_workgroup_info 0
		.amdhsa_system_vgpr_workitem_id 0
		.amdhsa_next_free_vgpr 51
		.amdhsa_next_free_sgpr 24
		.amdhsa_accum_offset 52
		.amdhsa_reserve_vcc 1
		.amdhsa_float_round_mode_32 0
		.amdhsa_float_round_mode_16_64 0
		.amdhsa_float_denorm_mode_32 3
		.amdhsa_float_denorm_mode_16_64 3
		.amdhsa_dx10_clamp 1
		.amdhsa_ieee_mode 1
		.amdhsa_fp16_overflow 0
		.amdhsa_tg_split 0
		.amdhsa_exception_fp_ieee_invalid_op 0
		.amdhsa_exception_fp_denorm_src 0
		.amdhsa_exception_fp_ieee_div_zero 0
		.amdhsa_exception_fp_ieee_overflow 0
		.amdhsa_exception_fp_ieee_underflow 0
		.amdhsa_exception_fp_ieee_inexact 0
		.amdhsa_exception_int_div_zero 0
	.end_amdhsa_kernel
	.section	.text._Z17sort_pairs_kernelIhLj64ELj2EN10test_utils4lessELj10EEvPKT_PS2_T2_,"axG",@progbits,_Z17sort_pairs_kernelIhLj64ELj2EN10test_utils4lessELj10EEvPKT_PS2_T2_,comdat
.Lfunc_end83:
	.size	_Z17sort_pairs_kernelIhLj64ELj2EN10test_utils4lessELj10EEvPKT_PS2_T2_, .Lfunc_end83-_Z17sort_pairs_kernelIhLj64ELj2EN10test_utils4lessELj10EEvPKT_PS2_T2_
                                        ; -- End function
	.section	.AMDGPU.csdata,"",@progbits
; Kernel info:
; codeLenInByte = 3120
; NumSgprs: 30
; NumVgprs: 51
; NumAgprs: 0
; TotalNumVgprs: 51
; ScratchSize: 0
; MemoryBound: 0
; FloatMode: 240
; IeeeMode: 1
; LDSByteSize: 129 bytes/workgroup (compile time only)
; SGPRBlocks: 3
; VGPRBlocks: 6
; NumSGPRsForWavesPerEU: 30
; NumVGPRsForWavesPerEU: 51
; AccumOffset: 52
; Occupancy: 8
; WaveLimiterHint : 0
; COMPUTE_PGM_RSRC2:SCRATCH_EN: 0
; COMPUTE_PGM_RSRC2:USER_SGPR: 2
; COMPUTE_PGM_RSRC2:TRAP_HANDLER: 0
; COMPUTE_PGM_RSRC2:TGID_X_EN: 1
; COMPUTE_PGM_RSRC2:TGID_Y_EN: 0
; COMPUTE_PGM_RSRC2:TGID_Z_EN: 0
; COMPUTE_PGM_RSRC2:TIDIG_COMP_CNT: 0
; COMPUTE_PGM_RSRC3_GFX90A:ACCUM_OFFSET: 12
; COMPUTE_PGM_RSRC3_GFX90A:TG_SPLIT: 0
	.section	.text._Z16sort_keys_kernelIhLj64ELj3EN10test_utils4lessELj10EEvPKT_PS2_T2_,"axG",@progbits,_Z16sort_keys_kernelIhLj64ELj3EN10test_utils4lessELj10EEvPKT_PS2_T2_,comdat
	.protected	_Z16sort_keys_kernelIhLj64ELj3EN10test_utils4lessELj10EEvPKT_PS2_T2_ ; -- Begin function _Z16sort_keys_kernelIhLj64ELj3EN10test_utils4lessELj10EEvPKT_PS2_T2_
	.globl	_Z16sort_keys_kernelIhLj64ELj3EN10test_utils4lessELj10EEvPKT_PS2_T2_
	.p2align	8
	.type	_Z16sort_keys_kernelIhLj64ELj3EN10test_utils4lessELj10EEvPKT_PS2_T2_,@function
_Z16sort_keys_kernelIhLj64ELj3EN10test_utils4lessELj10EEvPKT_PS2_T2_: ; @_Z16sort_keys_kernelIhLj64ELj3EN10test_utils4lessELj10EEvPKT_PS2_T2_
; %bb.0:
	s_load_dwordx4 s[16:19], s[0:1], 0x0
	s_mul_i32 s20, s2, 0xc0
	v_and_b32_e32 v3, 62, v0
	v_and_b32_e32 v5, 60, v0
	v_mul_u32_u24_e32 v9, 3, v3
	s_waitcnt lgkmcnt(0)
	s_add_u32 s0, s16, s20
	s_addc_u32 s1, s17, 0
	global_load_ubyte v33, v0, s[0:1]
	global_load_ubyte v34, v0, s[0:1] offset:64
	global_load_ubyte v35, v0, s[0:1] offset:128
	v_and_b32_e32 v4, 1, v0
	v_and_b32_e32 v6, 56, v0
	v_mul_u32_u24_e32 v10, 3, v5
	v_min_u32_e32 v13, 0xbd, v9
	v_min_u32_e32 v14, 0xba, v9
	v_and_b32_e32 v7, 48, v0
	v_and_b32_e32 v8, 32, v0
	v_cmp_eq_u32_e32 vcc, 1, v4
	v_mul_u32_u24_e32 v11, 3, v6
	v_min_u32_e32 v15, 0xba, v10
	v_min_u32_e32 v16, 0xb4, v10
	v_add_u32_e32 v13, 3, v13
	v_add_u32_e32 v14, 6, v14
	v_and_b32_e32 v22, 3, v0
	v_cndmask_b32_e64 v3, 0, 3, vcc
	v_mul_u32_u24_e32 v12, 3, v7
	v_mul_u32_u24_e32 v36, 3, v8
	v_min_u32_e32 v17, 0xb4, v11
	v_min_u32_e32 v18, 0xa8, v11
	v_add_u32_e32 v15, 6, v15
	v_add_u32_e32 v16, 12, v16
	v_sub_u32_e32 v29, v14, v13
	v_and_b32_e32 v23, 7, v0
	v_mul_u32_u24_e32 v4, 3, v22
	v_min_u32_e32 v19, 0xa8, v12
	v_min_u32_e32 v20, 0x90, v12
	v_add_u32_e32 v17, 12, v17
	v_add_u32_e32 v18, 24, v18
	v_sub_u32_e32 v30, v16, v15
	v_sub_u32_e32 v37, v3, v29
	v_cmp_ge_i32_e32 vcc, v3, v29
	v_and_b32_e32 v24, 15, v0
	v_and_b32_e32 v38, 31, v0
	v_mul_u32_u24_e32 v5, 3, v23
	v_add_u32_e32 v19, 24, v19
	v_add_u32_e32 v20, 48, v20
	v_sub_u32_e32 v31, v18, v17
	v_sub_u32_e32 v39, v4, v30
	v_cndmask_b32_e32 v29, 0, v37, vcc
	v_cmp_ge_i32_e32 vcc, v4, v30
	v_mul_u32_u24_e32 v6, 3, v24
	v_mul_u32_u24_e32 v7, 3, v38
	v_min_u32_e32 v8, 0xc0, v9
	v_min_u32_e32 v9, 0xc0, v10
	v_min_u32_e32 v10, 0xc0, v11
	v_min_u32_e32 v11, 0xc0, v12
	v_min_u32_e32 v12, 0xc0, v36
	v_sub_u32_e32 v32, v20, v19
	v_sub_u32_e32 v40, v5, v31
	v_cndmask_b32_e32 v30, 0, v39, vcc
	v_cmp_ge_i32_e32 vcc, v5, v31
	v_mul_u32_u24_e32 v2, 3, v0
	v_sub_u32_e32 v25, v13, v8
	v_sub_u32_e32 v26, v15, v9
	;; [unrolled: 1-line block ×5, first 2 shown]
	v_cndmask_b32_e32 v31, 0, v40, vcc
	v_cmp_ge_i32_e32 vcc, v6, v32
	v_min_i32_e32 v25, v3, v25
	v_min_i32_e32 v26, v4, v26
	;; [unrolled: 1-line block ×4, first 2 shown]
	v_cndmask_b32_e32 v32, 0, v41, vcc
	v_min_i32_e32 v40, 0x60, v2
	s_movk_i32 s16, 0xc0
	s_mov_b32 s17, 0
	v_mov_b32_e32 v1, 0
	v_add_u32_e32 v21, v13, v3
	v_mad_u32_u24 v22, v22, 3, v15
	v_mad_u32_u24 v23, v23, 3, v17
	v_mad_u32_u24 v24, v24, 3, v19
	v_cmp_lt_i32_e32 vcc, v29, v25
	v_cmp_lt_i32_e64 s[0:1], v30, v26
	v_cmp_lt_i32_e64 s[2:3], v31, v27
	;; [unrolled: 1-line block ×3, first 2 shown]
	s_mov_b32 s21, 0x7060405
	s_movk_i32 s22, 0xff
	s_waitcnt vmcnt(1)
	v_lshlrev_b16_e32 v34, 8, v34
	v_or_b32_e32 v33, v33, v34
	v_and_b32_e32 v33, 0xffff, v33
	s_waitcnt vmcnt(0)
	v_lshl_or_b32 v43, v35, 16, v33
	v_min_u32_e32 v33, 0x90, v36
	v_min_u32_e32 v35, 0x60, v36
	v_add_u32_e32 v33, 48, v33
	v_add_u32_e32 v35, 0x60, v35
	v_sub_u32_e32 v36, v35, v33
	v_mov_b32_e32 v34, 0x60
	v_sub_u32_e32 v37, v33, v12
	v_sub_u32_e32 v39, v7, v36
	v_cmp_ge_i32_e64 s[6:7], v7, v36
	v_min_i32_e32 v37, v7, v37
	v_mad_u32_u24 v38, v38, 3, v33
	v_cndmask_b32_e64 v36, 0, v39, s[6:7]
	v_sub_u32_e64 v39, v2, v34 clamp
	v_cmp_lt_i32_e64 s[6:7], v36, v37
	v_cmp_lt_i32_e64 s[8:9], v39, v40
	v_mad_u32_u24 v41, v0, 3, v34
	s_movk_i32 s23, 0xff00
	s_mov_b32 s24, 0xffff0000
	v_mov_b32_e32 v42, 8
	s_branch .LBB84_2
.LBB84_1:                               ;   in Loop: Header=BB84_2 Depth=1
	s_or_b64 exec, exec, s[14:15]
	v_cndmask_b32_e64 v46, v47, v46, s[12:13]
	v_cmp_ge_i32_e64 s[12:13], v50, v34
	s_waitcnt lgkmcnt(0)
	v_cmp_lt_u16_sdwa s[14:15], v51, v45 src0_sel:BYTE_0 src1_sel:BYTE_0
	v_cndmask_b32_e64 v44, v43, v44, s[10:11]
	v_cmp_gt_i32_e64 s[10:11], s16, v48
	s_or_b64 s[12:13], s[12:13], s[14:15]
	s_and_b64 s[10:11], s[10:11], s[12:13]
	v_cndmask_b32_e64 v45, v45, v51, s[10:11]
	v_lshlrev_b16_e32 v43, 8, v46
	v_and_b32_e32 v47, 0xff, v45
	v_or_b32_sdwa v43, v44, v43 dst_sel:DWORD dst_unused:UNUSED_PAD src0_sel:BYTE_0 src1_sel:DWORD
	v_lshlrev_b32_e32 v47, 16, v47
	s_add_i32 s17, s17, 1
	s_cmp_eq_u32 s17, 10
	v_or_b32_sdwa v43, v43, v47 dst_sel:DWORD dst_unused:UNUSED_PAD src0_sel:WORD_0 src1_sel:DWORD
	s_cbranch_scc1 .LBB84_74
.LBB84_2:                               ; =>This Loop Header: Depth=1
                                        ;     Child Loop BB84_4 Depth 2
                                        ;     Child Loop BB84_16 Depth 2
	;; [unrolled: 1-line block ×6, first 2 shown]
	v_lshrrev_b32_e32 v45, 8, v43
	v_perm_b32 v44, v43, v43, s21
	v_cmp_lt_u16_sdwa s[10:11], v45, v43 src0_sel:BYTE_0 src1_sel:BYTE_0
	v_max_u16_sdwa v47, v45, v43 dst_sel:DWORD dst_unused:UNUSED_PAD src0_sel:BYTE_0 src1_sel:BYTE_0
	s_nop 0
	v_cndmask_b32_e64 v44, v43, v44, s[10:11]
	v_and_b32_sdwa v46, v44, s23 dst_sel:DWORD dst_unused:UNUSED_PAD src0_sel:WORD_1 src1_sel:DWORD
	v_lshlrev_b16_sdwa v48, v42, v44 dst_sel:DWORD dst_unused:UNUSED_PAD src0_sel:DWORD src1_sel:WORD_1
	v_or_b32_sdwa v46, v47, v46 dst_sel:WORD_1 dst_unused:UNUSED_PAD src0_sel:DWORD src1_sel:DWORD
	v_min_u16_sdwa v43, v45, v43 dst_sel:DWORD dst_unused:UNUSED_PAD src0_sel:BYTE_0 src1_sel:BYTE_0
	v_and_b32_sdwa v45, v44, s22 dst_sel:DWORD dst_unused:UNUSED_PAD src0_sel:WORD_1 src1_sel:DWORD
	v_or_b32_sdwa v48, v44, v48 dst_sel:DWORD dst_unused:UNUSED_PAD src0_sel:BYTE_0 src1_sel:DWORD
	v_or_b32_sdwa v46, v48, v46 dst_sel:DWORD dst_unused:UNUSED_PAD src0_sel:WORD_0 src1_sel:DWORD
	v_cmp_lt_u16_e64 s[10:11], v45, v47
	; wave barrier
	s_nop 1
	v_cndmask_b32_e64 v44, v44, v46, s[10:11]
	v_min_u16_e32 v46, v45, v47
	v_lshlrev_b16_e32 v47, 8, v43
	v_or_b32_e32 v46, v46, v47
	v_and_b32_e32 v46, 0xffff, v46
	v_and_or_b32 v46, v44, s24, v46
	v_cmp_lt_u16_e64 s[10:11], v45, v43
	s_nop 1
	v_cndmask_b32_e64 v43, v44, v46, s[10:11]
	v_lshrrev_b32_e32 v44, 8, v43
	ds_write_b8 v2, v43
	ds_write_b8 v2, v44 offset:1
	ds_write_b8_d16_hi v2, v43 offset:2
	v_mov_b32_e32 v43, v29
	s_waitcnt lgkmcnt(0)
	; wave barrier
	s_waitcnt lgkmcnt(0)
	s_and_saveexec_b64 s[12:13], vcc
	s_cbranch_execz .LBB84_6
; %bb.3:                                ;   in Loop: Header=BB84_2 Depth=1
	s_mov_b64 s[14:15], 0
	v_mov_b32_e32 v43, v29
	v_mov_b32_e32 v44, v25
.LBB84_4:                               ;   Parent Loop BB84_2 Depth=1
                                        ; =>  This Inner Loop Header: Depth=2
	v_sub_u32_e32 v45, v44, v43
	v_lshrrev_b32_e32 v46, 31, v45
	v_add_u32_e32 v45, v45, v46
	v_ashrrev_i32_e32 v45, 1, v45
	v_add_u32_e32 v45, v45, v43
	v_not_b32_e32 v47, v45
	v_add_u32_e32 v46, v8, v45
	v_add3_u32 v47, v3, v47, v13
	ds_read_u8 v46, v46
	ds_read_u8 v47, v47
	v_add_u32_e32 v48, 1, v45
	s_waitcnt lgkmcnt(0)
	v_cmp_lt_u16_e64 s[10:11], v47, v46
	s_nop 1
	v_cndmask_b32_e64 v44, v44, v45, s[10:11]
	v_cndmask_b32_e64 v43, v48, v43, s[10:11]
	v_cmp_ge_i32_e64 s[10:11], v43, v44
	s_or_b64 s[14:15], s[10:11], s[14:15]
	s_andn2_b64 exec, exec, s[14:15]
	s_cbranch_execnz .LBB84_4
; %bb.5:                                ;   in Loop: Header=BB84_2 Depth=1
	s_or_b64 exec, exec, s[14:15]
.LBB84_6:                               ;   in Loop: Header=BB84_2 Depth=1
	s_or_b64 exec, exec, s[12:13]
	v_add_u32_e32 v47, v43, v8
	v_sub_u32_e32 v48, v21, v43
	ds_read_u8 v43, v47
	ds_read_u8 v44, v48
	v_cmp_le_i32_e64 s[12:13], v13, v47
	v_cmp_gt_i32_e64 s[10:11], v14, v48
                                        ; implicit-def: $vgpr45
                                        ; implicit-def: $vgpr46
	s_waitcnt lgkmcnt(0)
	v_cmp_lt_u16_sdwa s[14:15], v44, v43 src0_sel:BYTE_0 src1_sel:BYTE_0
	s_or_b64 s[12:13], s[12:13], s[14:15]
	s_and_b64 s[10:11], s[10:11], s[12:13]
	s_xor_b64 s[12:13], s[10:11], -1
	s_and_saveexec_b64 s[14:15], s[12:13]
	s_xor_b64 s[12:13], exec, s[14:15]
	s_cbranch_execz .LBB84_8
; %bb.7:                                ;   in Loop: Header=BB84_2 Depth=1
	ds_read_u8 v46, v47 offset:1
	v_mov_b32_e32 v45, v44
.LBB84_8:                               ;   in Loop: Header=BB84_2 Depth=1
	s_andn2_saveexec_b64 s[12:13], s[12:13]
	s_cbranch_execz .LBB84_10
; %bb.9:                                ;   in Loop: Header=BB84_2 Depth=1
	ds_read_u8 v45, v48 offset:1
	s_waitcnt lgkmcnt(1)
	v_mov_b32_e32 v46, v43
.LBB84_10:                              ;   in Loop: Header=BB84_2 Depth=1
	s_or_b64 exec, exec, s[12:13]
	v_add_u32_e32 v50, 1, v47
	v_add_u32_e32 v49, 1, v48
	v_cndmask_b32_e64 v47, v50, v47, s[10:11]
	v_cndmask_b32_e64 v48, v48, v49, s[10:11]
	v_cmp_ge_i32_e64 s[14:15], v47, v13
	s_waitcnt lgkmcnt(0)
	v_cmp_lt_u16_sdwa s[26:27], v45, v46 src0_sel:BYTE_0 src1_sel:BYTE_0
	v_cmp_lt_i32_e64 s[12:13], v48, v14
	s_or_b64 s[14:15], s[14:15], s[26:27]
	s_and_b64 s[12:13], s[12:13], s[14:15]
	s_xor_b64 s[14:15], s[12:13], -1
                                        ; implicit-def: $vgpr49
	s_and_saveexec_b64 s[26:27], s[14:15]
	s_xor_b64 s[14:15], exec, s[26:27]
	s_cbranch_execz .LBB84_12
; %bb.11:                               ;   in Loop: Header=BB84_2 Depth=1
	ds_read_u8 v49, v47 offset:1
.LBB84_12:                              ;   in Loop: Header=BB84_2 Depth=1
	s_or_saveexec_b64 s[14:15], s[14:15]
	v_mov_b32_e32 v50, v45
	s_xor_b64 exec, exec, s[14:15]
	s_cbranch_execz .LBB84_14
; %bb.13:                               ;   in Loop: Header=BB84_2 Depth=1
	ds_read_u8 v50, v48 offset:1
	s_waitcnt lgkmcnt(1)
	v_mov_b32_e32 v49, v46
.LBB84_14:                              ;   in Loop: Header=BB84_2 Depth=1
	s_or_b64 exec, exec, s[14:15]
	v_add_u32_e32 v51, 1, v47
	v_cndmask_b32_e64 v45, v46, v45, s[12:13]
	v_add_u32_e32 v46, 1, v48
	v_cndmask_b32_e64 v47, v51, v47, s[12:13]
	v_cndmask_b32_e64 v46, v48, v46, s[12:13]
	v_cmp_ge_i32_e64 s[12:13], v47, v13
	s_waitcnt lgkmcnt(0)
	v_cmp_lt_u16_sdwa s[14:15], v50, v49 src0_sel:BYTE_0 src1_sel:BYTE_0
	v_cndmask_b32_e64 v43, v43, v44, s[10:11]
	v_cmp_lt_i32_e64 s[10:11], v46, v14
	s_or_b64 s[12:13], s[12:13], s[14:15]
	s_and_b64 s[10:11], s[10:11], s[12:13]
	v_cndmask_b32_e64 v44, v49, v50, s[10:11]
	s_waitcnt lgkmcnt(0)
	; wave barrier
	ds_write_b8 v2, v43
	ds_write_b8 v2, v45 offset:1
	ds_write_b8 v2, v44 offset:2
	v_mov_b32_e32 v43, v30
	s_waitcnt lgkmcnt(0)
	; wave barrier
	s_waitcnt lgkmcnt(0)
	s_and_saveexec_b64 s[12:13], s[0:1]
	s_cbranch_execz .LBB84_18
; %bb.15:                               ;   in Loop: Header=BB84_2 Depth=1
	s_mov_b64 s[14:15], 0
	v_mov_b32_e32 v43, v30
	v_mov_b32_e32 v44, v26
.LBB84_16:                              ;   Parent Loop BB84_2 Depth=1
                                        ; =>  This Inner Loop Header: Depth=2
	v_sub_u32_e32 v45, v44, v43
	v_lshrrev_b32_e32 v46, 31, v45
	v_add_u32_e32 v45, v45, v46
	v_ashrrev_i32_e32 v45, 1, v45
	v_add_u32_e32 v45, v45, v43
	v_not_b32_e32 v47, v45
	v_add_u32_e32 v46, v9, v45
	v_add3_u32 v47, v4, v47, v15
	ds_read_u8 v46, v46
	ds_read_u8 v47, v47
	v_add_u32_e32 v48, 1, v45
	s_waitcnt lgkmcnt(0)
	v_cmp_lt_u16_e64 s[10:11], v47, v46
	s_nop 1
	v_cndmask_b32_e64 v44, v44, v45, s[10:11]
	v_cndmask_b32_e64 v43, v48, v43, s[10:11]
	v_cmp_ge_i32_e64 s[10:11], v43, v44
	s_or_b64 s[14:15], s[10:11], s[14:15]
	s_andn2_b64 exec, exec, s[14:15]
	s_cbranch_execnz .LBB84_16
; %bb.17:                               ;   in Loop: Header=BB84_2 Depth=1
	s_or_b64 exec, exec, s[14:15]
.LBB84_18:                              ;   in Loop: Header=BB84_2 Depth=1
	s_or_b64 exec, exec, s[12:13]
	v_add_u32_e32 v47, v43, v9
	v_sub_u32_e32 v48, v22, v43
	ds_read_u8 v43, v47
	ds_read_u8 v44, v48
	v_cmp_le_i32_e64 s[12:13], v15, v47
	v_cmp_gt_i32_e64 s[10:11], v16, v48
                                        ; implicit-def: $vgpr45
                                        ; implicit-def: $vgpr46
	s_waitcnt lgkmcnt(0)
	v_cmp_lt_u16_sdwa s[14:15], v44, v43 src0_sel:BYTE_0 src1_sel:BYTE_0
	s_or_b64 s[12:13], s[12:13], s[14:15]
	s_and_b64 s[10:11], s[10:11], s[12:13]
	s_xor_b64 s[12:13], s[10:11], -1
	s_and_saveexec_b64 s[14:15], s[12:13]
	s_xor_b64 s[12:13], exec, s[14:15]
	s_cbranch_execz .LBB84_20
; %bb.19:                               ;   in Loop: Header=BB84_2 Depth=1
	ds_read_u8 v46, v47 offset:1
	v_mov_b32_e32 v45, v44
.LBB84_20:                              ;   in Loop: Header=BB84_2 Depth=1
	s_andn2_saveexec_b64 s[12:13], s[12:13]
	s_cbranch_execz .LBB84_22
; %bb.21:                               ;   in Loop: Header=BB84_2 Depth=1
	ds_read_u8 v45, v48 offset:1
	s_waitcnt lgkmcnt(1)
	v_mov_b32_e32 v46, v43
.LBB84_22:                              ;   in Loop: Header=BB84_2 Depth=1
	s_or_b64 exec, exec, s[12:13]
	v_add_u32_e32 v50, 1, v47
	v_add_u32_e32 v49, 1, v48
	v_cndmask_b32_e64 v47, v50, v47, s[10:11]
	v_cndmask_b32_e64 v48, v48, v49, s[10:11]
	v_cmp_ge_i32_e64 s[14:15], v47, v15
	s_waitcnt lgkmcnt(0)
	v_cmp_lt_u16_sdwa s[26:27], v45, v46 src0_sel:BYTE_0 src1_sel:BYTE_0
	v_cmp_lt_i32_e64 s[12:13], v48, v16
	s_or_b64 s[14:15], s[14:15], s[26:27]
	s_and_b64 s[12:13], s[12:13], s[14:15]
	s_xor_b64 s[14:15], s[12:13], -1
                                        ; implicit-def: $vgpr49
	s_and_saveexec_b64 s[26:27], s[14:15]
	s_xor_b64 s[14:15], exec, s[26:27]
	s_cbranch_execz .LBB84_24
; %bb.23:                               ;   in Loop: Header=BB84_2 Depth=1
	ds_read_u8 v49, v47 offset:1
.LBB84_24:                              ;   in Loop: Header=BB84_2 Depth=1
	s_or_saveexec_b64 s[14:15], s[14:15]
	v_mov_b32_e32 v50, v45
	s_xor_b64 exec, exec, s[14:15]
	s_cbranch_execz .LBB84_26
; %bb.25:                               ;   in Loop: Header=BB84_2 Depth=1
	ds_read_u8 v50, v48 offset:1
	s_waitcnt lgkmcnt(1)
	v_mov_b32_e32 v49, v46
.LBB84_26:                              ;   in Loop: Header=BB84_2 Depth=1
	s_or_b64 exec, exec, s[14:15]
	v_add_u32_e32 v51, 1, v47
	v_cndmask_b32_e64 v45, v46, v45, s[12:13]
	v_add_u32_e32 v46, 1, v48
	v_cndmask_b32_e64 v47, v51, v47, s[12:13]
	v_cndmask_b32_e64 v46, v48, v46, s[12:13]
	v_cmp_ge_i32_e64 s[12:13], v47, v15
	s_waitcnt lgkmcnt(0)
	v_cmp_lt_u16_sdwa s[14:15], v50, v49 src0_sel:BYTE_0 src1_sel:BYTE_0
	v_cndmask_b32_e64 v43, v43, v44, s[10:11]
	v_cmp_lt_i32_e64 s[10:11], v46, v16
	s_or_b64 s[12:13], s[12:13], s[14:15]
	s_and_b64 s[10:11], s[10:11], s[12:13]
	v_cndmask_b32_e64 v44, v49, v50, s[10:11]
	s_waitcnt lgkmcnt(0)
	; wave barrier
	ds_write_b8 v2, v43
	ds_write_b8 v2, v45 offset:1
	ds_write_b8 v2, v44 offset:2
	v_mov_b32_e32 v43, v31
	s_waitcnt lgkmcnt(0)
	; wave barrier
	s_waitcnt lgkmcnt(0)
	s_and_saveexec_b64 s[12:13], s[2:3]
	s_cbranch_execz .LBB84_30
; %bb.27:                               ;   in Loop: Header=BB84_2 Depth=1
	s_mov_b64 s[14:15], 0
	v_mov_b32_e32 v43, v31
	v_mov_b32_e32 v44, v27
.LBB84_28:                              ;   Parent Loop BB84_2 Depth=1
                                        ; =>  This Inner Loop Header: Depth=2
	v_sub_u32_e32 v45, v44, v43
	v_lshrrev_b32_e32 v46, 31, v45
	v_add_u32_e32 v45, v45, v46
	v_ashrrev_i32_e32 v45, 1, v45
	v_add_u32_e32 v45, v45, v43
	v_not_b32_e32 v47, v45
	v_add_u32_e32 v46, v10, v45
	v_add3_u32 v47, v5, v47, v17
	ds_read_u8 v46, v46
	ds_read_u8 v47, v47
	v_add_u32_e32 v48, 1, v45
	s_waitcnt lgkmcnt(0)
	v_cmp_lt_u16_e64 s[10:11], v47, v46
	s_nop 1
	v_cndmask_b32_e64 v44, v44, v45, s[10:11]
	v_cndmask_b32_e64 v43, v48, v43, s[10:11]
	v_cmp_ge_i32_e64 s[10:11], v43, v44
	s_or_b64 s[14:15], s[10:11], s[14:15]
	s_andn2_b64 exec, exec, s[14:15]
	s_cbranch_execnz .LBB84_28
; %bb.29:                               ;   in Loop: Header=BB84_2 Depth=1
	s_or_b64 exec, exec, s[14:15]
.LBB84_30:                              ;   in Loop: Header=BB84_2 Depth=1
	s_or_b64 exec, exec, s[12:13]
	v_add_u32_e32 v47, v43, v10
	v_sub_u32_e32 v48, v23, v43
	ds_read_u8 v43, v47
	ds_read_u8 v44, v48
	v_cmp_le_i32_e64 s[12:13], v17, v47
	v_cmp_gt_i32_e64 s[10:11], v18, v48
                                        ; implicit-def: $vgpr45
                                        ; implicit-def: $vgpr46
	s_waitcnt lgkmcnt(0)
	v_cmp_lt_u16_sdwa s[14:15], v44, v43 src0_sel:BYTE_0 src1_sel:BYTE_0
	s_or_b64 s[12:13], s[12:13], s[14:15]
	s_and_b64 s[10:11], s[10:11], s[12:13]
	s_xor_b64 s[12:13], s[10:11], -1
	s_and_saveexec_b64 s[14:15], s[12:13]
	s_xor_b64 s[12:13], exec, s[14:15]
	s_cbranch_execz .LBB84_32
; %bb.31:                               ;   in Loop: Header=BB84_2 Depth=1
	ds_read_u8 v46, v47 offset:1
	v_mov_b32_e32 v45, v44
.LBB84_32:                              ;   in Loop: Header=BB84_2 Depth=1
	s_andn2_saveexec_b64 s[12:13], s[12:13]
	s_cbranch_execz .LBB84_34
; %bb.33:                               ;   in Loop: Header=BB84_2 Depth=1
	ds_read_u8 v45, v48 offset:1
	s_waitcnt lgkmcnt(1)
	v_mov_b32_e32 v46, v43
.LBB84_34:                              ;   in Loop: Header=BB84_2 Depth=1
	s_or_b64 exec, exec, s[12:13]
	v_add_u32_e32 v50, 1, v47
	v_add_u32_e32 v49, 1, v48
	v_cndmask_b32_e64 v47, v50, v47, s[10:11]
	v_cndmask_b32_e64 v48, v48, v49, s[10:11]
	v_cmp_ge_i32_e64 s[14:15], v47, v17
	s_waitcnt lgkmcnt(0)
	v_cmp_lt_u16_sdwa s[26:27], v45, v46 src0_sel:BYTE_0 src1_sel:BYTE_0
	v_cmp_lt_i32_e64 s[12:13], v48, v18
	s_or_b64 s[14:15], s[14:15], s[26:27]
	s_and_b64 s[12:13], s[12:13], s[14:15]
	s_xor_b64 s[14:15], s[12:13], -1
                                        ; implicit-def: $vgpr49
	s_and_saveexec_b64 s[26:27], s[14:15]
	s_xor_b64 s[14:15], exec, s[26:27]
	s_cbranch_execz .LBB84_36
; %bb.35:                               ;   in Loop: Header=BB84_2 Depth=1
	ds_read_u8 v49, v47 offset:1
.LBB84_36:                              ;   in Loop: Header=BB84_2 Depth=1
	s_or_saveexec_b64 s[14:15], s[14:15]
	v_mov_b32_e32 v50, v45
	s_xor_b64 exec, exec, s[14:15]
	s_cbranch_execz .LBB84_38
; %bb.37:                               ;   in Loop: Header=BB84_2 Depth=1
	ds_read_u8 v50, v48 offset:1
	s_waitcnt lgkmcnt(1)
	v_mov_b32_e32 v49, v46
.LBB84_38:                              ;   in Loop: Header=BB84_2 Depth=1
	s_or_b64 exec, exec, s[14:15]
	v_add_u32_e32 v51, 1, v47
	v_cndmask_b32_e64 v45, v46, v45, s[12:13]
	v_add_u32_e32 v46, 1, v48
	v_cndmask_b32_e64 v47, v51, v47, s[12:13]
	v_cndmask_b32_e64 v46, v48, v46, s[12:13]
	v_cmp_ge_i32_e64 s[12:13], v47, v17
	s_waitcnt lgkmcnt(0)
	v_cmp_lt_u16_sdwa s[14:15], v50, v49 src0_sel:BYTE_0 src1_sel:BYTE_0
	v_cndmask_b32_e64 v43, v43, v44, s[10:11]
	v_cmp_lt_i32_e64 s[10:11], v46, v18
	s_or_b64 s[12:13], s[12:13], s[14:15]
	s_and_b64 s[10:11], s[10:11], s[12:13]
	v_cndmask_b32_e64 v44, v49, v50, s[10:11]
	s_waitcnt lgkmcnt(0)
	; wave barrier
	ds_write_b8 v2, v43
	ds_write_b8 v2, v45 offset:1
	ds_write_b8 v2, v44 offset:2
	v_mov_b32_e32 v43, v32
	s_waitcnt lgkmcnt(0)
	; wave barrier
	s_waitcnt lgkmcnt(0)
	s_and_saveexec_b64 s[12:13], s[4:5]
	s_cbranch_execz .LBB84_42
; %bb.39:                               ;   in Loop: Header=BB84_2 Depth=1
	s_mov_b64 s[14:15], 0
	v_mov_b32_e32 v43, v32
	v_mov_b32_e32 v44, v28
.LBB84_40:                              ;   Parent Loop BB84_2 Depth=1
                                        ; =>  This Inner Loop Header: Depth=2
	v_sub_u32_e32 v45, v44, v43
	v_lshrrev_b32_e32 v46, 31, v45
	v_add_u32_e32 v45, v45, v46
	v_ashrrev_i32_e32 v45, 1, v45
	v_add_u32_e32 v45, v45, v43
	v_not_b32_e32 v47, v45
	v_add_u32_e32 v46, v11, v45
	v_add3_u32 v47, v6, v47, v19
	ds_read_u8 v46, v46
	ds_read_u8 v47, v47
	v_add_u32_e32 v48, 1, v45
	s_waitcnt lgkmcnt(0)
	v_cmp_lt_u16_e64 s[10:11], v47, v46
	s_nop 1
	v_cndmask_b32_e64 v44, v44, v45, s[10:11]
	v_cndmask_b32_e64 v43, v48, v43, s[10:11]
	v_cmp_ge_i32_e64 s[10:11], v43, v44
	s_or_b64 s[14:15], s[10:11], s[14:15]
	s_andn2_b64 exec, exec, s[14:15]
	s_cbranch_execnz .LBB84_40
; %bb.41:                               ;   in Loop: Header=BB84_2 Depth=1
	s_or_b64 exec, exec, s[14:15]
.LBB84_42:                              ;   in Loop: Header=BB84_2 Depth=1
	s_or_b64 exec, exec, s[12:13]
	v_add_u32_e32 v47, v43, v11
	v_sub_u32_e32 v48, v24, v43
	ds_read_u8 v43, v47
	ds_read_u8 v44, v48
	v_cmp_le_i32_e64 s[12:13], v19, v47
	v_cmp_gt_i32_e64 s[10:11], v20, v48
                                        ; implicit-def: $vgpr45
                                        ; implicit-def: $vgpr46
	s_waitcnt lgkmcnt(0)
	v_cmp_lt_u16_sdwa s[14:15], v44, v43 src0_sel:BYTE_0 src1_sel:BYTE_0
	s_or_b64 s[12:13], s[12:13], s[14:15]
	s_and_b64 s[10:11], s[10:11], s[12:13]
	s_xor_b64 s[12:13], s[10:11], -1
	s_and_saveexec_b64 s[14:15], s[12:13]
	s_xor_b64 s[12:13], exec, s[14:15]
	s_cbranch_execz .LBB84_44
; %bb.43:                               ;   in Loop: Header=BB84_2 Depth=1
	ds_read_u8 v46, v47 offset:1
	v_mov_b32_e32 v45, v44
.LBB84_44:                              ;   in Loop: Header=BB84_2 Depth=1
	s_andn2_saveexec_b64 s[12:13], s[12:13]
	s_cbranch_execz .LBB84_46
; %bb.45:                               ;   in Loop: Header=BB84_2 Depth=1
	ds_read_u8 v45, v48 offset:1
	s_waitcnt lgkmcnt(1)
	v_mov_b32_e32 v46, v43
.LBB84_46:                              ;   in Loop: Header=BB84_2 Depth=1
	s_or_b64 exec, exec, s[12:13]
	v_add_u32_e32 v50, 1, v47
	v_add_u32_e32 v49, 1, v48
	v_cndmask_b32_e64 v47, v50, v47, s[10:11]
	v_cndmask_b32_e64 v48, v48, v49, s[10:11]
	v_cmp_ge_i32_e64 s[14:15], v47, v19
	s_waitcnt lgkmcnt(0)
	v_cmp_lt_u16_sdwa s[26:27], v45, v46 src0_sel:BYTE_0 src1_sel:BYTE_0
	v_cmp_lt_i32_e64 s[12:13], v48, v20
	s_or_b64 s[14:15], s[14:15], s[26:27]
	s_and_b64 s[12:13], s[12:13], s[14:15]
	s_xor_b64 s[14:15], s[12:13], -1
                                        ; implicit-def: $vgpr49
	s_and_saveexec_b64 s[26:27], s[14:15]
	s_xor_b64 s[14:15], exec, s[26:27]
	s_cbranch_execz .LBB84_48
; %bb.47:                               ;   in Loop: Header=BB84_2 Depth=1
	ds_read_u8 v49, v47 offset:1
.LBB84_48:                              ;   in Loop: Header=BB84_2 Depth=1
	s_or_saveexec_b64 s[14:15], s[14:15]
	v_mov_b32_e32 v50, v45
	s_xor_b64 exec, exec, s[14:15]
	s_cbranch_execz .LBB84_50
; %bb.49:                               ;   in Loop: Header=BB84_2 Depth=1
	ds_read_u8 v50, v48 offset:1
	s_waitcnt lgkmcnt(1)
	v_mov_b32_e32 v49, v46
.LBB84_50:                              ;   in Loop: Header=BB84_2 Depth=1
	s_or_b64 exec, exec, s[14:15]
	v_add_u32_e32 v51, 1, v47
	v_cndmask_b32_e64 v45, v46, v45, s[12:13]
	v_add_u32_e32 v46, 1, v48
	v_cndmask_b32_e64 v47, v51, v47, s[12:13]
	v_cndmask_b32_e64 v46, v48, v46, s[12:13]
	v_cmp_ge_i32_e64 s[12:13], v47, v19
	s_waitcnt lgkmcnt(0)
	v_cmp_lt_u16_sdwa s[14:15], v50, v49 src0_sel:BYTE_0 src1_sel:BYTE_0
	v_cndmask_b32_e64 v43, v43, v44, s[10:11]
	v_cmp_lt_i32_e64 s[10:11], v46, v20
	s_or_b64 s[12:13], s[12:13], s[14:15]
	s_and_b64 s[10:11], s[10:11], s[12:13]
	v_cndmask_b32_e64 v44, v49, v50, s[10:11]
	s_waitcnt lgkmcnt(0)
	; wave barrier
	ds_write_b8 v2, v43
	ds_write_b8 v2, v45 offset:1
	ds_write_b8 v2, v44 offset:2
	v_mov_b32_e32 v43, v36
	s_waitcnt lgkmcnt(0)
	; wave barrier
	s_waitcnt lgkmcnt(0)
	s_and_saveexec_b64 s[12:13], s[6:7]
	s_cbranch_execz .LBB84_54
; %bb.51:                               ;   in Loop: Header=BB84_2 Depth=1
	s_mov_b64 s[14:15], 0
	v_mov_b32_e32 v43, v36
	v_mov_b32_e32 v44, v37
.LBB84_52:                              ;   Parent Loop BB84_2 Depth=1
                                        ; =>  This Inner Loop Header: Depth=2
	v_sub_u32_e32 v45, v44, v43
	v_lshrrev_b32_e32 v46, 31, v45
	v_add_u32_e32 v45, v45, v46
	v_ashrrev_i32_e32 v45, 1, v45
	v_add_u32_e32 v45, v45, v43
	v_not_b32_e32 v47, v45
	v_add_u32_e32 v46, v12, v45
	v_add3_u32 v47, v7, v47, v33
	ds_read_u8 v46, v46
	ds_read_u8 v47, v47
	v_add_u32_e32 v48, 1, v45
	s_waitcnt lgkmcnt(0)
	v_cmp_lt_u16_e64 s[10:11], v47, v46
	s_nop 1
	v_cndmask_b32_e64 v44, v44, v45, s[10:11]
	v_cndmask_b32_e64 v43, v48, v43, s[10:11]
	v_cmp_ge_i32_e64 s[10:11], v43, v44
	s_or_b64 s[14:15], s[10:11], s[14:15]
	s_andn2_b64 exec, exec, s[14:15]
	s_cbranch_execnz .LBB84_52
; %bb.53:                               ;   in Loop: Header=BB84_2 Depth=1
	s_or_b64 exec, exec, s[14:15]
.LBB84_54:                              ;   in Loop: Header=BB84_2 Depth=1
	s_or_b64 exec, exec, s[12:13]
	v_add_u32_e32 v47, v43, v12
	v_sub_u32_e32 v48, v38, v43
	ds_read_u8 v43, v47
	ds_read_u8 v44, v48
	v_cmp_le_i32_e64 s[12:13], v33, v47
	v_cmp_gt_i32_e64 s[10:11], v35, v48
                                        ; implicit-def: $vgpr45
                                        ; implicit-def: $vgpr46
	s_waitcnt lgkmcnt(0)
	v_cmp_lt_u16_sdwa s[14:15], v44, v43 src0_sel:BYTE_0 src1_sel:BYTE_0
	s_or_b64 s[12:13], s[12:13], s[14:15]
	s_and_b64 s[10:11], s[10:11], s[12:13]
	s_xor_b64 s[12:13], s[10:11], -1
	s_and_saveexec_b64 s[14:15], s[12:13]
	s_xor_b64 s[12:13], exec, s[14:15]
	s_cbranch_execz .LBB84_56
; %bb.55:                               ;   in Loop: Header=BB84_2 Depth=1
	ds_read_u8 v46, v47 offset:1
	v_mov_b32_e32 v45, v44
.LBB84_56:                              ;   in Loop: Header=BB84_2 Depth=1
	s_andn2_saveexec_b64 s[12:13], s[12:13]
	s_cbranch_execz .LBB84_58
; %bb.57:                               ;   in Loop: Header=BB84_2 Depth=1
	ds_read_u8 v45, v48 offset:1
	s_waitcnt lgkmcnt(1)
	v_mov_b32_e32 v46, v43
.LBB84_58:                              ;   in Loop: Header=BB84_2 Depth=1
	s_or_b64 exec, exec, s[12:13]
	v_add_u32_e32 v50, 1, v47
	v_add_u32_e32 v49, 1, v48
	v_cndmask_b32_e64 v47, v50, v47, s[10:11]
	v_cndmask_b32_e64 v48, v48, v49, s[10:11]
	v_cmp_ge_i32_e64 s[14:15], v47, v33
	s_waitcnt lgkmcnt(0)
	v_cmp_lt_u16_sdwa s[26:27], v45, v46 src0_sel:BYTE_0 src1_sel:BYTE_0
	v_cmp_lt_i32_e64 s[12:13], v48, v35
	s_or_b64 s[14:15], s[14:15], s[26:27]
	s_and_b64 s[12:13], s[12:13], s[14:15]
	s_xor_b64 s[14:15], s[12:13], -1
                                        ; implicit-def: $vgpr49
	s_and_saveexec_b64 s[26:27], s[14:15]
	s_xor_b64 s[14:15], exec, s[26:27]
	s_cbranch_execz .LBB84_60
; %bb.59:                               ;   in Loop: Header=BB84_2 Depth=1
	ds_read_u8 v49, v47 offset:1
.LBB84_60:                              ;   in Loop: Header=BB84_2 Depth=1
	s_or_saveexec_b64 s[14:15], s[14:15]
	v_mov_b32_e32 v50, v45
	s_xor_b64 exec, exec, s[14:15]
	s_cbranch_execz .LBB84_62
; %bb.61:                               ;   in Loop: Header=BB84_2 Depth=1
	ds_read_u8 v50, v48 offset:1
	s_waitcnt lgkmcnt(1)
	v_mov_b32_e32 v49, v46
.LBB84_62:                              ;   in Loop: Header=BB84_2 Depth=1
	s_or_b64 exec, exec, s[14:15]
	v_add_u32_e32 v51, 1, v47
	v_cndmask_b32_e64 v45, v46, v45, s[12:13]
	v_add_u32_e32 v46, 1, v48
	v_cndmask_b32_e64 v47, v51, v47, s[12:13]
	v_cndmask_b32_e64 v46, v48, v46, s[12:13]
	v_cmp_ge_i32_e64 s[12:13], v47, v33
	s_waitcnt lgkmcnt(0)
	v_cmp_lt_u16_sdwa s[14:15], v50, v49 src0_sel:BYTE_0 src1_sel:BYTE_0
	v_cndmask_b32_e64 v43, v43, v44, s[10:11]
	v_cmp_lt_i32_e64 s[10:11], v46, v35
	s_or_b64 s[12:13], s[12:13], s[14:15]
	s_and_b64 s[10:11], s[10:11], s[12:13]
	v_cndmask_b32_e64 v44, v49, v50, s[10:11]
	s_waitcnt lgkmcnt(0)
	; wave barrier
	ds_write_b8 v2, v43
	ds_write_b8 v2, v45 offset:1
	ds_write_b8 v2, v44 offset:2
	v_mov_b32_e32 v45, v39
	s_waitcnt lgkmcnt(0)
	; wave barrier
	s_waitcnt lgkmcnt(0)
	s_and_saveexec_b64 s[12:13], s[8:9]
	s_cbranch_execz .LBB84_66
; %bb.63:                               ;   in Loop: Header=BB84_2 Depth=1
	s_mov_b64 s[14:15], 0
	v_mov_b32_e32 v45, v39
	v_mov_b32_e32 v43, v40
.LBB84_64:                              ;   Parent Loop BB84_2 Depth=1
                                        ; =>  This Inner Loop Header: Depth=2
	v_sub_u32_e32 v44, v43, v45
	v_lshrrev_b32_e32 v46, 31, v44
	v_add_u32_e32 v44, v44, v46
	v_ashrrev_i32_e32 v44, 1, v44
	v_add_u32_e32 v44, v44, v45
	v_not_b32_e32 v46, v44
	v_add3_u32 v46, v2, v46, v34
	ds_read_u8 v47, v44
	ds_read_u8 v46, v46
	v_add_u32_e32 v48, 1, v44
	s_waitcnt lgkmcnt(0)
	v_cmp_lt_u16_e64 s[10:11], v46, v47
	s_nop 1
	v_cndmask_b32_e64 v43, v43, v44, s[10:11]
	v_cndmask_b32_e64 v45, v48, v45, s[10:11]
	v_cmp_ge_i32_e64 s[10:11], v45, v43
	s_or_b64 s[14:15], s[10:11], s[14:15]
	s_andn2_b64 exec, exec, s[14:15]
	s_cbranch_execnz .LBB84_64
; %bb.65:                               ;   in Loop: Header=BB84_2 Depth=1
	s_or_b64 exec, exec, s[14:15]
.LBB84_66:                              ;   in Loop: Header=BB84_2 Depth=1
	s_or_b64 exec, exec, s[12:13]
	v_sub_u32_e32 v48, v41, v45
	ds_read_u8 v43, v45
	ds_read_u8 v44, v48
	v_cmp_le_i32_e64 s[12:13], v34, v45
	v_cmp_gt_i32_e64 s[10:11], s16, v48
                                        ; implicit-def: $vgpr46
                                        ; implicit-def: $vgpr47
	s_waitcnt lgkmcnt(0)
	v_cmp_lt_u16_sdwa s[14:15], v44, v43 src0_sel:BYTE_0 src1_sel:BYTE_0
	s_or_b64 s[12:13], s[12:13], s[14:15]
	s_and_b64 s[10:11], s[10:11], s[12:13]
	s_xor_b64 s[12:13], s[10:11], -1
	s_and_saveexec_b64 s[14:15], s[12:13]
	s_xor_b64 s[12:13], exec, s[14:15]
	s_cbranch_execz .LBB84_68
; %bb.67:                               ;   in Loop: Header=BB84_2 Depth=1
	ds_read_u8 v47, v45 offset:1
	v_mov_b32_e32 v46, v44
.LBB84_68:                              ;   in Loop: Header=BB84_2 Depth=1
	s_andn2_saveexec_b64 s[12:13], s[12:13]
	s_cbranch_execz .LBB84_70
; %bb.69:                               ;   in Loop: Header=BB84_2 Depth=1
	ds_read_u8 v46, v48 offset:1
	s_waitcnt lgkmcnt(1)
	v_mov_b32_e32 v47, v43
.LBB84_70:                              ;   in Loop: Header=BB84_2 Depth=1
	s_or_b64 exec, exec, s[12:13]
	v_add_u32_e32 v49, 1, v48
	v_add_u32_e32 v50, 1, v45
	v_cndmask_b32_e64 v48, v48, v49, s[10:11]
	v_cndmask_b32_e64 v49, v50, v45, s[10:11]
	v_cmp_ge_i32_e64 s[14:15], v49, v34
	s_waitcnt lgkmcnt(0)
	v_cmp_lt_u16_sdwa s[26:27], v46, v47 src0_sel:BYTE_0 src1_sel:BYTE_0
	v_cmp_gt_i32_e64 s[12:13], s16, v48
	s_or_b64 s[14:15], s[14:15], s[26:27]
	s_and_b64 s[12:13], s[12:13], s[14:15]
	s_xor_b64 s[14:15], s[12:13], -1
                                        ; implicit-def: $vgpr45
                                        ; implicit-def: $vgpr50
	s_and_saveexec_b64 s[26:27], s[14:15]
	s_xor_b64 s[14:15], exec, s[26:27]
	s_cbranch_execz .LBB84_72
; %bb.71:                               ;   in Loop: Header=BB84_2 Depth=1
	ds_read_u8 v45, v49 offset:1
	v_add_u32_e32 v50, 1, v49
                                        ; implicit-def: $vgpr49
.LBB84_72:                              ;   in Loop: Header=BB84_2 Depth=1
	s_or_saveexec_b64 s[14:15], s[14:15]
	v_mov_b32_e32 v51, v46
	s_xor_b64 exec, exec, s[14:15]
	s_cbranch_execz .LBB84_1
; %bb.73:                               ;   in Loop: Header=BB84_2 Depth=1
	ds_read_u8 v51, v48 offset:1
	v_add_u32_e32 v48, 1, v48
	v_mov_b32_e32 v50, v49
	s_waitcnt lgkmcnt(1)
	v_mov_b32_e32 v45, v47
	s_branch .LBB84_1
.LBB84_74:
	s_add_u32 s0, s18, s20
	s_addc_u32 s1, s19, 0
	v_lshl_add_u64 v[0:1], s[0:1], 0, v[0:1]
	global_store_byte v[0:1], v44, off
	global_store_byte v[0:1], v46, off offset:64
	global_store_byte v[0:1], v45, off offset:128
	s_endpgm
	.section	.rodata,"a",@progbits
	.p2align	6, 0x0
	.amdhsa_kernel _Z16sort_keys_kernelIhLj64ELj3EN10test_utils4lessELj10EEvPKT_PS2_T2_
		.amdhsa_group_segment_fixed_size 193
		.amdhsa_private_segment_fixed_size 0
		.amdhsa_kernarg_size 20
		.amdhsa_user_sgpr_count 2
		.amdhsa_user_sgpr_dispatch_ptr 0
		.amdhsa_user_sgpr_queue_ptr 0
		.amdhsa_user_sgpr_kernarg_segment_ptr 1
		.amdhsa_user_sgpr_dispatch_id 0
		.amdhsa_user_sgpr_kernarg_preload_length 0
		.amdhsa_user_sgpr_kernarg_preload_offset 0
		.amdhsa_user_sgpr_private_segment_size 0
		.amdhsa_uses_dynamic_stack 0
		.amdhsa_enable_private_segment 0
		.amdhsa_system_sgpr_workgroup_id_x 1
		.amdhsa_system_sgpr_workgroup_id_y 0
		.amdhsa_system_sgpr_workgroup_id_z 0
		.amdhsa_system_sgpr_workgroup_info 0
		.amdhsa_system_vgpr_workitem_id 0
		.amdhsa_next_free_vgpr 52
		.amdhsa_next_free_sgpr 28
		.amdhsa_accum_offset 52
		.amdhsa_reserve_vcc 1
		.amdhsa_float_round_mode_32 0
		.amdhsa_float_round_mode_16_64 0
		.amdhsa_float_denorm_mode_32 3
		.amdhsa_float_denorm_mode_16_64 3
		.amdhsa_dx10_clamp 1
		.amdhsa_ieee_mode 1
		.amdhsa_fp16_overflow 0
		.amdhsa_tg_split 0
		.amdhsa_exception_fp_ieee_invalid_op 0
		.amdhsa_exception_fp_denorm_src 0
		.amdhsa_exception_fp_ieee_div_zero 0
		.amdhsa_exception_fp_ieee_overflow 0
		.amdhsa_exception_fp_ieee_underflow 0
		.amdhsa_exception_fp_ieee_inexact 0
		.amdhsa_exception_int_div_zero 0
	.end_amdhsa_kernel
	.section	.text._Z16sort_keys_kernelIhLj64ELj3EN10test_utils4lessELj10EEvPKT_PS2_T2_,"axG",@progbits,_Z16sort_keys_kernelIhLj64ELj3EN10test_utils4lessELj10EEvPKT_PS2_T2_,comdat
.Lfunc_end84:
	.size	_Z16sort_keys_kernelIhLj64ELj3EN10test_utils4lessELj10EEvPKT_PS2_T2_, .Lfunc_end84-_Z16sort_keys_kernelIhLj64ELj3EN10test_utils4lessELj10EEvPKT_PS2_T2_
                                        ; -- End function
	.section	.AMDGPU.csdata,"",@progbits
; Kernel info:
; codeLenInByte = 3836
; NumSgprs: 34
; NumVgprs: 52
; NumAgprs: 0
; TotalNumVgprs: 52
; ScratchSize: 0
; MemoryBound: 0
; FloatMode: 240
; IeeeMode: 1
; LDSByteSize: 193 bytes/workgroup (compile time only)
; SGPRBlocks: 4
; VGPRBlocks: 6
; NumSGPRsForWavesPerEU: 34
; NumVGPRsForWavesPerEU: 52
; AccumOffset: 52
; Occupancy: 8
; WaveLimiterHint : 0
; COMPUTE_PGM_RSRC2:SCRATCH_EN: 0
; COMPUTE_PGM_RSRC2:USER_SGPR: 2
; COMPUTE_PGM_RSRC2:TRAP_HANDLER: 0
; COMPUTE_PGM_RSRC2:TGID_X_EN: 1
; COMPUTE_PGM_RSRC2:TGID_Y_EN: 0
; COMPUTE_PGM_RSRC2:TGID_Z_EN: 0
; COMPUTE_PGM_RSRC2:TIDIG_COMP_CNT: 0
; COMPUTE_PGM_RSRC3_GFX90A:ACCUM_OFFSET: 12
; COMPUTE_PGM_RSRC3_GFX90A:TG_SPLIT: 0
	.section	.text._Z17sort_pairs_kernelIhLj64ELj3EN10test_utils4lessELj10EEvPKT_PS2_T2_,"axG",@progbits,_Z17sort_pairs_kernelIhLj64ELj3EN10test_utils4lessELj10EEvPKT_PS2_T2_,comdat
	.protected	_Z17sort_pairs_kernelIhLj64ELj3EN10test_utils4lessELj10EEvPKT_PS2_T2_ ; -- Begin function _Z17sort_pairs_kernelIhLj64ELj3EN10test_utils4lessELj10EEvPKT_PS2_T2_
	.globl	_Z17sort_pairs_kernelIhLj64ELj3EN10test_utils4lessELj10EEvPKT_PS2_T2_
	.p2align	8
	.type	_Z17sort_pairs_kernelIhLj64ELj3EN10test_utils4lessELj10EEvPKT_PS2_T2_,@function
_Z17sort_pairs_kernelIhLj64ELj3EN10test_utils4lessELj10EEvPKT_PS2_T2_: ; @_Z17sort_pairs_kernelIhLj64ELj3EN10test_utils4lessELj10EEvPKT_PS2_T2_
; %bb.0:
	s_load_dwordx4 s[20:23], s[0:1], 0x0
	s_mul_i32 s24, s2, 0xc0
	v_and_b32_e32 v3, 62, v0
	v_and_b32_e32 v5, 60, v0
	;; [unrolled: 1-line block ×3, first 2 shown]
	s_waitcnt lgkmcnt(0)
	s_add_u32 s0, s20, s24
	s_addc_u32 s1, s21, 0
	global_load_ubyte v29, v0, s[0:1] offset:64
	global_load_ubyte v30, v0, s[0:1] offset:128
	global_load_ubyte v31, v0, s[0:1]
	v_and_b32_e32 v7, 48, v0
	v_mul_u32_u24_e32 v8, 3, v3
	v_and_b32_e32 v4, 1, v0
	v_mul_u32_u24_e32 v9, 3, v5
	v_mul_u32_u24_e32 v10, 3, v6
	;; [unrolled: 1-line block ×3, first 2 shown]
	v_min_u32_e32 v12, 0xbd, v8
	v_min_u32_e32 v13, 0xba, v8
	v_cmp_eq_u32_e32 vcc, 1, v4
	v_min_u32_e32 v7, 0xc0, v8
	v_min_u32_e32 v8, 0xc0, v9
	;; [unrolled: 1-line block ×10, first 2 shown]
	v_add_u32_e32 v11, 3, v12
	v_add_u32_e32 v12, 6, v13
	v_and_b32_e32 v20, 3, v0
	v_cndmask_b32_e64 v3, 0, 3, vcc
	v_add_u32_e32 v13, 6, v14
	v_add_u32_e32 v14, 12, v15
	v_sub_u32_e32 v25, v12, v11
	v_mul_u32_u24_e32 v4, 3, v20
	v_sub_u32_e32 v26, v14, v13
	v_sub_u32_e32 v34, v3, v25
	v_cmp_ge_i32_e32 vcc, v3, v25
	v_sub_u32_e32 v35, v4, v26
	v_and_b32_e32 v32, 15, v0
	v_cndmask_b32_e32 v25, 0, v34, vcc
	v_cmp_ge_i32_e32 vcc, v4, v26
	v_add_u32_e32 v15, 12, v16
	v_add_u32_e32 v16, 24, v17
	v_cndmask_b32_e32 v26, 0, v35, vcc
	v_add_u32_e32 v17, 24, v18
	v_and_b32_e32 v21, 7, v0
	v_mul_u32_u24_e32 v6, 3, v32
	v_sub_u32_e32 v33, v17, v10
	v_mul_u32_u24_e32 v5, 3, v21
	v_add_u32_e32 v18, 48, v19
	v_sub_u32_e32 v27, v16, v15
	v_sub_u32_e32 v28, v18, v17
	v_sub_u32_e32 v36, v5, v27
	v_cmp_ge_i32_e32 vcc, v5, v27
	v_and_b32_e32 v38, 31, v0
	v_sub_u32_e32 v37, v6, v28
	v_cndmask_b32_e32 v27, 0, v36, vcc
	v_cmp_ge_i32_e32 vcc, v6, v28
	v_mul_u32_u24_e32 v2, 3, v0
	v_sub_u32_e32 v22, v11, v7
	v_sub_u32_e32 v23, v13, v8
	;; [unrolled: 1-line block ×3, first 2 shown]
	v_cndmask_b32_e32 v28, 0, v37, vcc
	v_min_i32_e32 v22, v3, v22
	v_min_i32_e32 v23, v4, v23
	;; [unrolled: 1-line block ×4, first 2 shown]
	s_movk_i32 s25, 0xc0
	s_mov_b32 s26, 0
	v_mov_b32_e32 v1, 0
	s_movk_i32 s27, 0xff
	v_add_u32_e32 v19, v11, v3
	v_mad_u32_u24 v20, v20, 3, v13
	v_mad_u32_u24 v21, v21, 3, v15
	v_cmp_lt_i32_e32 vcc, v25, v22
	v_cmp_lt_i32_e64 s[0:1], v26, v23
	v_cmp_lt_i32_e64 s[2:3], v27, v24
	s_mov_b32 s28, 0x7060405
	s_movk_i32 s29, 0xff00
	s_mov_b32 s30, 0xffff0000
	s_mov_b32 s31, 0xc0c0001
	v_mov_b32_e32 v42, 8
	s_waitcnt vmcnt(2)
	v_lshlrev_b16_e32 v29, 8, v29
	s_waitcnt vmcnt(1)
	v_lshlrev_b32_e32 v34, 16, v30
	s_waitcnt vmcnt(0)
	v_add_u16_e32 v35, 1, v31
	v_add_u16_e32 v30, 1, v30
	v_or_b32_e32 v31, v31, v29
	v_or_b32_sdwa v29, v29, v35 dst_sel:DWORD dst_unused:UNUSED_PAD src0_sel:DWORD src1_sel:BYTE_0
	v_and_b32_e32 v30, 0xff, v30
	v_or_b32_sdwa v44, v31, v34 dst_sel:DWORD dst_unused:UNUSED_PAD src0_sel:WORD_0 src1_sel:DWORD
	v_and_b32_e32 v31, 32, v0
	v_add_u16_e32 v29, 0x100, v29
	v_lshlrev_b32_e32 v30, 16, v30
	v_mul_u32_u24_e32 v35, 3, v31
	v_or_b32_e32 v43, v29, v30
	v_min_i32_e32 v29, v6, v33
	v_mad_u32_u24 v30, v32, 3, v17
	v_min_u32_e32 v32, 0xc0, v35
	v_min_u32_e32 v33, 0x90, v35
	;; [unrolled: 1-line block ×3, first 2 shown]
	v_add_u32_e32 v33, 48, v33
	v_add_u32_e32 v35, 0x60, v35
	v_mul_u32_u24_e32 v31, 3, v38
	v_sub_u32_e32 v36, v35, v33
	v_mov_b32_e32 v34, 0x60
	v_sub_u32_e32 v37, v33, v32
	v_sub_u32_e32 v39, v31, v36
	v_cmp_ge_i32_e64 s[6:7], v31, v36
	v_min_i32_e32 v37, v31, v37
	v_cmp_lt_i32_e64 s[4:5], v28, v29
	v_cndmask_b32_e64 v36, 0, v39, s[6:7]
	v_sub_u32_e64 v39, v2, v34 clamp
	v_cmp_lt_i32_e64 s[6:7], v36, v37
	v_mad_u32_u24 v38, v38, 3, v33
	v_cmp_lt_i32_e64 s[8:9], v39, v40
	v_mad_u32_u24 v41, v0, 3, v34
	s_branch .LBB85_2
.LBB85_1:                               ;   in Loop: Header=BB85_2 Depth=1
	s_or_b64 exec, exec, s[14:15]
	v_cndmask_b32_e64 v48, v48, v49, s[10:11]
	v_cndmask_b32_e64 v49, v51, v50, s[12:13]
	v_cmp_ge_i32_e64 s[12:13], v53, v34
	s_waitcnt lgkmcnt(0)
	v_cmp_lt_u16_sdwa s[14:15], v57, v54 src0_sel:BYTE_0 src1_sel:BYTE_0
	v_cndmask_b32_e64 v47, v46, v47, s[10:11]
	v_cmp_gt_i32_e64 s[10:11], s25, v52
	s_or_b64 s[12:13], s[12:13], s[14:15]
	s_and_b64 s[10:11], s[10:11], s[12:13]
	v_lshlrev_b16_e32 v50, 8, v49
	v_or_b32_sdwa v51, v48, v50 dst_sel:DWORD dst_unused:UNUSED_PAD src0_sel:BYTE_0 src1_sel:DWORD
	v_cndmask_b32_e64 v52, v53, v52, s[10:11]
	s_waitcnt lgkmcnt(0)
	; wave barrier
	ds_write_b8 v2, v44
	ds_write_b8 v2, v45 offset:1
	ds_write_b8 v2, v43 offset:2
	s_waitcnt lgkmcnt(0)
	; wave barrier
	s_waitcnt lgkmcnt(0)
	ds_read_u8 v45, v56
	ds_read_u8 v50, v47
	;; [unrolled: 1-line block ×3, first 2 shown]
	v_cndmask_b32_e64 v46, v54, v57, s[10:11]
	v_and_b32_e32 v54, 0xff, v46
	v_lshlrev_b32_e32 v43, 16, v54
	v_or_b32_sdwa v44, v51, v43 dst_sel:DWORD dst_unused:UNUSED_PAD src0_sel:WORD_0 src1_sel:DWORD
	s_waitcnt lgkmcnt(2)
	v_lshlrev_b16_e32 v43, 8, v45
	s_waitcnt lgkmcnt(1)
	v_or_b32_e32 v43, v50, v43
	s_waitcnt lgkmcnt(0)
	v_lshlrev_b32_e32 v51, 16, v47
	s_add_i32 s26, s26, 1
	s_cmp_eq_u32 s26, 10
	v_or_b32_sdwa v43, v43, v51 dst_sel:DWORD dst_unused:UNUSED_PAD src0_sel:WORD_0 src1_sel:DWORD
	s_cbranch_scc1 .LBB85_74
.LBB85_2:                               ; =>This Loop Header: Depth=1
                                        ;     Child Loop BB85_4 Depth 2
                                        ;     Child Loop BB85_16 Depth 2
                                        ;     Child Loop BB85_28 Depth 2
                                        ;     Child Loop BB85_40 Depth 2
                                        ;     Child Loop BB85_52 Depth 2
                                        ;     Child Loop BB85_64 Depth 2
	v_lshrrev_b32_e32 v46, 8, v44
	v_perm_b32 v45, v44, v44, s28
	v_cmp_lt_u16_sdwa s[10:11], v46, v44 src0_sel:BYTE_0 src1_sel:BYTE_0
	s_waitcnt lgkmcnt(0)
	; wave barrier
	s_nop 0
	v_cndmask_b32_e64 v45, v44, v45, s[10:11]
	v_and_b32_sdwa v47, v45, s29 dst_sel:DWORD dst_unused:UNUSED_PAD src0_sel:WORD_1 src1_sel:DWORD
	v_max_u16_sdwa v44, v46, v44 dst_sel:DWORD dst_unused:UNUSED_PAD src0_sel:BYTE_0 src1_sel:BYTE_0
	v_lshlrev_b16_sdwa v48, v42, v45 dst_sel:DWORD dst_unused:UNUSED_PAD src0_sel:DWORD src1_sel:WORD_1
	v_or_b32_sdwa v46, v44, v47 dst_sel:WORD_1 dst_unused:UNUSED_PAD src0_sel:DWORD src1_sel:DWORD
	v_and_b32_sdwa v47, v45, s27 dst_sel:DWORD dst_unused:UNUSED_PAD src0_sel:WORD_1 src1_sel:DWORD
	v_or_b32_sdwa v48, v45, v48 dst_sel:DWORD dst_unused:UNUSED_PAD src0_sel:BYTE_0 src1_sel:DWORD
	v_or_b32_sdwa v46, v48, v46 dst_sel:DWORD dst_unused:UNUSED_PAD src0_sel:WORD_0 src1_sel:DWORD
	v_cmp_lt_u16_e64 s[12:13], v47, v44
	v_min_u16_e32 v44, v47, v44
	s_nop 0
	v_cndmask_b32_e64 v45, v45, v46, s[12:13]
	v_lshlrev_b16_e32 v46, 8, v45
	v_or_b32_e32 v46, v44, v46
	v_and_b32_e32 v46, 0xffff, v46
	v_and_or_b32 v46, v45, s30, v46
	v_cmp_lt_u16_sdwa s[14:15], v44, v45 src0_sel:DWORD src1_sel:BYTE_0
	s_nop 1
	v_cndmask_b32_e64 v44, v45, v46, s[14:15]
	v_lshrrev_b32_e32 v45, 8, v44
	ds_write_b8 v2, v44
	ds_write_b8 v2, v45 offset:1
	ds_write_b8_d16_hi v2, v44 offset:2
	v_mov_b32_e32 v45, v25
	s_waitcnt lgkmcnt(0)
	; wave barrier
	s_waitcnt lgkmcnt(0)
	s_and_saveexec_b64 s[18:19], vcc
	s_cbranch_execz .LBB85_6
; %bb.3:                                ;   in Loop: Header=BB85_2 Depth=1
	s_mov_b64 s[20:21], 0
	v_mov_b32_e32 v45, v25
	v_mov_b32_e32 v44, v22
.LBB85_4:                               ;   Parent Loop BB85_2 Depth=1
                                        ; =>  This Inner Loop Header: Depth=2
	v_sub_u32_e32 v46, v44, v45
	v_lshrrev_b32_e32 v47, 31, v46
	v_add_u32_e32 v46, v46, v47
	v_ashrrev_i32_e32 v46, 1, v46
	v_add_u32_e32 v46, v46, v45
	v_not_b32_e32 v48, v46
	v_add_u32_e32 v47, v7, v46
	v_add3_u32 v48, v3, v48, v11
	ds_read_u8 v47, v47
	ds_read_u8 v48, v48
	v_add_u32_e32 v49, 1, v46
	s_waitcnt lgkmcnt(0)
	v_cmp_lt_u16_e64 s[16:17], v48, v47
	s_nop 1
	v_cndmask_b32_e64 v44, v44, v46, s[16:17]
	v_cndmask_b32_e64 v45, v49, v45, s[16:17]
	v_cmp_ge_i32_e64 s[16:17], v45, v44
	s_or_b64 s[20:21], s[16:17], s[20:21]
	s_andn2_b64 exec, exec, s[20:21]
	s_cbranch_execnz .LBB85_4
; %bb.5:                                ;   in Loop: Header=BB85_2 Depth=1
	s_or_b64 exec, exec, s[20:21]
.LBB85_6:                               ;   in Loop: Header=BB85_2 Depth=1
	s_or_b64 exec, exec, s[18:19]
	v_add_u32_e32 v44, v45, v7
	v_sub_u32_e32 v45, v19, v45
	ds_read_u8 v46, v44
	ds_read_u8 v47, v45
	v_cmp_le_i32_e64 s[18:19], v11, v44
	v_cmp_gt_i32_e64 s[16:17], v12, v45
                                        ; implicit-def: $vgpr48
                                        ; implicit-def: $vgpr49
	s_waitcnt lgkmcnt(0)
	v_cmp_lt_u16_sdwa s[20:21], v47, v46 src0_sel:BYTE_0 src1_sel:BYTE_0
	s_or_b64 s[18:19], s[18:19], s[20:21]
	s_and_b64 s[16:17], s[16:17], s[18:19]
	s_xor_b64 s[18:19], s[16:17], -1
	s_and_saveexec_b64 s[20:21], s[18:19]
	s_xor_b64 s[18:19], exec, s[20:21]
	s_cbranch_execz .LBB85_8
; %bb.7:                                ;   in Loop: Header=BB85_2 Depth=1
	ds_read_u8 v49, v44 offset:1
	v_mov_b32_e32 v48, v47
.LBB85_8:                               ;   in Loop: Header=BB85_2 Depth=1
	s_andn2_saveexec_b64 s[18:19], s[18:19]
	s_cbranch_execz .LBB85_10
; %bb.9:                                ;   in Loop: Header=BB85_2 Depth=1
	ds_read_u8 v48, v45 offset:1
	s_waitcnt lgkmcnt(1)
	v_mov_b32_e32 v49, v46
.LBB85_10:                              ;   in Loop: Header=BB85_2 Depth=1
	s_or_b64 exec, exec, s[18:19]
	v_add_u32_e32 v52, 1, v44
	v_add_u32_e32 v50, 1, v45
	v_cndmask_b32_e64 v52, v52, v44, s[16:17]
	v_cndmask_b32_e64 v51, v45, v50, s[16:17]
	v_cmp_ge_i32_e64 s[20:21], v52, v11
	s_waitcnt lgkmcnt(0)
	v_cmp_lt_u16_sdwa s[34:35], v48, v49 src0_sel:BYTE_0 src1_sel:BYTE_0
	v_cmp_lt_i32_e64 s[18:19], v51, v12
	s_or_b64 s[20:21], s[20:21], s[34:35]
	s_and_b64 s[18:19], s[18:19], s[20:21]
	s_xor_b64 s[20:21], s[18:19], -1
                                        ; implicit-def: $vgpr50
	s_and_saveexec_b64 s[34:35], s[20:21]
	s_xor_b64 s[20:21], exec, s[34:35]
	s_cbranch_execz .LBB85_12
; %bb.11:                               ;   in Loop: Header=BB85_2 Depth=1
	ds_read_u8 v50, v52 offset:1
.LBB85_12:                              ;   in Loop: Header=BB85_2 Depth=1
	s_or_saveexec_b64 s[20:21], s[20:21]
	v_mov_b32_e32 v53, v48
	s_xor_b64 exec, exec, s[20:21]
	s_cbranch_execz .LBB85_14
; %bb.13:                               ;   in Loop: Header=BB85_2 Depth=1
	ds_read_u8 v53, v51 offset:1
	s_waitcnt lgkmcnt(1)
	v_mov_b32_e32 v50, v49
.LBB85_14:                              ;   in Loop: Header=BB85_2 Depth=1
	s_or_b64 exec, exec, s[20:21]
	v_perm_b32 v54, v43, v43, s28
	v_cndmask_b32_e64 v43, v43, v54, s[10:11]
	v_cndmask_b32_e64 v44, v44, v45, s[16:17]
	v_lshrrev_b32_e32 v45, 16, v43
	v_cndmask_b32_e64 v46, v46, v47, s[16:17]
	v_lshlrev_b16_e32 v45, 8, v45
	v_lshrrev_b16_e32 v47, 8, v43
	v_or_b32_sdwa v45, v43, v45 dst_sel:DWORD dst_unused:UNUSED_PAD src0_sel:BYTE_0 src1_sel:DWORD
	v_lshlrev_b32_e32 v47, 16, v47
	v_or_b32_sdwa v45, v45, v47 dst_sel:DWORD dst_unused:UNUSED_PAD src0_sel:WORD_0 src1_sel:DWORD
	v_cndmask_b32_e64 v43, v43, v45, s[12:13]
	v_add_u32_e32 v55, 1, v52
	v_perm_b32 v45, 0, v43, s31
	v_cndmask_b32_e64 v48, v49, v48, s[18:19]
	v_add_u32_e32 v49, 1, v51
	v_cndmask_b32_e64 v55, v55, v52, s[18:19]
	v_and_or_b32 v45, v43, s30, v45
	v_cndmask_b32_e64 v49, v51, v49, s[18:19]
	v_cndmask_b32_e64 v43, v43, v45, s[14:15]
	v_cmp_ge_i32_e64 s[12:13], v55, v11
	s_waitcnt lgkmcnt(0)
	v_cmp_lt_u16_sdwa s[14:15], v53, v50 src0_sel:BYTE_0 src1_sel:BYTE_0
	v_cmp_lt_i32_e64 s[10:11], v49, v12
	s_or_b64 s[12:13], s[12:13], s[14:15]
	s_and_b64 s[10:11], s[10:11], s[12:13]
	v_cndmask_b32_e64 v45, v55, v49, s[10:11]
	v_lshrrev_b32_e32 v49, 8, v43
	v_cndmask_b32_e64 v51, v52, v51, s[18:19]
	s_waitcnt lgkmcnt(0)
	; wave barrier
	ds_write_b8 v2, v43
	ds_write_b8 v2, v49 offset:1
	ds_write_b8_d16_hi v2, v43 offset:2
	s_waitcnt lgkmcnt(0)
	; wave barrier
	s_waitcnt lgkmcnt(0)
	ds_read_u8 v43, v45
	ds_read_u8 v44, v44
	;; [unrolled: 1-line block ×3, first 2 shown]
	v_cndmask_b32_e64 v47, v50, v53, s[10:11]
	s_waitcnt lgkmcnt(0)
	; wave barrier
	s_waitcnt lgkmcnt(0)
	ds_write_b8 v2, v46
	ds_write_b8 v2, v48 offset:1
	ds_write_b8 v2, v47 offset:2
	v_mov_b32_e32 v47, v26
	s_waitcnt lgkmcnt(0)
	; wave barrier
	s_waitcnt lgkmcnt(0)
	s_and_saveexec_b64 s[12:13], s[0:1]
	s_cbranch_execz .LBB85_18
; %bb.15:                               ;   in Loop: Header=BB85_2 Depth=1
	s_mov_b64 s[14:15], 0
	v_mov_b32_e32 v47, v26
	v_mov_b32_e32 v46, v23
.LBB85_16:                              ;   Parent Loop BB85_2 Depth=1
                                        ; =>  This Inner Loop Header: Depth=2
	v_sub_u32_e32 v48, v46, v47
	v_lshrrev_b32_e32 v49, 31, v48
	v_add_u32_e32 v48, v48, v49
	v_ashrrev_i32_e32 v48, 1, v48
	v_add_u32_e32 v48, v48, v47
	v_not_b32_e32 v50, v48
	v_add_u32_e32 v49, v8, v48
	v_add3_u32 v50, v4, v50, v13
	ds_read_u8 v49, v49
	ds_read_u8 v50, v50
	v_add_u32_e32 v51, 1, v48
	s_waitcnt lgkmcnt(0)
	v_cmp_lt_u16_e64 s[10:11], v50, v49
	s_nop 1
	v_cndmask_b32_e64 v46, v46, v48, s[10:11]
	v_cndmask_b32_e64 v47, v51, v47, s[10:11]
	v_cmp_ge_i32_e64 s[10:11], v47, v46
	s_or_b64 s[14:15], s[10:11], s[14:15]
	s_andn2_b64 exec, exec, s[14:15]
	s_cbranch_execnz .LBB85_16
; %bb.17:                               ;   in Loop: Header=BB85_2 Depth=1
	s_or_b64 exec, exec, s[14:15]
.LBB85_18:                              ;   in Loop: Header=BB85_2 Depth=1
	s_or_b64 exec, exec, s[12:13]
	v_add_u32_e32 v46, v47, v8
	v_sub_u32_e32 v47, v20, v47
	ds_read_u8 v48, v46
	ds_read_u8 v49, v47
	v_cmp_le_i32_e64 s[12:13], v13, v46
	v_cmp_gt_i32_e64 s[10:11], v14, v47
                                        ; implicit-def: $vgpr50
                                        ; implicit-def: $vgpr51
	s_waitcnt lgkmcnt(0)
	v_cmp_lt_u16_sdwa s[14:15], v49, v48 src0_sel:BYTE_0 src1_sel:BYTE_0
	s_or_b64 s[12:13], s[12:13], s[14:15]
	s_and_b64 s[10:11], s[10:11], s[12:13]
	s_xor_b64 s[12:13], s[10:11], -1
	s_and_saveexec_b64 s[14:15], s[12:13]
	s_xor_b64 s[12:13], exec, s[14:15]
	s_cbranch_execz .LBB85_20
; %bb.19:                               ;   in Loop: Header=BB85_2 Depth=1
	ds_read_u8 v51, v46 offset:1
	v_mov_b32_e32 v50, v49
.LBB85_20:                              ;   in Loop: Header=BB85_2 Depth=1
	s_andn2_saveexec_b64 s[12:13], s[12:13]
	s_cbranch_execz .LBB85_22
; %bb.21:                               ;   in Loop: Header=BB85_2 Depth=1
	ds_read_u8 v50, v47 offset:1
	s_waitcnt lgkmcnt(1)
	v_mov_b32_e32 v51, v48
.LBB85_22:                              ;   in Loop: Header=BB85_2 Depth=1
	s_or_b64 exec, exec, s[12:13]
	v_add_u32_e32 v53, 1, v46
	v_add_u32_e32 v52, 1, v47
	v_cndmask_b32_e64 v53, v53, v46, s[10:11]
	v_cndmask_b32_e64 v52, v47, v52, s[10:11]
	v_cmp_ge_i32_e64 s[14:15], v53, v13
	s_waitcnt lgkmcnt(0)
	v_cmp_lt_u16_sdwa s[16:17], v50, v51 src0_sel:BYTE_0 src1_sel:BYTE_0
	v_cmp_lt_i32_e64 s[12:13], v52, v14
	s_or_b64 s[14:15], s[14:15], s[16:17]
	s_and_b64 s[12:13], s[12:13], s[14:15]
	s_xor_b64 s[14:15], s[12:13], -1
                                        ; implicit-def: $vgpr54
	s_and_saveexec_b64 s[16:17], s[14:15]
	s_xor_b64 s[14:15], exec, s[16:17]
	s_cbranch_execz .LBB85_24
; %bb.23:                               ;   in Loop: Header=BB85_2 Depth=1
	ds_read_u8 v54, v53 offset:1
.LBB85_24:                              ;   in Loop: Header=BB85_2 Depth=1
	s_or_saveexec_b64 s[14:15], s[14:15]
	v_mov_b32_e32 v55, v50
	s_xor_b64 exec, exec, s[14:15]
	s_cbranch_execz .LBB85_26
; %bb.25:                               ;   in Loop: Header=BB85_2 Depth=1
	ds_read_u8 v55, v52 offset:1
	s_waitcnt lgkmcnt(1)
	v_mov_b32_e32 v54, v51
.LBB85_26:                              ;   in Loop: Header=BB85_2 Depth=1
	s_or_b64 exec, exec, s[14:15]
	v_add_u32_e32 v56, 1, v53
	v_cndmask_b32_e64 v50, v51, v50, s[12:13]
	v_add_u32_e32 v51, 1, v52
	v_cndmask_b32_e64 v56, v56, v53, s[12:13]
	v_cndmask_b32_e64 v51, v52, v51, s[12:13]
	;; [unrolled: 1-line block ×3, first 2 shown]
	v_cmp_ge_i32_e64 s[12:13], v56, v13
	s_waitcnt lgkmcnt(0)
	v_cmp_lt_u16_sdwa s[14:15], v55, v54 src0_sel:BYTE_0 src1_sel:BYTE_0
	v_cndmask_b32_e64 v48, v48, v49, s[10:11]
	v_cndmask_b32_e64 v46, v46, v47, s[10:11]
	v_cmp_lt_i32_e64 s[10:11], v51, v14
	s_or_b64 s[12:13], s[12:13], s[14:15]
	s_and_b64 s[10:11], s[10:11], s[12:13]
	v_cndmask_b32_e64 v49, v56, v51, s[10:11]
	s_waitcnt lgkmcnt(0)
	; wave barrier
	ds_write_b8 v2, v44
	ds_write_b8 v2, v45 offset:1
	ds_write_b8 v2, v43 offset:2
	s_waitcnt lgkmcnt(0)
	; wave barrier
	s_waitcnt lgkmcnt(0)
	ds_read_u8 v43, v49
	ds_read_u8 v44, v46
	;; [unrolled: 1-line block ×3, first 2 shown]
	v_cndmask_b32_e64 v47, v54, v55, s[10:11]
	s_waitcnt lgkmcnt(0)
	; wave barrier
	s_waitcnt lgkmcnt(0)
	ds_write_b8 v2, v48
	ds_write_b8 v2, v50 offset:1
	ds_write_b8 v2, v47 offset:2
	v_mov_b32_e32 v47, v27
	s_waitcnt lgkmcnt(0)
	; wave barrier
	s_waitcnt lgkmcnt(0)
	s_and_saveexec_b64 s[12:13], s[2:3]
	s_cbranch_execz .LBB85_30
; %bb.27:                               ;   in Loop: Header=BB85_2 Depth=1
	s_mov_b64 s[14:15], 0
	v_mov_b32_e32 v47, v27
	v_mov_b32_e32 v46, v24
.LBB85_28:                              ;   Parent Loop BB85_2 Depth=1
                                        ; =>  This Inner Loop Header: Depth=2
	v_sub_u32_e32 v48, v46, v47
	v_lshrrev_b32_e32 v49, 31, v48
	v_add_u32_e32 v48, v48, v49
	v_ashrrev_i32_e32 v48, 1, v48
	v_add_u32_e32 v48, v48, v47
	v_not_b32_e32 v50, v48
	v_add_u32_e32 v49, v9, v48
	v_add3_u32 v50, v5, v50, v15
	ds_read_u8 v49, v49
	ds_read_u8 v50, v50
	v_add_u32_e32 v51, 1, v48
	s_waitcnt lgkmcnt(0)
	v_cmp_lt_u16_e64 s[10:11], v50, v49
	s_nop 1
	v_cndmask_b32_e64 v46, v46, v48, s[10:11]
	v_cndmask_b32_e64 v47, v51, v47, s[10:11]
	v_cmp_ge_i32_e64 s[10:11], v47, v46
	s_or_b64 s[14:15], s[10:11], s[14:15]
	s_andn2_b64 exec, exec, s[14:15]
	s_cbranch_execnz .LBB85_28
; %bb.29:                               ;   in Loop: Header=BB85_2 Depth=1
	s_or_b64 exec, exec, s[14:15]
.LBB85_30:                              ;   in Loop: Header=BB85_2 Depth=1
	s_or_b64 exec, exec, s[12:13]
	v_add_u32_e32 v46, v47, v9
	v_sub_u32_e32 v47, v21, v47
	ds_read_u8 v48, v46
	ds_read_u8 v49, v47
	v_cmp_le_i32_e64 s[12:13], v15, v46
	v_cmp_gt_i32_e64 s[10:11], v16, v47
                                        ; implicit-def: $vgpr50
                                        ; implicit-def: $vgpr51
	s_waitcnt lgkmcnt(0)
	v_cmp_lt_u16_sdwa s[14:15], v49, v48 src0_sel:BYTE_0 src1_sel:BYTE_0
	s_or_b64 s[12:13], s[12:13], s[14:15]
	s_and_b64 s[10:11], s[10:11], s[12:13]
	s_xor_b64 s[12:13], s[10:11], -1
	s_and_saveexec_b64 s[14:15], s[12:13]
	s_xor_b64 s[12:13], exec, s[14:15]
	s_cbranch_execz .LBB85_32
; %bb.31:                               ;   in Loop: Header=BB85_2 Depth=1
	ds_read_u8 v51, v46 offset:1
	v_mov_b32_e32 v50, v49
.LBB85_32:                              ;   in Loop: Header=BB85_2 Depth=1
	s_andn2_saveexec_b64 s[12:13], s[12:13]
	s_cbranch_execz .LBB85_34
; %bb.33:                               ;   in Loop: Header=BB85_2 Depth=1
	ds_read_u8 v50, v47 offset:1
	s_waitcnt lgkmcnt(1)
	v_mov_b32_e32 v51, v48
.LBB85_34:                              ;   in Loop: Header=BB85_2 Depth=1
	s_or_b64 exec, exec, s[12:13]
	v_add_u32_e32 v53, 1, v46
	v_add_u32_e32 v52, 1, v47
	v_cndmask_b32_e64 v53, v53, v46, s[10:11]
	v_cndmask_b32_e64 v52, v47, v52, s[10:11]
	v_cmp_ge_i32_e64 s[14:15], v53, v15
	s_waitcnt lgkmcnt(0)
	v_cmp_lt_u16_sdwa s[16:17], v50, v51 src0_sel:BYTE_0 src1_sel:BYTE_0
	v_cmp_lt_i32_e64 s[12:13], v52, v16
	s_or_b64 s[14:15], s[14:15], s[16:17]
	s_and_b64 s[12:13], s[12:13], s[14:15]
	s_xor_b64 s[14:15], s[12:13], -1
                                        ; implicit-def: $vgpr54
	s_and_saveexec_b64 s[16:17], s[14:15]
	s_xor_b64 s[14:15], exec, s[16:17]
	s_cbranch_execz .LBB85_36
; %bb.35:                               ;   in Loop: Header=BB85_2 Depth=1
	ds_read_u8 v54, v53 offset:1
.LBB85_36:                              ;   in Loop: Header=BB85_2 Depth=1
	s_or_saveexec_b64 s[14:15], s[14:15]
	v_mov_b32_e32 v55, v50
	s_xor_b64 exec, exec, s[14:15]
	s_cbranch_execz .LBB85_38
; %bb.37:                               ;   in Loop: Header=BB85_2 Depth=1
	ds_read_u8 v55, v52 offset:1
	s_waitcnt lgkmcnt(1)
	v_mov_b32_e32 v54, v51
.LBB85_38:                              ;   in Loop: Header=BB85_2 Depth=1
	s_or_b64 exec, exec, s[14:15]
	v_add_u32_e32 v56, 1, v53
	v_cndmask_b32_e64 v50, v51, v50, s[12:13]
	v_add_u32_e32 v51, 1, v52
	v_cndmask_b32_e64 v56, v56, v53, s[12:13]
	v_cndmask_b32_e64 v51, v52, v51, s[12:13]
	v_cndmask_b32_e64 v52, v53, v52, s[12:13]
	v_cmp_ge_i32_e64 s[12:13], v56, v15
	s_waitcnt lgkmcnt(0)
	v_cmp_lt_u16_sdwa s[14:15], v55, v54 src0_sel:BYTE_0 src1_sel:BYTE_0
	v_cndmask_b32_e64 v48, v48, v49, s[10:11]
	v_cndmask_b32_e64 v46, v46, v47, s[10:11]
	v_cmp_lt_i32_e64 s[10:11], v51, v16
	s_or_b64 s[12:13], s[12:13], s[14:15]
	s_and_b64 s[10:11], s[10:11], s[12:13]
	v_cndmask_b32_e64 v49, v56, v51, s[10:11]
	s_waitcnt lgkmcnt(0)
	; wave barrier
	ds_write_b8 v2, v44
	ds_write_b8 v2, v45 offset:1
	ds_write_b8 v2, v43 offset:2
	s_waitcnt lgkmcnt(0)
	; wave barrier
	s_waitcnt lgkmcnt(0)
	ds_read_u8 v43, v49
	ds_read_u8 v44, v46
	;; [unrolled: 1-line block ×3, first 2 shown]
	v_cndmask_b32_e64 v47, v54, v55, s[10:11]
	s_waitcnt lgkmcnt(0)
	; wave barrier
	s_waitcnt lgkmcnt(0)
	ds_write_b8 v2, v48
	ds_write_b8 v2, v50 offset:1
	ds_write_b8 v2, v47 offset:2
	v_mov_b32_e32 v47, v28
	s_waitcnt lgkmcnt(0)
	; wave barrier
	s_waitcnt lgkmcnt(0)
	s_and_saveexec_b64 s[12:13], s[4:5]
	s_cbranch_execz .LBB85_42
; %bb.39:                               ;   in Loop: Header=BB85_2 Depth=1
	s_mov_b64 s[14:15], 0
	v_mov_b32_e32 v47, v28
	v_mov_b32_e32 v46, v29
.LBB85_40:                              ;   Parent Loop BB85_2 Depth=1
                                        ; =>  This Inner Loop Header: Depth=2
	v_sub_u32_e32 v48, v46, v47
	v_lshrrev_b32_e32 v49, 31, v48
	v_add_u32_e32 v48, v48, v49
	v_ashrrev_i32_e32 v48, 1, v48
	v_add_u32_e32 v48, v48, v47
	v_not_b32_e32 v50, v48
	v_add_u32_e32 v49, v10, v48
	v_add3_u32 v50, v6, v50, v17
	ds_read_u8 v49, v49
	ds_read_u8 v50, v50
	v_add_u32_e32 v51, 1, v48
	s_waitcnt lgkmcnt(0)
	v_cmp_lt_u16_e64 s[10:11], v50, v49
	s_nop 1
	v_cndmask_b32_e64 v46, v46, v48, s[10:11]
	v_cndmask_b32_e64 v47, v51, v47, s[10:11]
	v_cmp_ge_i32_e64 s[10:11], v47, v46
	s_or_b64 s[14:15], s[10:11], s[14:15]
	s_andn2_b64 exec, exec, s[14:15]
	s_cbranch_execnz .LBB85_40
; %bb.41:                               ;   in Loop: Header=BB85_2 Depth=1
	s_or_b64 exec, exec, s[14:15]
.LBB85_42:                              ;   in Loop: Header=BB85_2 Depth=1
	s_or_b64 exec, exec, s[12:13]
	v_add_u32_e32 v46, v47, v10
	v_sub_u32_e32 v47, v30, v47
	ds_read_u8 v48, v46
	ds_read_u8 v49, v47
	v_cmp_le_i32_e64 s[12:13], v17, v46
	v_cmp_gt_i32_e64 s[10:11], v18, v47
                                        ; implicit-def: $vgpr50
                                        ; implicit-def: $vgpr51
	s_waitcnt lgkmcnt(0)
	v_cmp_lt_u16_sdwa s[14:15], v49, v48 src0_sel:BYTE_0 src1_sel:BYTE_0
	s_or_b64 s[12:13], s[12:13], s[14:15]
	s_and_b64 s[10:11], s[10:11], s[12:13]
	s_xor_b64 s[12:13], s[10:11], -1
	s_and_saveexec_b64 s[14:15], s[12:13]
	s_xor_b64 s[12:13], exec, s[14:15]
	s_cbranch_execz .LBB85_44
; %bb.43:                               ;   in Loop: Header=BB85_2 Depth=1
	ds_read_u8 v51, v46 offset:1
	v_mov_b32_e32 v50, v49
.LBB85_44:                              ;   in Loop: Header=BB85_2 Depth=1
	s_andn2_saveexec_b64 s[12:13], s[12:13]
	s_cbranch_execz .LBB85_46
; %bb.45:                               ;   in Loop: Header=BB85_2 Depth=1
	ds_read_u8 v50, v47 offset:1
	s_waitcnt lgkmcnt(1)
	v_mov_b32_e32 v51, v48
.LBB85_46:                              ;   in Loop: Header=BB85_2 Depth=1
	s_or_b64 exec, exec, s[12:13]
	v_add_u32_e32 v53, 1, v46
	v_add_u32_e32 v52, 1, v47
	v_cndmask_b32_e64 v53, v53, v46, s[10:11]
	v_cndmask_b32_e64 v52, v47, v52, s[10:11]
	v_cmp_ge_i32_e64 s[14:15], v53, v17
	s_waitcnt lgkmcnt(0)
	v_cmp_lt_u16_sdwa s[16:17], v50, v51 src0_sel:BYTE_0 src1_sel:BYTE_0
	v_cmp_lt_i32_e64 s[12:13], v52, v18
	s_or_b64 s[14:15], s[14:15], s[16:17]
	s_and_b64 s[12:13], s[12:13], s[14:15]
	s_xor_b64 s[14:15], s[12:13], -1
                                        ; implicit-def: $vgpr54
	s_and_saveexec_b64 s[16:17], s[14:15]
	s_xor_b64 s[14:15], exec, s[16:17]
	s_cbranch_execz .LBB85_48
; %bb.47:                               ;   in Loop: Header=BB85_2 Depth=1
	ds_read_u8 v54, v53 offset:1
.LBB85_48:                              ;   in Loop: Header=BB85_2 Depth=1
	s_or_saveexec_b64 s[14:15], s[14:15]
	v_mov_b32_e32 v55, v50
	s_xor_b64 exec, exec, s[14:15]
	s_cbranch_execz .LBB85_50
; %bb.49:                               ;   in Loop: Header=BB85_2 Depth=1
	ds_read_u8 v55, v52 offset:1
	s_waitcnt lgkmcnt(1)
	v_mov_b32_e32 v54, v51
.LBB85_50:                              ;   in Loop: Header=BB85_2 Depth=1
	s_or_b64 exec, exec, s[14:15]
	v_add_u32_e32 v56, 1, v53
	v_cndmask_b32_e64 v50, v51, v50, s[12:13]
	v_add_u32_e32 v51, 1, v52
	v_cndmask_b32_e64 v56, v56, v53, s[12:13]
	v_cndmask_b32_e64 v51, v52, v51, s[12:13]
	;; [unrolled: 1-line block ×3, first 2 shown]
	v_cmp_ge_i32_e64 s[12:13], v56, v17
	s_waitcnt lgkmcnt(0)
	v_cmp_lt_u16_sdwa s[14:15], v55, v54 src0_sel:BYTE_0 src1_sel:BYTE_0
	v_cndmask_b32_e64 v48, v48, v49, s[10:11]
	v_cndmask_b32_e64 v46, v46, v47, s[10:11]
	v_cmp_lt_i32_e64 s[10:11], v51, v18
	s_or_b64 s[12:13], s[12:13], s[14:15]
	s_and_b64 s[10:11], s[10:11], s[12:13]
	v_cndmask_b32_e64 v49, v56, v51, s[10:11]
	s_waitcnt lgkmcnt(0)
	; wave barrier
	ds_write_b8 v2, v44
	ds_write_b8 v2, v45 offset:1
	ds_write_b8 v2, v43 offset:2
	s_waitcnt lgkmcnt(0)
	; wave barrier
	s_waitcnt lgkmcnt(0)
	ds_read_u8 v43, v49
	ds_read_u8 v44, v46
	ds_read_u8 v45, v52
	v_cndmask_b32_e64 v47, v54, v55, s[10:11]
	s_waitcnt lgkmcnt(0)
	; wave barrier
	s_waitcnt lgkmcnt(0)
	ds_write_b8 v2, v48
	ds_write_b8 v2, v50 offset:1
	ds_write_b8 v2, v47 offset:2
	v_mov_b32_e32 v47, v36
	s_waitcnt lgkmcnt(0)
	; wave barrier
	s_waitcnt lgkmcnt(0)
	s_and_saveexec_b64 s[12:13], s[6:7]
	s_cbranch_execz .LBB85_54
; %bb.51:                               ;   in Loop: Header=BB85_2 Depth=1
	s_mov_b64 s[14:15], 0
	v_mov_b32_e32 v47, v36
	v_mov_b32_e32 v46, v37
.LBB85_52:                              ;   Parent Loop BB85_2 Depth=1
                                        ; =>  This Inner Loop Header: Depth=2
	v_sub_u32_e32 v48, v46, v47
	v_lshrrev_b32_e32 v49, 31, v48
	v_add_u32_e32 v48, v48, v49
	v_ashrrev_i32_e32 v48, 1, v48
	v_add_u32_e32 v48, v48, v47
	v_not_b32_e32 v50, v48
	v_add_u32_e32 v49, v32, v48
	v_add3_u32 v50, v31, v50, v33
	ds_read_u8 v49, v49
	ds_read_u8 v50, v50
	v_add_u32_e32 v51, 1, v48
	s_waitcnt lgkmcnt(0)
	v_cmp_lt_u16_e64 s[10:11], v50, v49
	s_nop 1
	v_cndmask_b32_e64 v46, v46, v48, s[10:11]
	v_cndmask_b32_e64 v47, v51, v47, s[10:11]
	v_cmp_ge_i32_e64 s[10:11], v47, v46
	s_or_b64 s[14:15], s[10:11], s[14:15]
	s_andn2_b64 exec, exec, s[14:15]
	s_cbranch_execnz .LBB85_52
; %bb.53:                               ;   in Loop: Header=BB85_2 Depth=1
	s_or_b64 exec, exec, s[14:15]
.LBB85_54:                              ;   in Loop: Header=BB85_2 Depth=1
	s_or_b64 exec, exec, s[12:13]
	v_add_u32_e32 v46, v47, v32
	v_sub_u32_e32 v47, v38, v47
	ds_read_u8 v48, v46
	ds_read_u8 v49, v47
	v_cmp_le_i32_e64 s[12:13], v33, v46
	v_cmp_gt_i32_e64 s[10:11], v35, v47
                                        ; implicit-def: $vgpr50
                                        ; implicit-def: $vgpr51
	s_waitcnt lgkmcnt(0)
	v_cmp_lt_u16_sdwa s[14:15], v49, v48 src0_sel:BYTE_0 src1_sel:BYTE_0
	s_or_b64 s[12:13], s[12:13], s[14:15]
	s_and_b64 s[10:11], s[10:11], s[12:13]
	s_xor_b64 s[12:13], s[10:11], -1
	s_and_saveexec_b64 s[14:15], s[12:13]
	s_xor_b64 s[12:13], exec, s[14:15]
	s_cbranch_execz .LBB85_56
; %bb.55:                               ;   in Loop: Header=BB85_2 Depth=1
	ds_read_u8 v51, v46 offset:1
	v_mov_b32_e32 v50, v49
.LBB85_56:                              ;   in Loop: Header=BB85_2 Depth=1
	s_andn2_saveexec_b64 s[12:13], s[12:13]
	s_cbranch_execz .LBB85_58
; %bb.57:                               ;   in Loop: Header=BB85_2 Depth=1
	ds_read_u8 v50, v47 offset:1
	s_waitcnt lgkmcnt(1)
	v_mov_b32_e32 v51, v48
.LBB85_58:                              ;   in Loop: Header=BB85_2 Depth=1
	s_or_b64 exec, exec, s[12:13]
	v_add_u32_e32 v53, 1, v46
	v_add_u32_e32 v52, 1, v47
	v_cndmask_b32_e64 v53, v53, v46, s[10:11]
	v_cndmask_b32_e64 v52, v47, v52, s[10:11]
	v_cmp_ge_i32_e64 s[14:15], v53, v33
	s_waitcnt lgkmcnt(0)
	v_cmp_lt_u16_sdwa s[16:17], v50, v51 src0_sel:BYTE_0 src1_sel:BYTE_0
	v_cmp_lt_i32_e64 s[12:13], v52, v35
	s_or_b64 s[14:15], s[14:15], s[16:17]
	s_and_b64 s[12:13], s[12:13], s[14:15]
	s_xor_b64 s[14:15], s[12:13], -1
                                        ; implicit-def: $vgpr54
	s_and_saveexec_b64 s[16:17], s[14:15]
	s_xor_b64 s[14:15], exec, s[16:17]
	s_cbranch_execz .LBB85_60
; %bb.59:                               ;   in Loop: Header=BB85_2 Depth=1
	ds_read_u8 v54, v53 offset:1
.LBB85_60:                              ;   in Loop: Header=BB85_2 Depth=1
	s_or_saveexec_b64 s[14:15], s[14:15]
	v_mov_b32_e32 v55, v50
	s_xor_b64 exec, exec, s[14:15]
	s_cbranch_execz .LBB85_62
; %bb.61:                               ;   in Loop: Header=BB85_2 Depth=1
	ds_read_u8 v55, v52 offset:1
	s_waitcnt lgkmcnt(1)
	v_mov_b32_e32 v54, v51
.LBB85_62:                              ;   in Loop: Header=BB85_2 Depth=1
	s_or_b64 exec, exec, s[14:15]
	v_add_u32_e32 v56, 1, v53
	v_cndmask_b32_e64 v50, v51, v50, s[12:13]
	v_add_u32_e32 v51, 1, v52
	v_cndmask_b32_e64 v56, v56, v53, s[12:13]
	v_cndmask_b32_e64 v51, v52, v51, s[12:13]
	;; [unrolled: 1-line block ×3, first 2 shown]
	v_cmp_ge_i32_e64 s[12:13], v56, v33
	s_waitcnt lgkmcnt(0)
	v_cmp_lt_u16_sdwa s[14:15], v55, v54 src0_sel:BYTE_0 src1_sel:BYTE_0
	v_cndmask_b32_e64 v48, v48, v49, s[10:11]
	v_cndmask_b32_e64 v46, v46, v47, s[10:11]
	v_cmp_lt_i32_e64 s[10:11], v51, v35
	s_or_b64 s[12:13], s[12:13], s[14:15]
	s_and_b64 s[10:11], s[10:11], s[12:13]
	v_cndmask_b32_e64 v49, v56, v51, s[10:11]
	s_waitcnt lgkmcnt(0)
	; wave barrier
	ds_write_b8 v2, v44
	ds_write_b8 v2, v45 offset:1
	ds_write_b8 v2, v43 offset:2
	s_waitcnt lgkmcnt(0)
	; wave barrier
	s_waitcnt lgkmcnt(0)
	ds_read_u8 v43, v49
	ds_read_u8 v44, v46
	;; [unrolled: 1-line block ×3, first 2 shown]
	v_mov_b32_e32 v46, v39
	v_cndmask_b32_e64 v47, v54, v55, s[10:11]
	s_waitcnt lgkmcnt(0)
	; wave barrier
	s_waitcnt lgkmcnt(0)
	ds_write_b8 v2, v48
	ds_write_b8 v2, v50 offset:1
	ds_write_b8 v2, v47 offset:2
	s_waitcnt lgkmcnt(0)
	; wave barrier
	s_waitcnt lgkmcnt(0)
	s_and_saveexec_b64 s[12:13], s[8:9]
	s_cbranch_execz .LBB85_66
; %bb.63:                               ;   in Loop: Header=BB85_2 Depth=1
	s_mov_b64 s[14:15], 0
	v_mov_b32_e32 v46, v39
	v_mov_b32_e32 v47, v40
.LBB85_64:                              ;   Parent Loop BB85_2 Depth=1
                                        ; =>  This Inner Loop Header: Depth=2
	v_sub_u32_e32 v48, v47, v46
	v_lshrrev_b32_e32 v49, 31, v48
	v_add_u32_e32 v48, v48, v49
	v_ashrrev_i32_e32 v48, 1, v48
	v_add_u32_e32 v48, v48, v46
	v_not_b32_e32 v49, v48
	v_add3_u32 v49, v2, v49, v34
	ds_read_u8 v50, v48
	ds_read_u8 v49, v49
	v_add_u32_e32 v51, 1, v48
	s_waitcnt lgkmcnt(0)
	v_cmp_lt_u16_e64 s[10:11], v49, v50
	s_nop 1
	v_cndmask_b32_e64 v47, v47, v48, s[10:11]
	v_cndmask_b32_e64 v46, v51, v46, s[10:11]
	v_cmp_ge_i32_e64 s[10:11], v46, v47
	s_or_b64 s[14:15], s[10:11], s[14:15]
	s_andn2_b64 exec, exec, s[14:15]
	s_cbranch_execnz .LBB85_64
; %bb.65:                               ;   in Loop: Header=BB85_2 Depth=1
	s_or_b64 exec, exec, s[14:15]
.LBB85_66:                              ;   in Loop: Header=BB85_2 Depth=1
	s_or_b64 exec, exec, s[12:13]
	v_sub_u32_e32 v47, v41, v46
	ds_read_u8 v48, v46
	ds_read_u8 v49, v47
	v_cmp_le_i32_e64 s[12:13], v34, v46
	v_cmp_gt_i32_e64 s[10:11], s25, v47
                                        ; implicit-def: $vgpr50
                                        ; implicit-def: $vgpr51
	s_waitcnt lgkmcnt(0)
	v_cmp_lt_u16_sdwa s[14:15], v49, v48 src0_sel:BYTE_0 src1_sel:BYTE_0
	s_or_b64 s[12:13], s[12:13], s[14:15]
	s_and_b64 s[10:11], s[10:11], s[12:13]
	s_xor_b64 s[12:13], s[10:11], -1
	s_and_saveexec_b64 s[14:15], s[12:13]
	s_xor_b64 s[12:13], exec, s[14:15]
	s_cbranch_execz .LBB85_68
; %bb.67:                               ;   in Loop: Header=BB85_2 Depth=1
	ds_read_u8 v51, v46 offset:1
	v_mov_b32_e32 v50, v49
.LBB85_68:                              ;   in Loop: Header=BB85_2 Depth=1
	s_andn2_saveexec_b64 s[12:13], s[12:13]
	s_cbranch_execz .LBB85_70
; %bb.69:                               ;   in Loop: Header=BB85_2 Depth=1
	ds_read_u8 v50, v47 offset:1
	s_waitcnt lgkmcnt(1)
	v_mov_b32_e32 v51, v48
.LBB85_70:                              ;   in Loop: Header=BB85_2 Depth=1
	s_or_b64 exec, exec, s[12:13]
	v_add_u32_e32 v53, 1, v46
	v_add_u32_e32 v52, 1, v47
	v_cndmask_b32_e64 v55, v53, v46, s[10:11]
	v_cndmask_b32_e64 v52, v47, v52, s[10:11]
	v_cmp_ge_i32_e64 s[14:15], v55, v34
	s_waitcnt lgkmcnt(0)
	v_cmp_lt_u16_sdwa s[16:17], v50, v51 src0_sel:BYTE_0 src1_sel:BYTE_0
	v_cmp_gt_i32_e64 s[12:13], s25, v52
	s_or_b64 s[14:15], s[14:15], s[16:17]
	s_and_b64 s[12:13], s[12:13], s[14:15]
	s_xor_b64 s[14:15], s[12:13], -1
                                        ; implicit-def: $vgpr54
                                        ; implicit-def: $vgpr53
	s_and_saveexec_b64 s[16:17], s[14:15]
	s_xor_b64 s[14:15], exec, s[16:17]
	s_cbranch_execz .LBB85_72
; %bb.71:                               ;   in Loop: Header=BB85_2 Depth=1
	ds_read_u8 v54, v55 offset:1
	v_add_u32_e32 v53, 1, v55
.LBB85_72:                              ;   in Loop: Header=BB85_2 Depth=1
	s_or_saveexec_b64 s[14:15], s[14:15]
	v_mov_b32_e32 v56, v55
	v_mov_b32_e32 v57, v50
	s_xor_b64 exec, exec, s[14:15]
	s_cbranch_execz .LBB85_1
; %bb.73:                               ;   in Loop: Header=BB85_2 Depth=1
	ds_read_u8 v57, v52 offset:1
	s_waitcnt lgkmcnt(1)
	v_add_u32_e32 v54, 1, v52
	v_mov_b32_e32 v56, v52
	v_mov_b32_e32 v53, v55
	;; [unrolled: 1-line block ×4, first 2 shown]
	s_branch .LBB85_1
.LBB85_74:
	s_add_u32 s0, s22, s24
	s_addc_u32 s1, s23, 0
	v_add_u16_e32 v2, v48, v50
	v_lshl_add_u64 v[0:1], s[0:1], 0, v[0:1]
	v_add_u16_e32 v3, v49, v45
	v_add_u16_e32 v4, v46, v47
	global_store_byte v[0:1], v2, off
	global_store_byte v[0:1], v3, off offset:64
	global_store_byte v[0:1], v4, off offset:128
	s_endpgm
	.section	.rodata,"a",@progbits
	.p2align	6, 0x0
	.amdhsa_kernel _Z17sort_pairs_kernelIhLj64ELj3EN10test_utils4lessELj10EEvPKT_PS2_T2_
		.amdhsa_group_segment_fixed_size 193
		.amdhsa_private_segment_fixed_size 0
		.amdhsa_kernarg_size 20
		.amdhsa_user_sgpr_count 2
		.amdhsa_user_sgpr_dispatch_ptr 0
		.amdhsa_user_sgpr_queue_ptr 0
		.amdhsa_user_sgpr_kernarg_segment_ptr 1
		.amdhsa_user_sgpr_dispatch_id 0
		.amdhsa_user_sgpr_kernarg_preload_length 0
		.amdhsa_user_sgpr_kernarg_preload_offset 0
		.amdhsa_user_sgpr_private_segment_size 0
		.amdhsa_uses_dynamic_stack 0
		.amdhsa_enable_private_segment 0
		.amdhsa_system_sgpr_workgroup_id_x 1
		.amdhsa_system_sgpr_workgroup_id_y 0
		.amdhsa_system_sgpr_workgroup_id_z 0
		.amdhsa_system_sgpr_workgroup_info 0
		.amdhsa_system_vgpr_workitem_id 0
		.amdhsa_next_free_vgpr 58
		.amdhsa_next_free_sgpr 36
		.amdhsa_accum_offset 60
		.amdhsa_reserve_vcc 1
		.amdhsa_float_round_mode_32 0
		.amdhsa_float_round_mode_16_64 0
		.amdhsa_float_denorm_mode_32 3
		.amdhsa_float_denorm_mode_16_64 3
		.amdhsa_dx10_clamp 1
		.amdhsa_ieee_mode 1
		.amdhsa_fp16_overflow 0
		.amdhsa_tg_split 0
		.amdhsa_exception_fp_ieee_invalid_op 0
		.amdhsa_exception_fp_denorm_src 0
		.amdhsa_exception_fp_ieee_div_zero 0
		.amdhsa_exception_fp_ieee_overflow 0
		.amdhsa_exception_fp_ieee_underflow 0
		.amdhsa_exception_fp_ieee_inexact 0
		.amdhsa_exception_int_div_zero 0
	.end_amdhsa_kernel
	.section	.text._Z17sort_pairs_kernelIhLj64ELj3EN10test_utils4lessELj10EEvPKT_PS2_T2_,"axG",@progbits,_Z17sort_pairs_kernelIhLj64ELj3EN10test_utils4lessELj10EEvPKT_PS2_T2_,comdat
.Lfunc_end85:
	.size	_Z17sort_pairs_kernelIhLj64ELj3EN10test_utils4lessELj10EEvPKT_PS2_T2_, .Lfunc_end85-_Z17sort_pairs_kernelIhLj64ELj3EN10test_utils4lessELj10EEvPKT_PS2_T2_
                                        ; -- End function
	.section	.AMDGPU.csdata,"",@progbits
; Kernel info:
; codeLenInByte = 4536
; NumSgprs: 42
; NumVgprs: 58
; NumAgprs: 0
; TotalNumVgprs: 58
; ScratchSize: 0
; MemoryBound: 0
; FloatMode: 240
; IeeeMode: 1
; LDSByteSize: 193 bytes/workgroup (compile time only)
; SGPRBlocks: 5
; VGPRBlocks: 7
; NumSGPRsForWavesPerEU: 42
; NumVGPRsForWavesPerEU: 58
; AccumOffset: 60
; Occupancy: 8
; WaveLimiterHint : 0
; COMPUTE_PGM_RSRC2:SCRATCH_EN: 0
; COMPUTE_PGM_RSRC2:USER_SGPR: 2
; COMPUTE_PGM_RSRC2:TRAP_HANDLER: 0
; COMPUTE_PGM_RSRC2:TGID_X_EN: 1
; COMPUTE_PGM_RSRC2:TGID_Y_EN: 0
; COMPUTE_PGM_RSRC2:TGID_Z_EN: 0
; COMPUTE_PGM_RSRC2:TIDIG_COMP_CNT: 0
; COMPUTE_PGM_RSRC3_GFX90A:ACCUM_OFFSET: 14
; COMPUTE_PGM_RSRC3_GFX90A:TG_SPLIT: 0
	.section	.text._Z16sort_keys_kernelIhLj64ELj4EN10test_utils4lessELj10EEvPKT_PS2_T2_,"axG",@progbits,_Z16sort_keys_kernelIhLj64ELj4EN10test_utils4lessELj10EEvPKT_PS2_T2_,comdat
	.protected	_Z16sort_keys_kernelIhLj64ELj4EN10test_utils4lessELj10EEvPKT_PS2_T2_ ; -- Begin function _Z16sort_keys_kernelIhLj64ELj4EN10test_utils4lessELj10EEvPKT_PS2_T2_
	.globl	_Z16sort_keys_kernelIhLj64ELj4EN10test_utils4lessELj10EEvPKT_PS2_T2_
	.p2align	8
	.type	_Z16sort_keys_kernelIhLj64ELj4EN10test_utils4lessELj10EEvPKT_PS2_T2_,@function
_Z16sort_keys_kernelIhLj64ELj4EN10test_utils4lessELj10EEvPKT_PS2_T2_: ; @_Z16sort_keys_kernelIhLj64ELj4EN10test_utils4lessELj10EEvPKT_PS2_T2_
; %bb.0:
	s_load_dwordx4 s[16:19], s[0:1], 0x0
	s_lshl_b32 s20, s2, 8
	v_lshlrev_b32_e32 v3, 2, v0
	v_and_b32_e32 v4, 0xf8, v3
	v_and_b32_e32 v6, 0xf0, v3
	s_waitcnt lgkmcnt(0)
	s_add_u32 s0, s16, s20
	s_addc_u32 s1, s17, 0
	global_load_ubyte v42, v0, s[0:1] offset:64
	global_load_ubyte v43, v0, s[0:1] offset:192
	global_load_ubyte v44, v0, s[0:1]
	global_load_ubyte v45, v0, s[0:1] offset:128
	v_or_b32_e32 v17, 4, v4
	v_add_u32_e32 v18, 8, v4
	v_and_b32_e32 v5, 4, v3
	v_and_b32_e32 v8, 0xe0, v3
	v_or_b32_e32 v19, 8, v6
	v_add_u32_e32 v20, 16, v6
	v_sub_u32_e32 v37, v18, v17
	v_and_b32_e32 v7, 12, v3
	v_and_b32_e32 v10, 0xc0, v3
	v_or_b32_e32 v21, 16, v8
	v_add_u32_e32 v22, 32, v8
	v_sub_u32_e32 v38, v20, v19
	v_sub_u32_e32 v46, v5, v37
	v_cmp_ge_i32_e64 s[0:1], v5, v37
	v_and_b32_e32 v9, 28, v3
	v_and_b32_e32 v12, 0x80, v3
	v_or_b32_e32 v23, 32, v10
	v_add_u32_e32 v24, 64, v10
	v_sub_u32_e32 v39, v22, v21
	v_sub_u32_e32 v47, v7, v38
	v_cndmask_b32_e64 v37, 0, v46, s[0:1]
	v_cmp_ge_i32_e64 s[0:1], v7, v38
	v_and_b32_e32 v11, 60, v3
	v_or_b32_e32 v25, 64, v12
	v_add_u32_e32 v26, 0x80, v12
	v_sub_u32_e32 v40, v24, v23
	v_sub_u32_e32 v48, v9, v39
	v_cndmask_b32_e64 v38, 0, v47, s[0:1]
	v_cmp_ge_i32_e64 s[0:1], v9, v39
	v_and_b32_e32 v13, 0x7c, v3
	v_sub_u32_e32 v41, v26, v25
	v_sub_u32_e32 v49, v11, v40
	v_cndmask_b32_e64 v39, 0, v48, s[0:1]
	v_cmp_ge_i32_e64 s[0:1], v11, v40
	v_mov_b32_e32 v2, 0x80
	v_sub_u32_e32 v32, v17, v4
	v_sub_u32_e32 v33, v19, v6
	;; [unrolled: 1-line block ×6, first 2 shown]
	v_cndmask_b32_e64 v40, 0, v49, s[0:1]
	v_cmp_ge_i32_e64 s[0:1], v13, v41
	v_sub_u32_e64 v14, v3, v2 clamp
	v_min_i32_e32 v15, 0x80, v3
	v_min_i32_e32 v32, v5, v32
	;; [unrolled: 1-line block ×6, first 2 shown]
	v_cndmask_b32_e64 v41, 0, v50, s[0:1]
	s_mov_b32 s21, 0
	v_mov_b32_e32 v1, 0
	s_mov_b32 s22, 0xffff
	s_mov_b32 s23, 0x7060405
	;; [unrolled: 1-line block ×3, first 2 shown]
	s_movk_i32 s25, 0xff00
	s_mov_b32 s26, 0xffff0000
	v_add_u32_e32 v16, 0x80, v3
	v_cmp_lt_i32_e32 vcc, v14, v15
	v_add_u32_e32 v27, v17, v5
	v_add_u32_e32 v28, v19, v7
	;; [unrolled: 1-line block ×5, first 2 shown]
	v_cmp_lt_i32_e64 s[0:1], v37, v32
	v_cmp_lt_i32_e64 s[2:3], v38, v33
	;; [unrolled: 1-line block ×5, first 2 shown]
	s_movk_i32 s27, 0x100
	s_waitcnt vmcnt(3)
	v_lshlrev_b16_e32 v42, 8, v42
	s_waitcnt vmcnt(2)
	v_lshlrev_b16_e32 v43, 8, v43
	s_waitcnt vmcnt(1)
	v_or_b32_e32 v42, v44, v42
	s_waitcnt vmcnt(0)
	v_or_b32_sdwa v43, v45, v43 dst_sel:WORD_1 dst_unused:UNUSED_PAD src0_sel:DWORD src1_sel:DWORD
	s_nop 0
	v_or_b32_sdwa v46, v42, v43 dst_sel:DWORD dst_unused:UNUSED_PAD src0_sel:WORD_0 src1_sel:DWORD
	s_branch .LBB86_2
.LBB86_1:                               ;   in Loop: Header=BB86_2 Depth=1
	s_or_b64 exec, exec, s[16:17]
	v_cndmask_b32_e64 v42, v42, v43, s[10:11]
	v_cndmask_b32_e64 v43, v45, v44, s[12:13]
	;; [unrolled: 1-line block ×3, first 2 shown]
	v_cmp_ge_i32_e64 s[12:13], v50, v2
	s_waitcnt lgkmcnt(0)
	v_cmp_lt_u16_sdwa s[14:15], v52, v49 src0_sel:BYTE_0 src1_sel:BYTE_0
	v_cmp_gt_i32_e64 s[10:11], s27, v48
	s_or_b64 s[12:13], s[12:13], s[14:15]
	s_and_b64 s[10:11], s[10:11], s[12:13]
	v_cndmask_b32_e64 v45, v49, v52, s[10:11]
	v_lshlrev_b16_e32 v46, 8, v43
	v_lshlrev_b16_e32 v47, 8, v45
	v_or_b32_sdwa v46, v42, v46 dst_sel:DWORD dst_unused:UNUSED_PAD src0_sel:BYTE_0 src1_sel:DWORD
	v_or_b32_sdwa v47, v44, v47 dst_sel:WORD_1 dst_unused:UNUSED_PAD src0_sel:BYTE_0 src1_sel:DWORD
	s_add_i32 s21, s21, 1
	s_cmp_eq_u32 s21, 10
	v_or_b32_sdwa v46, v46, v47 dst_sel:DWORD dst_unused:UNUSED_PAD src0_sel:WORD_0 src1_sel:DWORD
	s_cbranch_scc1 .LBB86_98
.LBB86_2:                               ; =>This Loop Header: Depth=1
                                        ;     Child Loop BB86_4 Depth 2
                                        ;     Child Loop BB86_20 Depth 2
	;; [unrolled: 1-line block ×6, first 2 shown]
	v_lshrrev_b32_e32 v43, 8, v46
	v_perm_b32 v42, v46, v46, s23
	v_cmp_lt_u16_sdwa s[10:11], v43, v46 src0_sel:BYTE_0 src1_sel:BYTE_0
	v_min_u16_sdwa v47, v43, v46 dst_sel:DWORD dst_unused:UNUSED_PAD src0_sel:BYTE_0 src1_sel:BYTE_0
	v_max_u16_sdwa v43, v43, v46 dst_sel:DWORD dst_unused:UNUSED_PAD src0_sel:BYTE_0 src1_sel:BYTE_0
	v_cndmask_b32_e64 v42, v46, v42, s[10:11]
	v_lshrrev_b32_e32 v44, 16, v42
	v_perm_b32 v45, 0, v44, s24
	v_lshlrev_b32_e32 v45, 16, v45
	v_and_or_b32 v45, v42, s22, v45
	v_cmp_lt_u16_sdwa s[10:11], v42, v44 src0_sel:BYTE_3 src1_sel:BYTE_0
	v_max_u16_sdwa v48, v42, v44 dst_sel:DWORD dst_unused:UNUSED_PAD src0_sel:BYTE_3 src1_sel:BYTE_0
	s_nop 0
	v_cndmask_b32_e64 v45, v42, v45, s[10:11]
	v_min_u16_sdwa v42, v42, v44 dst_sel:DWORD dst_unused:UNUSED_PAD src0_sel:BYTE_3 src1_sel:BYTE_0
	v_and_b32_sdwa v46, v45, s25 dst_sel:DWORD dst_unused:UNUSED_PAD src0_sel:WORD_1 src1_sel:DWORD
	v_lshlrev_b16_e32 v44, 8, v42
	v_or_b32_sdwa v46, v43, v46 dst_sel:WORD_1 dst_unused:UNUSED_PAD src0_sel:DWORD src1_sel:DWORD
	v_or_b32_sdwa v44, v45, v44 dst_sel:DWORD dst_unused:UNUSED_PAD src0_sel:BYTE_0 src1_sel:DWORD
	v_or_b32_sdwa v44, v44, v46 dst_sel:DWORD dst_unused:UNUSED_PAD src0_sel:WORD_0 src1_sel:DWORD
	v_cmp_lt_u16_e64 s[10:11], v42, v43
	v_lshlrev_b16_e32 v46, 8, v47
	v_max_u16_e32 v49, v42, v43
	v_cndmask_b32_e64 v44, v45, v44, s[10:11]
	v_min_u16_e32 v45, v42, v43
	v_or_b32_e32 v46, v45, v46
	v_and_b32_e32 v46, 0xffff, v46
	v_and_or_b32 v46, v44, s26, v46
	v_cmp_lt_u16_e64 s[10:11], v42, v47
	; wave barrier
	s_nop 1
	v_cndmask_b32_e64 v42, v44, v46, s[10:11]
	v_cndmask_b32_e64 v44, v45, v47, s[10:11]
	v_lshlrev_b16_e32 v45, 8, v49
	v_or_b32_sdwa v45, v48, v45 dst_sel:WORD_1 dst_unused:UNUSED_PAD src0_sel:DWORD src1_sel:DWORD
	v_cmp_gt_u16_e64 s[10:11], v43, v48
	v_and_or_b32 v45, v42, s22, v45
	s_nop 0
	v_cndmask_b32_e64 v42, v42, v45, s[10:11]
	v_cndmask_b32_e64 v45, v49, v48, s[10:11]
	v_and_b32_sdwa v43, v42, s25 dst_sel:DWORD dst_unused:UNUSED_PAD src0_sel:WORD_1 src1_sel:DWORD
	v_lshlrev_b16_e32 v46, 8, v45
	v_or_b32_sdwa v43, v44, v43 dst_sel:WORD_1 dst_unused:UNUSED_PAD src0_sel:DWORD src1_sel:DWORD
	v_or_b32_sdwa v46, v42, v46 dst_sel:DWORD dst_unused:UNUSED_PAD src0_sel:BYTE_0 src1_sel:DWORD
	v_or_b32_sdwa v43, v46, v43 dst_sel:DWORD dst_unused:UNUSED_PAD src0_sel:WORD_0 src1_sel:DWORD
	v_cmp_lt_u16_e64 s[10:11], v45, v44
	s_nop 1
	v_cndmask_b32_e64 v42, v42, v43, s[10:11]
	ds_write_b32 v3, v42
	v_mov_b32_e32 v42, v37
	s_waitcnt lgkmcnt(0)
	; wave barrier
	s_waitcnt lgkmcnt(0)
	s_and_saveexec_b64 s[12:13], s[0:1]
	s_cbranch_execz .LBB86_6
; %bb.3:                                ;   in Loop: Header=BB86_2 Depth=1
	s_mov_b64 s[14:15], 0
	v_mov_b32_e32 v42, v37
	v_mov_b32_e32 v43, v32
.LBB86_4:                               ;   Parent Loop BB86_2 Depth=1
                                        ; =>  This Inner Loop Header: Depth=2
	v_sub_u32_e32 v44, v43, v42
	v_lshrrev_b32_e32 v45, 31, v44
	v_add_u32_e32 v44, v44, v45
	v_ashrrev_i32_e32 v44, 1, v44
	v_add_u32_e32 v44, v44, v42
	v_not_b32_e32 v46, v44
	v_add_u32_e32 v45, v4, v44
	v_add3_u32 v46, v5, v46, v17
	ds_read_u8 v45, v45
	ds_read_u8 v46, v46
	v_add_u32_e32 v47, 1, v44
	s_waitcnt lgkmcnt(0)
	v_cmp_lt_u16_e64 s[10:11], v46, v45
	s_nop 1
	v_cndmask_b32_e64 v43, v43, v44, s[10:11]
	v_cndmask_b32_e64 v42, v47, v42, s[10:11]
	v_cmp_ge_i32_e64 s[10:11], v42, v43
	s_or_b64 s[14:15], s[10:11], s[14:15]
	s_andn2_b64 exec, exec, s[14:15]
	s_cbranch_execnz .LBB86_4
; %bb.5:                                ;   in Loop: Header=BB86_2 Depth=1
	s_or_b64 exec, exec, s[14:15]
.LBB86_6:                               ;   in Loop: Header=BB86_2 Depth=1
	s_or_b64 exec, exec, s[12:13]
	v_add_u32_e32 v46, v42, v4
	v_sub_u32_e32 v47, v27, v42
	ds_read_u8 v42, v46
	ds_read_u8 v43, v47
	v_cmp_le_i32_e64 s[12:13], v17, v46
	v_cmp_gt_i32_e64 s[10:11], v18, v47
                                        ; implicit-def: $vgpr44
                                        ; implicit-def: $vgpr45
	s_waitcnt lgkmcnt(0)
	v_cmp_lt_u16_sdwa s[14:15], v43, v42 src0_sel:BYTE_0 src1_sel:BYTE_0
	s_or_b64 s[12:13], s[12:13], s[14:15]
	s_and_b64 s[10:11], s[10:11], s[12:13]
	s_xor_b64 s[12:13], s[10:11], -1
	s_and_saveexec_b64 s[14:15], s[12:13]
	s_xor_b64 s[12:13], exec, s[14:15]
	s_cbranch_execz .LBB86_8
; %bb.7:                                ;   in Loop: Header=BB86_2 Depth=1
	ds_read_u8 v45, v46 offset:1
	v_mov_b32_e32 v44, v43
.LBB86_8:                               ;   in Loop: Header=BB86_2 Depth=1
	s_andn2_saveexec_b64 s[12:13], s[12:13]
	s_cbranch_execz .LBB86_10
; %bb.9:                                ;   in Loop: Header=BB86_2 Depth=1
	ds_read_u8 v44, v47 offset:1
	s_waitcnt lgkmcnt(1)
	v_mov_b32_e32 v45, v42
.LBB86_10:                              ;   in Loop: Header=BB86_2 Depth=1
	s_or_b64 exec, exec, s[12:13]
	v_add_u32_e32 v49, 1, v46
	v_add_u32_e32 v48, 1, v47
	v_cndmask_b32_e64 v49, v49, v46, s[10:11]
	v_cndmask_b32_e64 v48, v47, v48, s[10:11]
	v_cmp_ge_i32_e64 s[14:15], v49, v17
	s_waitcnt lgkmcnt(0)
	v_cmp_lt_u16_sdwa s[16:17], v44, v45 src0_sel:BYTE_0 src1_sel:BYTE_0
	v_cmp_lt_i32_e64 s[12:13], v48, v18
	s_or_b64 s[14:15], s[14:15], s[16:17]
	s_and_b64 s[12:13], s[12:13], s[14:15]
	s_xor_b64 s[14:15], s[12:13], -1
                                        ; implicit-def: $vgpr46
	s_and_saveexec_b64 s[16:17], s[14:15]
	s_xor_b64 s[14:15], exec, s[16:17]
	s_cbranch_execz .LBB86_12
; %bb.11:                               ;   in Loop: Header=BB86_2 Depth=1
	ds_read_u8 v46, v49 offset:1
.LBB86_12:                              ;   in Loop: Header=BB86_2 Depth=1
	s_or_saveexec_b64 s[14:15], s[14:15]
	v_mov_b32_e32 v47, v44
	s_xor_b64 exec, exec, s[14:15]
	s_cbranch_execz .LBB86_14
; %bb.13:                               ;   in Loop: Header=BB86_2 Depth=1
	ds_read_u8 v47, v48 offset:1
	s_waitcnt lgkmcnt(1)
	v_mov_b32_e32 v46, v45
.LBB86_14:                              ;   in Loop: Header=BB86_2 Depth=1
	s_or_b64 exec, exec, s[14:15]
	v_add_u32_e32 v51, 1, v49
	v_add_u32_e32 v50, 1, v48
	v_cndmask_b32_e64 v49, v51, v49, s[12:13]
	v_cndmask_b32_e64 v48, v48, v50, s[12:13]
	v_cmp_ge_i32_e64 s[16:17], v49, v17
	s_waitcnt lgkmcnt(0)
	v_cmp_lt_u16_sdwa s[28:29], v47, v46 src0_sel:BYTE_0 src1_sel:BYTE_0
	v_cmp_lt_i32_e64 s[14:15], v48, v18
	s_or_b64 s[16:17], s[16:17], s[28:29]
	s_and_b64 s[14:15], s[14:15], s[16:17]
	s_xor_b64 s[16:17], s[14:15], -1
                                        ; implicit-def: $vgpr50
	s_and_saveexec_b64 s[28:29], s[16:17]
	s_xor_b64 s[16:17], exec, s[28:29]
	s_cbranch_execz .LBB86_16
; %bb.15:                               ;   in Loop: Header=BB86_2 Depth=1
	ds_read_u8 v50, v49 offset:1
.LBB86_16:                              ;   in Loop: Header=BB86_2 Depth=1
	s_or_saveexec_b64 s[16:17], s[16:17]
	v_mov_b32_e32 v51, v47
	s_xor_b64 exec, exec, s[16:17]
	s_cbranch_execz .LBB86_18
; %bb.17:                               ;   in Loop: Header=BB86_2 Depth=1
	ds_read_u8 v51, v48 offset:1
	s_waitcnt lgkmcnt(1)
	v_mov_b32_e32 v50, v46
.LBB86_18:                              ;   in Loop: Header=BB86_2 Depth=1
	s_or_b64 exec, exec, s[16:17]
	v_cndmask_b32_e64 v46, v46, v47, s[14:15]
	v_add_u32_e32 v47, 1, v48
	v_add_u32_e32 v52, 1, v49
	v_cndmask_b32_e64 v47, v48, v47, s[14:15]
	v_cndmask_b32_e64 v48, v52, v49, s[14:15]
	;; [unrolled: 1-line block ×3, first 2 shown]
	v_cmp_ge_i32_e64 s[12:13], v48, v17
	s_waitcnt lgkmcnt(0)
	v_cmp_lt_u16_sdwa s[14:15], v51, v50 src0_sel:BYTE_0 src1_sel:BYTE_0
	v_cndmask_b32_e64 v42, v42, v43, s[10:11]
	v_cmp_lt_i32_e64 s[10:11], v47, v18
	s_or_b64 s[12:13], s[12:13], s[14:15]
	s_and_b64 s[10:11], s[10:11], s[12:13]
	v_cndmask_b32_e64 v43, v50, v51, s[10:11]
	s_waitcnt lgkmcnt(0)
	; wave barrier
	ds_write_b8 v3, v42
	ds_write_b8 v3, v44 offset:1
	ds_write_b8 v3, v46 offset:2
	ds_write_b8 v3, v43 offset:3
	v_mov_b32_e32 v42, v38
	s_waitcnt lgkmcnt(0)
	; wave barrier
	s_waitcnt lgkmcnt(0)
	s_and_saveexec_b64 s[12:13], s[2:3]
	s_cbranch_execz .LBB86_22
; %bb.19:                               ;   in Loop: Header=BB86_2 Depth=1
	s_mov_b64 s[14:15], 0
	v_mov_b32_e32 v42, v38
	v_mov_b32_e32 v43, v33
.LBB86_20:                              ;   Parent Loop BB86_2 Depth=1
                                        ; =>  This Inner Loop Header: Depth=2
	v_sub_u32_e32 v44, v43, v42
	v_lshrrev_b32_e32 v45, 31, v44
	v_add_u32_e32 v44, v44, v45
	v_ashrrev_i32_e32 v44, 1, v44
	v_add_u32_e32 v44, v44, v42
	v_not_b32_e32 v46, v44
	v_add_u32_e32 v45, v6, v44
	v_add3_u32 v46, v7, v46, v19
	ds_read_u8 v45, v45
	ds_read_u8 v46, v46
	v_add_u32_e32 v47, 1, v44
	s_waitcnt lgkmcnt(0)
	v_cmp_lt_u16_e64 s[10:11], v46, v45
	s_nop 1
	v_cndmask_b32_e64 v43, v43, v44, s[10:11]
	v_cndmask_b32_e64 v42, v47, v42, s[10:11]
	v_cmp_ge_i32_e64 s[10:11], v42, v43
	s_or_b64 s[14:15], s[10:11], s[14:15]
	s_andn2_b64 exec, exec, s[14:15]
	s_cbranch_execnz .LBB86_20
; %bb.21:                               ;   in Loop: Header=BB86_2 Depth=1
	s_or_b64 exec, exec, s[14:15]
.LBB86_22:                              ;   in Loop: Header=BB86_2 Depth=1
	s_or_b64 exec, exec, s[12:13]
	v_add_u32_e32 v46, v42, v6
	v_sub_u32_e32 v47, v28, v42
	ds_read_u8 v42, v46
	ds_read_u8 v43, v47
	v_cmp_le_i32_e64 s[12:13], v19, v46
	v_cmp_gt_i32_e64 s[10:11], v20, v47
                                        ; implicit-def: $vgpr44
                                        ; implicit-def: $vgpr45
	s_waitcnt lgkmcnt(0)
	v_cmp_lt_u16_sdwa s[14:15], v43, v42 src0_sel:BYTE_0 src1_sel:BYTE_0
	s_or_b64 s[12:13], s[12:13], s[14:15]
	s_and_b64 s[10:11], s[10:11], s[12:13]
	s_xor_b64 s[12:13], s[10:11], -1
	s_and_saveexec_b64 s[14:15], s[12:13]
	s_xor_b64 s[12:13], exec, s[14:15]
	s_cbranch_execz .LBB86_24
; %bb.23:                               ;   in Loop: Header=BB86_2 Depth=1
	ds_read_u8 v45, v46 offset:1
	v_mov_b32_e32 v44, v43
.LBB86_24:                              ;   in Loop: Header=BB86_2 Depth=1
	s_andn2_saveexec_b64 s[12:13], s[12:13]
	s_cbranch_execz .LBB86_26
; %bb.25:                               ;   in Loop: Header=BB86_2 Depth=1
	ds_read_u8 v44, v47 offset:1
	s_waitcnt lgkmcnt(1)
	v_mov_b32_e32 v45, v42
.LBB86_26:                              ;   in Loop: Header=BB86_2 Depth=1
	s_or_b64 exec, exec, s[12:13]
	v_add_u32_e32 v49, 1, v46
	v_add_u32_e32 v48, 1, v47
	v_cndmask_b32_e64 v49, v49, v46, s[10:11]
	v_cndmask_b32_e64 v48, v47, v48, s[10:11]
	v_cmp_ge_i32_e64 s[14:15], v49, v19
	s_waitcnt lgkmcnt(0)
	v_cmp_lt_u16_sdwa s[16:17], v44, v45 src0_sel:BYTE_0 src1_sel:BYTE_0
	v_cmp_lt_i32_e64 s[12:13], v48, v20
	s_or_b64 s[14:15], s[14:15], s[16:17]
	s_and_b64 s[12:13], s[12:13], s[14:15]
	s_xor_b64 s[14:15], s[12:13], -1
                                        ; implicit-def: $vgpr46
	s_and_saveexec_b64 s[16:17], s[14:15]
	s_xor_b64 s[14:15], exec, s[16:17]
	s_cbranch_execz .LBB86_28
; %bb.27:                               ;   in Loop: Header=BB86_2 Depth=1
	ds_read_u8 v46, v49 offset:1
.LBB86_28:                              ;   in Loop: Header=BB86_2 Depth=1
	s_or_saveexec_b64 s[14:15], s[14:15]
	v_mov_b32_e32 v47, v44
	s_xor_b64 exec, exec, s[14:15]
	s_cbranch_execz .LBB86_30
; %bb.29:                               ;   in Loop: Header=BB86_2 Depth=1
	ds_read_u8 v47, v48 offset:1
	s_waitcnt lgkmcnt(1)
	v_mov_b32_e32 v46, v45
.LBB86_30:                              ;   in Loop: Header=BB86_2 Depth=1
	s_or_b64 exec, exec, s[14:15]
	v_add_u32_e32 v51, 1, v49
	v_add_u32_e32 v50, 1, v48
	v_cndmask_b32_e64 v49, v51, v49, s[12:13]
	v_cndmask_b32_e64 v48, v48, v50, s[12:13]
	v_cmp_ge_i32_e64 s[16:17], v49, v19
	s_waitcnt lgkmcnt(0)
	v_cmp_lt_u16_sdwa s[28:29], v47, v46 src0_sel:BYTE_0 src1_sel:BYTE_0
	v_cmp_lt_i32_e64 s[14:15], v48, v20
	s_or_b64 s[16:17], s[16:17], s[28:29]
	s_and_b64 s[14:15], s[14:15], s[16:17]
	s_xor_b64 s[16:17], s[14:15], -1
                                        ; implicit-def: $vgpr50
	s_and_saveexec_b64 s[28:29], s[16:17]
	s_xor_b64 s[16:17], exec, s[28:29]
	s_cbranch_execz .LBB86_32
; %bb.31:                               ;   in Loop: Header=BB86_2 Depth=1
	ds_read_u8 v50, v49 offset:1
.LBB86_32:                              ;   in Loop: Header=BB86_2 Depth=1
	s_or_saveexec_b64 s[16:17], s[16:17]
	v_mov_b32_e32 v51, v47
	s_xor_b64 exec, exec, s[16:17]
	s_cbranch_execz .LBB86_34
; %bb.33:                               ;   in Loop: Header=BB86_2 Depth=1
	ds_read_u8 v51, v48 offset:1
	s_waitcnt lgkmcnt(1)
	v_mov_b32_e32 v50, v46
.LBB86_34:                              ;   in Loop: Header=BB86_2 Depth=1
	s_or_b64 exec, exec, s[16:17]
	v_cndmask_b32_e64 v46, v46, v47, s[14:15]
	v_add_u32_e32 v47, 1, v48
	v_add_u32_e32 v52, 1, v49
	v_cndmask_b32_e64 v47, v48, v47, s[14:15]
	v_cndmask_b32_e64 v48, v52, v49, s[14:15]
	;; [unrolled: 1-line block ×3, first 2 shown]
	v_cmp_ge_i32_e64 s[12:13], v48, v19
	s_waitcnt lgkmcnt(0)
	v_cmp_lt_u16_sdwa s[14:15], v51, v50 src0_sel:BYTE_0 src1_sel:BYTE_0
	v_cndmask_b32_e64 v42, v42, v43, s[10:11]
	v_cmp_lt_i32_e64 s[10:11], v47, v20
	s_or_b64 s[12:13], s[12:13], s[14:15]
	s_and_b64 s[10:11], s[10:11], s[12:13]
	v_cndmask_b32_e64 v43, v50, v51, s[10:11]
	s_waitcnt lgkmcnt(0)
	; wave barrier
	ds_write_b8 v3, v42
	ds_write_b8 v3, v44 offset:1
	ds_write_b8 v3, v46 offset:2
	;; [unrolled: 1-line block ×3, first 2 shown]
	v_mov_b32_e32 v42, v39
	s_waitcnt lgkmcnt(0)
	; wave barrier
	s_waitcnt lgkmcnt(0)
	s_and_saveexec_b64 s[12:13], s[4:5]
	s_cbranch_execz .LBB86_38
; %bb.35:                               ;   in Loop: Header=BB86_2 Depth=1
	s_mov_b64 s[14:15], 0
	v_mov_b32_e32 v42, v39
	v_mov_b32_e32 v43, v34
.LBB86_36:                              ;   Parent Loop BB86_2 Depth=1
                                        ; =>  This Inner Loop Header: Depth=2
	v_sub_u32_e32 v44, v43, v42
	v_lshrrev_b32_e32 v45, 31, v44
	v_add_u32_e32 v44, v44, v45
	v_ashrrev_i32_e32 v44, 1, v44
	v_add_u32_e32 v44, v44, v42
	v_not_b32_e32 v46, v44
	v_add_u32_e32 v45, v8, v44
	v_add3_u32 v46, v9, v46, v21
	ds_read_u8 v45, v45
	ds_read_u8 v46, v46
	v_add_u32_e32 v47, 1, v44
	s_waitcnt lgkmcnt(0)
	v_cmp_lt_u16_e64 s[10:11], v46, v45
	s_nop 1
	v_cndmask_b32_e64 v43, v43, v44, s[10:11]
	v_cndmask_b32_e64 v42, v47, v42, s[10:11]
	v_cmp_ge_i32_e64 s[10:11], v42, v43
	s_or_b64 s[14:15], s[10:11], s[14:15]
	s_andn2_b64 exec, exec, s[14:15]
	s_cbranch_execnz .LBB86_36
; %bb.37:                               ;   in Loop: Header=BB86_2 Depth=1
	s_or_b64 exec, exec, s[14:15]
.LBB86_38:                              ;   in Loop: Header=BB86_2 Depth=1
	s_or_b64 exec, exec, s[12:13]
	v_add_u32_e32 v46, v42, v8
	v_sub_u32_e32 v47, v29, v42
	ds_read_u8 v42, v46
	ds_read_u8 v43, v47
	v_cmp_le_i32_e64 s[12:13], v21, v46
	v_cmp_gt_i32_e64 s[10:11], v22, v47
                                        ; implicit-def: $vgpr44
                                        ; implicit-def: $vgpr45
	s_waitcnt lgkmcnt(0)
	v_cmp_lt_u16_sdwa s[14:15], v43, v42 src0_sel:BYTE_0 src1_sel:BYTE_0
	s_or_b64 s[12:13], s[12:13], s[14:15]
	s_and_b64 s[10:11], s[10:11], s[12:13]
	s_xor_b64 s[12:13], s[10:11], -1
	s_and_saveexec_b64 s[14:15], s[12:13]
	s_xor_b64 s[12:13], exec, s[14:15]
	s_cbranch_execz .LBB86_40
; %bb.39:                               ;   in Loop: Header=BB86_2 Depth=1
	ds_read_u8 v45, v46 offset:1
	v_mov_b32_e32 v44, v43
.LBB86_40:                              ;   in Loop: Header=BB86_2 Depth=1
	s_andn2_saveexec_b64 s[12:13], s[12:13]
	s_cbranch_execz .LBB86_42
; %bb.41:                               ;   in Loop: Header=BB86_2 Depth=1
	ds_read_u8 v44, v47 offset:1
	s_waitcnt lgkmcnt(1)
	v_mov_b32_e32 v45, v42
.LBB86_42:                              ;   in Loop: Header=BB86_2 Depth=1
	s_or_b64 exec, exec, s[12:13]
	v_add_u32_e32 v49, 1, v46
	v_add_u32_e32 v48, 1, v47
	v_cndmask_b32_e64 v49, v49, v46, s[10:11]
	v_cndmask_b32_e64 v48, v47, v48, s[10:11]
	v_cmp_ge_i32_e64 s[14:15], v49, v21
	s_waitcnt lgkmcnt(0)
	v_cmp_lt_u16_sdwa s[16:17], v44, v45 src0_sel:BYTE_0 src1_sel:BYTE_0
	v_cmp_lt_i32_e64 s[12:13], v48, v22
	s_or_b64 s[14:15], s[14:15], s[16:17]
	s_and_b64 s[12:13], s[12:13], s[14:15]
	s_xor_b64 s[14:15], s[12:13], -1
                                        ; implicit-def: $vgpr46
	s_and_saveexec_b64 s[16:17], s[14:15]
	s_xor_b64 s[14:15], exec, s[16:17]
	s_cbranch_execz .LBB86_44
; %bb.43:                               ;   in Loop: Header=BB86_2 Depth=1
	ds_read_u8 v46, v49 offset:1
.LBB86_44:                              ;   in Loop: Header=BB86_2 Depth=1
	s_or_saveexec_b64 s[14:15], s[14:15]
	v_mov_b32_e32 v47, v44
	s_xor_b64 exec, exec, s[14:15]
	s_cbranch_execz .LBB86_46
; %bb.45:                               ;   in Loop: Header=BB86_2 Depth=1
	ds_read_u8 v47, v48 offset:1
	s_waitcnt lgkmcnt(1)
	v_mov_b32_e32 v46, v45
.LBB86_46:                              ;   in Loop: Header=BB86_2 Depth=1
	s_or_b64 exec, exec, s[14:15]
	v_add_u32_e32 v51, 1, v49
	v_add_u32_e32 v50, 1, v48
	v_cndmask_b32_e64 v49, v51, v49, s[12:13]
	v_cndmask_b32_e64 v48, v48, v50, s[12:13]
	v_cmp_ge_i32_e64 s[16:17], v49, v21
	s_waitcnt lgkmcnt(0)
	v_cmp_lt_u16_sdwa s[28:29], v47, v46 src0_sel:BYTE_0 src1_sel:BYTE_0
	v_cmp_lt_i32_e64 s[14:15], v48, v22
	s_or_b64 s[16:17], s[16:17], s[28:29]
	s_and_b64 s[14:15], s[14:15], s[16:17]
	s_xor_b64 s[16:17], s[14:15], -1
                                        ; implicit-def: $vgpr50
	s_and_saveexec_b64 s[28:29], s[16:17]
	s_xor_b64 s[16:17], exec, s[28:29]
	s_cbranch_execz .LBB86_48
; %bb.47:                               ;   in Loop: Header=BB86_2 Depth=1
	ds_read_u8 v50, v49 offset:1
.LBB86_48:                              ;   in Loop: Header=BB86_2 Depth=1
	s_or_saveexec_b64 s[16:17], s[16:17]
	v_mov_b32_e32 v51, v47
	s_xor_b64 exec, exec, s[16:17]
	s_cbranch_execz .LBB86_50
; %bb.49:                               ;   in Loop: Header=BB86_2 Depth=1
	ds_read_u8 v51, v48 offset:1
	s_waitcnt lgkmcnt(1)
	v_mov_b32_e32 v50, v46
.LBB86_50:                              ;   in Loop: Header=BB86_2 Depth=1
	s_or_b64 exec, exec, s[16:17]
	v_cndmask_b32_e64 v46, v46, v47, s[14:15]
	v_add_u32_e32 v47, 1, v48
	v_add_u32_e32 v52, 1, v49
	v_cndmask_b32_e64 v47, v48, v47, s[14:15]
	v_cndmask_b32_e64 v48, v52, v49, s[14:15]
	;; [unrolled: 1-line block ×3, first 2 shown]
	v_cmp_ge_i32_e64 s[12:13], v48, v21
	s_waitcnt lgkmcnt(0)
	v_cmp_lt_u16_sdwa s[14:15], v51, v50 src0_sel:BYTE_0 src1_sel:BYTE_0
	v_cndmask_b32_e64 v42, v42, v43, s[10:11]
	v_cmp_lt_i32_e64 s[10:11], v47, v22
	s_or_b64 s[12:13], s[12:13], s[14:15]
	s_and_b64 s[10:11], s[10:11], s[12:13]
	v_cndmask_b32_e64 v43, v50, v51, s[10:11]
	s_waitcnt lgkmcnt(0)
	; wave barrier
	ds_write_b8 v3, v42
	ds_write_b8 v3, v44 offset:1
	ds_write_b8 v3, v46 offset:2
	;; [unrolled: 1-line block ×3, first 2 shown]
	v_mov_b32_e32 v42, v40
	s_waitcnt lgkmcnt(0)
	; wave barrier
	s_waitcnt lgkmcnt(0)
	s_and_saveexec_b64 s[12:13], s[6:7]
	s_cbranch_execz .LBB86_54
; %bb.51:                               ;   in Loop: Header=BB86_2 Depth=1
	s_mov_b64 s[14:15], 0
	v_mov_b32_e32 v42, v40
	v_mov_b32_e32 v43, v35
.LBB86_52:                              ;   Parent Loop BB86_2 Depth=1
                                        ; =>  This Inner Loop Header: Depth=2
	v_sub_u32_e32 v44, v43, v42
	v_lshrrev_b32_e32 v45, 31, v44
	v_add_u32_e32 v44, v44, v45
	v_ashrrev_i32_e32 v44, 1, v44
	v_add_u32_e32 v44, v44, v42
	v_not_b32_e32 v46, v44
	v_add_u32_e32 v45, v10, v44
	v_add3_u32 v46, v11, v46, v23
	ds_read_u8 v45, v45
	ds_read_u8 v46, v46
	v_add_u32_e32 v47, 1, v44
	s_waitcnt lgkmcnt(0)
	v_cmp_lt_u16_e64 s[10:11], v46, v45
	s_nop 1
	v_cndmask_b32_e64 v43, v43, v44, s[10:11]
	v_cndmask_b32_e64 v42, v47, v42, s[10:11]
	v_cmp_ge_i32_e64 s[10:11], v42, v43
	s_or_b64 s[14:15], s[10:11], s[14:15]
	s_andn2_b64 exec, exec, s[14:15]
	s_cbranch_execnz .LBB86_52
; %bb.53:                               ;   in Loop: Header=BB86_2 Depth=1
	s_or_b64 exec, exec, s[14:15]
.LBB86_54:                              ;   in Loop: Header=BB86_2 Depth=1
	s_or_b64 exec, exec, s[12:13]
	v_add_u32_e32 v46, v42, v10
	v_sub_u32_e32 v47, v30, v42
	ds_read_u8 v42, v46
	ds_read_u8 v43, v47
	v_cmp_le_i32_e64 s[12:13], v23, v46
	v_cmp_gt_i32_e64 s[10:11], v24, v47
                                        ; implicit-def: $vgpr44
                                        ; implicit-def: $vgpr45
	s_waitcnt lgkmcnt(0)
	v_cmp_lt_u16_sdwa s[14:15], v43, v42 src0_sel:BYTE_0 src1_sel:BYTE_0
	s_or_b64 s[12:13], s[12:13], s[14:15]
	s_and_b64 s[10:11], s[10:11], s[12:13]
	s_xor_b64 s[12:13], s[10:11], -1
	s_and_saveexec_b64 s[14:15], s[12:13]
	s_xor_b64 s[12:13], exec, s[14:15]
	s_cbranch_execz .LBB86_56
; %bb.55:                               ;   in Loop: Header=BB86_2 Depth=1
	ds_read_u8 v45, v46 offset:1
	v_mov_b32_e32 v44, v43
.LBB86_56:                              ;   in Loop: Header=BB86_2 Depth=1
	s_andn2_saveexec_b64 s[12:13], s[12:13]
	s_cbranch_execz .LBB86_58
; %bb.57:                               ;   in Loop: Header=BB86_2 Depth=1
	ds_read_u8 v44, v47 offset:1
	s_waitcnt lgkmcnt(1)
	v_mov_b32_e32 v45, v42
.LBB86_58:                              ;   in Loop: Header=BB86_2 Depth=1
	s_or_b64 exec, exec, s[12:13]
	v_add_u32_e32 v49, 1, v46
	v_add_u32_e32 v48, 1, v47
	v_cndmask_b32_e64 v49, v49, v46, s[10:11]
	v_cndmask_b32_e64 v48, v47, v48, s[10:11]
	v_cmp_ge_i32_e64 s[14:15], v49, v23
	s_waitcnt lgkmcnt(0)
	v_cmp_lt_u16_sdwa s[16:17], v44, v45 src0_sel:BYTE_0 src1_sel:BYTE_0
	v_cmp_lt_i32_e64 s[12:13], v48, v24
	s_or_b64 s[14:15], s[14:15], s[16:17]
	s_and_b64 s[12:13], s[12:13], s[14:15]
	s_xor_b64 s[14:15], s[12:13], -1
                                        ; implicit-def: $vgpr46
	s_and_saveexec_b64 s[16:17], s[14:15]
	s_xor_b64 s[14:15], exec, s[16:17]
	s_cbranch_execz .LBB86_60
; %bb.59:                               ;   in Loop: Header=BB86_2 Depth=1
	ds_read_u8 v46, v49 offset:1
.LBB86_60:                              ;   in Loop: Header=BB86_2 Depth=1
	s_or_saveexec_b64 s[14:15], s[14:15]
	v_mov_b32_e32 v47, v44
	s_xor_b64 exec, exec, s[14:15]
	s_cbranch_execz .LBB86_62
; %bb.61:                               ;   in Loop: Header=BB86_2 Depth=1
	ds_read_u8 v47, v48 offset:1
	s_waitcnt lgkmcnt(1)
	v_mov_b32_e32 v46, v45
.LBB86_62:                              ;   in Loop: Header=BB86_2 Depth=1
	s_or_b64 exec, exec, s[14:15]
	v_add_u32_e32 v51, 1, v49
	v_add_u32_e32 v50, 1, v48
	v_cndmask_b32_e64 v49, v51, v49, s[12:13]
	v_cndmask_b32_e64 v48, v48, v50, s[12:13]
	v_cmp_ge_i32_e64 s[16:17], v49, v23
	s_waitcnt lgkmcnt(0)
	v_cmp_lt_u16_sdwa s[28:29], v47, v46 src0_sel:BYTE_0 src1_sel:BYTE_0
	v_cmp_lt_i32_e64 s[14:15], v48, v24
	s_or_b64 s[16:17], s[16:17], s[28:29]
	s_and_b64 s[14:15], s[14:15], s[16:17]
	s_xor_b64 s[16:17], s[14:15], -1
                                        ; implicit-def: $vgpr50
	s_and_saveexec_b64 s[28:29], s[16:17]
	s_xor_b64 s[16:17], exec, s[28:29]
	s_cbranch_execz .LBB86_64
; %bb.63:                               ;   in Loop: Header=BB86_2 Depth=1
	ds_read_u8 v50, v49 offset:1
.LBB86_64:                              ;   in Loop: Header=BB86_2 Depth=1
	s_or_saveexec_b64 s[16:17], s[16:17]
	v_mov_b32_e32 v51, v47
	s_xor_b64 exec, exec, s[16:17]
	s_cbranch_execz .LBB86_66
; %bb.65:                               ;   in Loop: Header=BB86_2 Depth=1
	ds_read_u8 v51, v48 offset:1
	s_waitcnt lgkmcnt(1)
	v_mov_b32_e32 v50, v46
.LBB86_66:                              ;   in Loop: Header=BB86_2 Depth=1
	s_or_b64 exec, exec, s[16:17]
	v_cndmask_b32_e64 v46, v46, v47, s[14:15]
	v_add_u32_e32 v47, 1, v48
	v_add_u32_e32 v52, 1, v49
	v_cndmask_b32_e64 v47, v48, v47, s[14:15]
	v_cndmask_b32_e64 v48, v52, v49, s[14:15]
	;; [unrolled: 1-line block ×3, first 2 shown]
	v_cmp_ge_i32_e64 s[12:13], v48, v23
	s_waitcnt lgkmcnt(0)
	v_cmp_lt_u16_sdwa s[14:15], v51, v50 src0_sel:BYTE_0 src1_sel:BYTE_0
	v_cndmask_b32_e64 v42, v42, v43, s[10:11]
	v_cmp_lt_i32_e64 s[10:11], v47, v24
	s_or_b64 s[12:13], s[12:13], s[14:15]
	s_and_b64 s[10:11], s[10:11], s[12:13]
	v_cndmask_b32_e64 v43, v50, v51, s[10:11]
	s_waitcnt lgkmcnt(0)
	; wave barrier
	ds_write_b8 v3, v42
	ds_write_b8 v3, v44 offset:1
	ds_write_b8 v3, v46 offset:2
	;; [unrolled: 1-line block ×3, first 2 shown]
	v_mov_b32_e32 v42, v41
	s_waitcnt lgkmcnt(0)
	; wave barrier
	s_waitcnt lgkmcnt(0)
	s_and_saveexec_b64 s[12:13], s[8:9]
	s_cbranch_execz .LBB86_70
; %bb.67:                               ;   in Loop: Header=BB86_2 Depth=1
	s_mov_b64 s[14:15], 0
	v_mov_b32_e32 v42, v41
	v_mov_b32_e32 v43, v36
.LBB86_68:                              ;   Parent Loop BB86_2 Depth=1
                                        ; =>  This Inner Loop Header: Depth=2
	v_sub_u32_e32 v44, v43, v42
	v_lshrrev_b32_e32 v45, 31, v44
	v_add_u32_e32 v44, v44, v45
	v_ashrrev_i32_e32 v44, 1, v44
	v_add_u32_e32 v44, v44, v42
	v_not_b32_e32 v46, v44
	v_add_u32_e32 v45, v12, v44
	v_add3_u32 v46, v13, v46, v25
	ds_read_u8 v45, v45
	ds_read_u8 v46, v46
	v_add_u32_e32 v47, 1, v44
	s_waitcnt lgkmcnt(0)
	v_cmp_lt_u16_e64 s[10:11], v46, v45
	s_nop 1
	v_cndmask_b32_e64 v43, v43, v44, s[10:11]
	v_cndmask_b32_e64 v42, v47, v42, s[10:11]
	v_cmp_ge_i32_e64 s[10:11], v42, v43
	s_or_b64 s[14:15], s[10:11], s[14:15]
	s_andn2_b64 exec, exec, s[14:15]
	s_cbranch_execnz .LBB86_68
; %bb.69:                               ;   in Loop: Header=BB86_2 Depth=1
	s_or_b64 exec, exec, s[14:15]
.LBB86_70:                              ;   in Loop: Header=BB86_2 Depth=1
	s_or_b64 exec, exec, s[12:13]
	v_add_u32_e32 v46, v42, v12
	v_sub_u32_e32 v47, v31, v42
	ds_read_u8 v42, v46
	ds_read_u8 v43, v47
	v_cmp_le_i32_e64 s[12:13], v25, v46
	v_cmp_gt_i32_e64 s[10:11], v26, v47
                                        ; implicit-def: $vgpr44
                                        ; implicit-def: $vgpr45
	s_waitcnt lgkmcnt(0)
	v_cmp_lt_u16_sdwa s[14:15], v43, v42 src0_sel:BYTE_0 src1_sel:BYTE_0
	s_or_b64 s[12:13], s[12:13], s[14:15]
	s_and_b64 s[10:11], s[10:11], s[12:13]
	s_xor_b64 s[12:13], s[10:11], -1
	s_and_saveexec_b64 s[14:15], s[12:13]
	s_xor_b64 s[12:13], exec, s[14:15]
	s_cbranch_execz .LBB86_72
; %bb.71:                               ;   in Loop: Header=BB86_2 Depth=1
	ds_read_u8 v45, v46 offset:1
	v_mov_b32_e32 v44, v43
.LBB86_72:                              ;   in Loop: Header=BB86_2 Depth=1
	s_andn2_saveexec_b64 s[12:13], s[12:13]
	s_cbranch_execz .LBB86_74
; %bb.73:                               ;   in Loop: Header=BB86_2 Depth=1
	ds_read_u8 v44, v47 offset:1
	s_waitcnt lgkmcnt(1)
	v_mov_b32_e32 v45, v42
.LBB86_74:                              ;   in Loop: Header=BB86_2 Depth=1
	s_or_b64 exec, exec, s[12:13]
	v_add_u32_e32 v49, 1, v46
	v_add_u32_e32 v48, 1, v47
	v_cndmask_b32_e64 v49, v49, v46, s[10:11]
	v_cndmask_b32_e64 v48, v47, v48, s[10:11]
	v_cmp_ge_i32_e64 s[14:15], v49, v25
	s_waitcnt lgkmcnt(0)
	v_cmp_lt_u16_sdwa s[16:17], v44, v45 src0_sel:BYTE_0 src1_sel:BYTE_0
	v_cmp_lt_i32_e64 s[12:13], v48, v26
	s_or_b64 s[14:15], s[14:15], s[16:17]
	s_and_b64 s[12:13], s[12:13], s[14:15]
	s_xor_b64 s[14:15], s[12:13], -1
                                        ; implicit-def: $vgpr46
	s_and_saveexec_b64 s[16:17], s[14:15]
	s_xor_b64 s[14:15], exec, s[16:17]
	s_cbranch_execz .LBB86_76
; %bb.75:                               ;   in Loop: Header=BB86_2 Depth=1
	ds_read_u8 v46, v49 offset:1
.LBB86_76:                              ;   in Loop: Header=BB86_2 Depth=1
	s_or_saveexec_b64 s[14:15], s[14:15]
	v_mov_b32_e32 v47, v44
	s_xor_b64 exec, exec, s[14:15]
	s_cbranch_execz .LBB86_78
; %bb.77:                               ;   in Loop: Header=BB86_2 Depth=1
	ds_read_u8 v47, v48 offset:1
	s_waitcnt lgkmcnt(1)
	v_mov_b32_e32 v46, v45
.LBB86_78:                              ;   in Loop: Header=BB86_2 Depth=1
	s_or_b64 exec, exec, s[14:15]
	v_add_u32_e32 v51, 1, v49
	v_add_u32_e32 v50, 1, v48
	v_cndmask_b32_e64 v49, v51, v49, s[12:13]
	v_cndmask_b32_e64 v48, v48, v50, s[12:13]
	v_cmp_ge_i32_e64 s[16:17], v49, v25
	s_waitcnt lgkmcnt(0)
	v_cmp_lt_u16_sdwa s[28:29], v47, v46 src0_sel:BYTE_0 src1_sel:BYTE_0
	v_cmp_lt_i32_e64 s[14:15], v48, v26
	s_or_b64 s[16:17], s[16:17], s[28:29]
	s_and_b64 s[14:15], s[14:15], s[16:17]
	s_xor_b64 s[16:17], s[14:15], -1
                                        ; implicit-def: $vgpr50
	s_and_saveexec_b64 s[28:29], s[16:17]
	s_xor_b64 s[16:17], exec, s[28:29]
	s_cbranch_execz .LBB86_80
; %bb.79:                               ;   in Loop: Header=BB86_2 Depth=1
	ds_read_u8 v50, v49 offset:1
.LBB86_80:                              ;   in Loop: Header=BB86_2 Depth=1
	s_or_saveexec_b64 s[16:17], s[16:17]
	v_mov_b32_e32 v51, v47
	s_xor_b64 exec, exec, s[16:17]
	s_cbranch_execz .LBB86_82
; %bb.81:                               ;   in Loop: Header=BB86_2 Depth=1
	ds_read_u8 v51, v48 offset:1
	s_waitcnt lgkmcnt(1)
	v_mov_b32_e32 v50, v46
.LBB86_82:                              ;   in Loop: Header=BB86_2 Depth=1
	s_or_b64 exec, exec, s[16:17]
	v_cndmask_b32_e64 v46, v46, v47, s[14:15]
	v_add_u32_e32 v47, 1, v48
	v_add_u32_e32 v52, 1, v49
	v_cndmask_b32_e64 v47, v48, v47, s[14:15]
	v_cndmask_b32_e64 v48, v52, v49, s[14:15]
	;; [unrolled: 1-line block ×3, first 2 shown]
	v_cmp_ge_i32_e64 s[12:13], v48, v25
	s_waitcnt lgkmcnt(0)
	v_cmp_lt_u16_sdwa s[14:15], v51, v50 src0_sel:BYTE_0 src1_sel:BYTE_0
	v_cndmask_b32_e64 v42, v42, v43, s[10:11]
	v_cmp_lt_i32_e64 s[10:11], v47, v26
	s_or_b64 s[12:13], s[12:13], s[14:15]
	s_and_b64 s[10:11], s[10:11], s[12:13]
	v_cndmask_b32_e64 v43, v50, v51, s[10:11]
	s_waitcnt lgkmcnt(0)
	; wave barrier
	ds_write_b8 v3, v42
	ds_write_b8 v3, v44 offset:1
	ds_write_b8 v3, v46 offset:2
	ds_write_b8 v3, v43 offset:3
	v_mov_b32_e32 v46, v14
	s_waitcnt lgkmcnt(0)
	; wave barrier
	s_waitcnt lgkmcnt(0)
	s_and_saveexec_b64 s[12:13], vcc
	s_cbranch_execz .LBB86_86
; %bb.83:                               ;   in Loop: Header=BB86_2 Depth=1
	s_mov_b64 s[14:15], 0
	v_mov_b32_e32 v46, v14
	v_mov_b32_e32 v42, v15
.LBB86_84:                              ;   Parent Loop BB86_2 Depth=1
                                        ; =>  This Inner Loop Header: Depth=2
	v_sub_u32_e32 v43, v42, v46
	v_lshrrev_b32_e32 v44, 31, v43
	v_add_u32_e32 v43, v43, v44
	v_ashrrev_i32_e32 v43, 1, v43
	v_add_u32_e32 v43, v43, v46
	v_not_b32_e32 v44, v43
	v_add3_u32 v44, v3, v44, v2
	ds_read_u8 v45, v43
	ds_read_u8 v44, v44
	v_add_u32_e32 v47, 1, v43
	s_waitcnt lgkmcnt(0)
	v_cmp_lt_u16_e64 s[10:11], v44, v45
	s_nop 1
	v_cndmask_b32_e64 v42, v42, v43, s[10:11]
	v_cndmask_b32_e64 v46, v47, v46, s[10:11]
	v_cmp_ge_i32_e64 s[10:11], v46, v42
	s_or_b64 s[14:15], s[10:11], s[14:15]
	s_andn2_b64 exec, exec, s[14:15]
	s_cbranch_execnz .LBB86_84
; %bb.85:                               ;   in Loop: Header=BB86_2 Depth=1
	s_or_b64 exec, exec, s[14:15]
.LBB86_86:                              ;   in Loop: Header=BB86_2 Depth=1
	s_or_b64 exec, exec, s[12:13]
	v_sub_u32_e32 v47, v16, v46
	ds_read_u8 v42, v46
	ds_read_u8 v43, v47
	v_cmp_le_i32_e64 s[12:13], v2, v46
	v_cmp_gt_i32_e64 s[10:11], s27, v47
                                        ; implicit-def: $vgpr44
                                        ; implicit-def: $vgpr45
	s_waitcnt lgkmcnt(0)
	v_cmp_lt_u16_sdwa s[14:15], v43, v42 src0_sel:BYTE_0 src1_sel:BYTE_0
	s_or_b64 s[12:13], s[12:13], s[14:15]
	s_and_b64 s[10:11], s[10:11], s[12:13]
	s_xor_b64 s[12:13], s[10:11], -1
	s_and_saveexec_b64 s[14:15], s[12:13]
	s_xor_b64 s[12:13], exec, s[14:15]
	s_cbranch_execz .LBB86_88
; %bb.87:                               ;   in Loop: Header=BB86_2 Depth=1
	ds_read_u8 v45, v46 offset:1
	v_mov_b32_e32 v44, v43
.LBB86_88:                              ;   in Loop: Header=BB86_2 Depth=1
	s_andn2_saveexec_b64 s[12:13], s[12:13]
	s_cbranch_execz .LBB86_90
; %bb.89:                               ;   in Loop: Header=BB86_2 Depth=1
	ds_read_u8 v44, v47 offset:1
	s_waitcnt lgkmcnt(1)
	v_mov_b32_e32 v45, v42
.LBB86_90:                              ;   in Loop: Header=BB86_2 Depth=1
	s_or_b64 exec, exec, s[12:13]
	v_add_u32_e32 v49, 1, v46
	v_add_u32_e32 v48, 1, v47
	v_cndmask_b32_e64 v49, v49, v46, s[10:11]
	v_cndmask_b32_e64 v48, v47, v48, s[10:11]
	v_cmp_ge_i32_e64 s[14:15], v49, v2
	s_waitcnt lgkmcnt(0)
	v_cmp_lt_u16_sdwa s[16:17], v44, v45 src0_sel:BYTE_0 src1_sel:BYTE_0
	v_cmp_gt_i32_e64 s[12:13], s27, v48
	s_or_b64 s[14:15], s[14:15], s[16:17]
	s_and_b64 s[12:13], s[12:13], s[14:15]
	s_xor_b64 s[14:15], s[12:13], -1
                                        ; implicit-def: $vgpr46
	s_and_saveexec_b64 s[16:17], s[14:15]
	s_xor_b64 s[14:15], exec, s[16:17]
	s_cbranch_execz .LBB86_92
; %bb.91:                               ;   in Loop: Header=BB86_2 Depth=1
	ds_read_u8 v46, v49 offset:1
.LBB86_92:                              ;   in Loop: Header=BB86_2 Depth=1
	s_or_saveexec_b64 s[14:15], s[14:15]
	v_mov_b32_e32 v47, v44
	s_xor_b64 exec, exec, s[14:15]
	s_cbranch_execz .LBB86_94
; %bb.93:                               ;   in Loop: Header=BB86_2 Depth=1
	ds_read_u8 v47, v48 offset:1
	s_waitcnt lgkmcnt(1)
	v_mov_b32_e32 v46, v45
.LBB86_94:                              ;   in Loop: Header=BB86_2 Depth=1
	s_or_b64 exec, exec, s[14:15]
	v_add_u32_e32 v51, 1, v49
	v_add_u32_e32 v50, 1, v48
	v_cndmask_b32_e64 v51, v51, v49, s[12:13]
	v_cndmask_b32_e64 v48, v48, v50, s[12:13]
	v_cmp_ge_i32_e64 s[16:17], v51, v2
	s_waitcnt lgkmcnt(0)
	v_cmp_lt_u16_sdwa s[28:29], v47, v46 src0_sel:BYTE_0 src1_sel:BYTE_0
	v_cmp_gt_i32_e64 s[14:15], s27, v48
	s_or_b64 s[16:17], s[16:17], s[28:29]
	s_and_b64 s[14:15], s[14:15], s[16:17]
	s_xor_b64 s[16:17], s[14:15], -1
                                        ; implicit-def: $vgpr49
                                        ; implicit-def: $vgpr50
	s_and_saveexec_b64 s[28:29], s[16:17]
	s_xor_b64 s[16:17], exec, s[28:29]
	s_cbranch_execz .LBB86_96
; %bb.95:                               ;   in Loop: Header=BB86_2 Depth=1
	ds_read_u8 v49, v51 offset:1
	v_add_u32_e32 v50, 1, v51
                                        ; implicit-def: $vgpr51
.LBB86_96:                              ;   in Loop: Header=BB86_2 Depth=1
	s_or_saveexec_b64 s[16:17], s[16:17]
	v_mov_b32_e32 v52, v47
	s_xor_b64 exec, exec, s[16:17]
	s_cbranch_execz .LBB86_1
; %bb.97:                               ;   in Loop: Header=BB86_2 Depth=1
	ds_read_u8 v52, v48 offset:1
	v_add_u32_e32 v48, 1, v48
	v_mov_b32_e32 v50, v51
	s_waitcnt lgkmcnt(1)
	v_mov_b32_e32 v49, v46
	s_branch .LBB86_1
.LBB86_98:
	s_add_u32 s0, s18, s20
	s_addc_u32 s1, s19, 0
	v_lshl_add_u64 v[0:1], s[0:1], 0, v[0:1]
	global_store_byte v[0:1], v42, off
	global_store_byte v[0:1], v43, off offset:64
	global_store_byte v[0:1], v44, off offset:128
	;; [unrolled: 1-line block ×3, first 2 shown]
	s_endpgm
	.section	.rodata,"a",@progbits
	.p2align	6, 0x0
	.amdhsa_kernel _Z16sort_keys_kernelIhLj64ELj4EN10test_utils4lessELj10EEvPKT_PS2_T2_
		.amdhsa_group_segment_fixed_size 257
		.amdhsa_private_segment_fixed_size 0
		.amdhsa_kernarg_size 20
		.amdhsa_user_sgpr_count 2
		.amdhsa_user_sgpr_dispatch_ptr 0
		.amdhsa_user_sgpr_queue_ptr 0
		.amdhsa_user_sgpr_kernarg_segment_ptr 1
		.amdhsa_user_sgpr_dispatch_id 0
		.amdhsa_user_sgpr_kernarg_preload_length 0
		.amdhsa_user_sgpr_kernarg_preload_offset 0
		.amdhsa_user_sgpr_private_segment_size 0
		.amdhsa_uses_dynamic_stack 0
		.amdhsa_enable_private_segment 0
		.amdhsa_system_sgpr_workgroup_id_x 1
		.amdhsa_system_sgpr_workgroup_id_y 0
		.amdhsa_system_sgpr_workgroup_id_z 0
		.amdhsa_system_sgpr_workgroup_info 0
		.amdhsa_system_vgpr_workitem_id 0
		.amdhsa_next_free_vgpr 53
		.amdhsa_next_free_sgpr 30
		.amdhsa_accum_offset 56
		.amdhsa_reserve_vcc 1
		.amdhsa_float_round_mode_32 0
		.amdhsa_float_round_mode_16_64 0
		.amdhsa_float_denorm_mode_32 3
		.amdhsa_float_denorm_mode_16_64 3
		.amdhsa_dx10_clamp 1
		.amdhsa_ieee_mode 1
		.amdhsa_fp16_overflow 0
		.amdhsa_tg_split 0
		.amdhsa_exception_fp_ieee_invalid_op 0
		.amdhsa_exception_fp_denorm_src 0
		.amdhsa_exception_fp_ieee_div_zero 0
		.amdhsa_exception_fp_ieee_overflow 0
		.amdhsa_exception_fp_ieee_underflow 0
		.amdhsa_exception_fp_ieee_inexact 0
		.amdhsa_exception_int_div_zero 0
	.end_amdhsa_kernel
	.section	.text._Z16sort_keys_kernelIhLj64ELj4EN10test_utils4lessELj10EEvPKT_PS2_T2_,"axG",@progbits,_Z16sort_keys_kernelIhLj64ELj4EN10test_utils4lessELj10EEvPKT_PS2_T2_,comdat
.Lfunc_end86:
	.size	_Z16sort_keys_kernelIhLj64ELj4EN10test_utils4lessELj10EEvPKT_PS2_T2_, .Lfunc_end86-_Z16sort_keys_kernelIhLj64ELj4EN10test_utils4lessELj10EEvPKT_PS2_T2_
                                        ; -- End function
	.section	.AMDGPU.csdata,"",@progbits
; Kernel info:
; codeLenInByte = 4688
; NumSgprs: 36
; NumVgprs: 53
; NumAgprs: 0
; TotalNumVgprs: 53
; ScratchSize: 0
; MemoryBound: 0
; FloatMode: 240
; IeeeMode: 1
; LDSByteSize: 257 bytes/workgroup (compile time only)
; SGPRBlocks: 4
; VGPRBlocks: 6
; NumSGPRsForWavesPerEU: 36
; NumVGPRsForWavesPerEU: 53
; AccumOffset: 56
; Occupancy: 8
; WaveLimiterHint : 0
; COMPUTE_PGM_RSRC2:SCRATCH_EN: 0
; COMPUTE_PGM_RSRC2:USER_SGPR: 2
; COMPUTE_PGM_RSRC2:TRAP_HANDLER: 0
; COMPUTE_PGM_RSRC2:TGID_X_EN: 1
; COMPUTE_PGM_RSRC2:TGID_Y_EN: 0
; COMPUTE_PGM_RSRC2:TGID_Z_EN: 0
; COMPUTE_PGM_RSRC2:TIDIG_COMP_CNT: 0
; COMPUTE_PGM_RSRC3_GFX90A:ACCUM_OFFSET: 13
; COMPUTE_PGM_RSRC3_GFX90A:TG_SPLIT: 0
	.section	.text._Z17sort_pairs_kernelIhLj64ELj4EN10test_utils4lessELj10EEvPKT_PS2_T2_,"axG",@progbits,_Z17sort_pairs_kernelIhLj64ELj4EN10test_utils4lessELj10EEvPKT_PS2_T2_,comdat
	.protected	_Z17sort_pairs_kernelIhLj64ELj4EN10test_utils4lessELj10EEvPKT_PS2_T2_ ; -- Begin function _Z17sort_pairs_kernelIhLj64ELj4EN10test_utils4lessELj10EEvPKT_PS2_T2_
	.globl	_Z17sort_pairs_kernelIhLj64ELj4EN10test_utils4lessELj10EEvPKT_PS2_T2_
	.p2align	8
	.type	_Z17sort_pairs_kernelIhLj64ELj4EN10test_utils4lessELj10EEvPKT_PS2_T2_,@function
_Z17sort_pairs_kernelIhLj64ELj4EN10test_utils4lessELj10EEvPKT_PS2_T2_: ; @_Z17sort_pairs_kernelIhLj64ELj4EN10test_utils4lessELj10EEvPKT_PS2_T2_
; %bb.0:
	s_load_dwordx4 s[28:31], s[0:1], 0x0
	s_lshl_b32 s33, s2, 8
	v_lshlrev_b32_e32 v3, 2, v0
	v_and_b32_e32 v4, 0xf8, v3
	v_and_b32_e32 v6, 0xf0, v3
	s_waitcnt lgkmcnt(0)
	s_add_u32 s0, s28, s33
	s_addc_u32 s1, s29, 0
	global_load_ubyte v41, v0, s[0:1] offset:64
	global_load_ubyte v42, v0, s[0:1] offset:192
	global_load_ubyte v43, v0, s[0:1]
	global_load_ubyte v44, v0, s[0:1] offset:128
	v_or_b32_e32 v16, 4, v4
	v_add_u32_e32 v17, 8, v4
	v_and_b32_e32 v5, 4, v3
	v_and_b32_e32 v8, 0xe0, v3
	v_or_b32_e32 v18, 8, v6
	v_add_u32_e32 v19, 16, v6
	v_sub_u32_e32 v36, v17, v16
	v_and_b32_e32 v7, 12, v3
	v_and_b32_e32 v10, 0xc0, v3
	v_or_b32_e32 v20, 16, v8
	v_add_u32_e32 v21, 32, v8
	v_sub_u32_e32 v37, v19, v18
	v_sub_u32_e32 v45, v5, v36
	v_cmp_ge_i32_e64 s[0:1], v5, v36
	v_and_b32_e32 v9, 28, v3
	v_and_b32_e32 v12, 0x80, v3
	v_or_b32_e32 v22, 32, v10
	v_add_u32_e32 v23, 64, v10
	v_sub_u32_e32 v38, v21, v20
	v_sub_u32_e32 v46, v7, v37
	v_cndmask_b32_e64 v36, 0, v45, s[0:1]
	v_cmp_ge_i32_e64 s[0:1], v7, v37
	v_and_b32_e32 v11, 60, v3
	v_or_b32_e32 v24, 64, v12
	v_add_u32_e32 v25, 0x80, v12
	v_sub_u32_e32 v39, v23, v22
	v_sub_u32_e32 v47, v9, v38
	v_cndmask_b32_e64 v37, 0, v46, s[0:1]
	v_cmp_ge_i32_e64 s[0:1], v9, v38
	v_and_b32_e32 v13, 0x7c, v3
	v_sub_u32_e32 v40, v25, v24
	v_sub_u32_e32 v48, v11, v39
	v_cndmask_b32_e64 v38, 0, v47, s[0:1]
	v_cmp_ge_i32_e64 s[0:1], v11, v39
	s_movk_i32 s36, 0x100
	v_mov_b32_e32 v2, 0x80
	v_sub_u32_e32 v31, v16, v4
	v_sub_u32_e32 v32, v18, v6
	;; [unrolled: 1-line block ×6, first 2 shown]
	v_cndmask_b32_e64 v39, 0, v48, s[0:1]
	v_cmp_ge_i32_e64 s[0:1], v13, v40
	v_sub_u32_e64 v14, v3, v2 clamp
	v_min_i32_e32 v15, 0x80, v3
	v_min_i32_e32 v31, v5, v31
	;; [unrolled: 1-line block ×6, first 2 shown]
	v_cndmask_b32_e64 v40, 0, v49, s[0:1]
	s_mov_b32 s34, 0
	v_mov_b32_e32 v1, 0
	s_mov_b32 s35, 0xffff
	v_cmp_lt_i32_e32 vcc, v14, v15
	v_add_u32_e32 v26, v16, v5
	v_add_u32_e32 v27, v18, v7
	;; [unrolled: 1-line block ×5, first 2 shown]
	v_cmp_lt_i32_e64 s[0:1], v36, v31
	v_cmp_lt_i32_e64 s[2:3], v37, v32
	;; [unrolled: 1-line block ×5, first 2 shown]
	s_mov_b32 s37, 0x7060405
	s_mov_b32 s38, 0xc0c0001
	s_movk_i32 s39, 0xff00
	s_mov_b32 s40, 0xffff0000
	s_mov_b32 s41, 0x7050604
	s_waitcnt vmcnt(3)
	v_lshlrev_b16_e32 v41, 8, v41
	s_waitcnt vmcnt(2)
	v_lshlrev_b16_e32 v42, 8, v42
	s_waitcnt vmcnt(1)
	v_add_u16_e32 v45, 1, v43
	s_waitcnt vmcnt(0)
	v_add_u16_e32 v46, 1, v44
	v_or_b32_e32 v43, v43, v41
	v_or_b32_sdwa v44, v44, v42 dst_sel:WORD_1 dst_unused:UNUSED_PAD src0_sel:DWORD src1_sel:DWORD
	v_or_b32_sdwa v41, v41, v45 dst_sel:DWORD dst_unused:UNUSED_PAD src0_sel:DWORD src1_sel:BYTE_0
	v_or_b32_sdwa v42, v42, v46 dst_sel:DWORD dst_unused:UNUSED_PAD src0_sel:DWORD src1_sel:BYTE_0
	v_add_u16_e32 v41, 0x100, v41
	v_add_u16_sdwa v42, v42, s36 dst_sel:WORD_1 dst_unused:UNUSED_PAD src0_sel:DWORD src1_sel:DWORD
	v_or_b32_sdwa v43, v43, v44 dst_sel:DWORD dst_unused:UNUSED_PAD src0_sel:WORD_0 src1_sel:DWORD
	v_or_b32_e32 v42, v41, v42
	v_add_u32_e32 v41, 0x80, v3
	s_branch .LBB87_2
.LBB87_1:                               ;   in Loop: Header=BB87_2 Depth=1
	s_or_b64 exec, exec, s[16:17]
	v_cndmask_b32_e64 v48, v48, v49, s[10:11]
	v_cndmask_b32_e64 v49, v51, v50, s[12:13]
	;; [unrolled: 1-line block ×4, first 2 shown]
	v_cmp_ge_i32_e64 s[12:13], v57, v2
	s_waitcnt lgkmcnt(0)
	v_cmp_lt_u16_sdwa s[14:15], v61, v58 src0_sel:BYTE_0 src1_sel:BYTE_0
	v_cndmask_b32_e64 v47, v46, v47, s[10:11]
	v_cmp_gt_i32_e64 s[10:11], s36, v56
	s_or_b64 s[12:13], s[12:13], s[14:15]
	s_and_b64 s[10:11], s[10:11], s[12:13]
	v_cndmask_b32_e64 v53, v57, v56, s[10:11]
	s_waitcnt lgkmcnt(0)
	; wave barrier
	ds_write_b8 v3, v43
	ds_write_b8 v3, v44 offset:1
	ds_write_b8 v3, v45 offset:2
	;; [unrolled: 1-line block ×3, first 2 shown]
	s_waitcnt lgkmcnt(0)
	; wave barrier
	s_waitcnt lgkmcnt(0)
	ds_read_u8 v44, v59
	ds_read_u8 v45, v53
	;; [unrolled: 1-line block ×4, first 2 shown]
	v_cndmask_b32_e64 v46, v58, v61, s[10:11]
	v_lshlrev_b16_e32 v52, 8, v49
	v_lshlrev_b16_e32 v43, 8, v46
	v_or_b32_sdwa v42, v48, v52 dst_sel:DWORD dst_unused:UNUSED_PAD src0_sel:BYTE_0 src1_sel:DWORD
	v_or_b32_sdwa v43, v50, v43 dst_sel:WORD_1 dst_unused:UNUSED_PAD src0_sel:BYTE_0 src1_sel:DWORD
	s_waitcnt lgkmcnt(2)
	v_lshlrev_b16_e32 v52, 8, v45
	v_or_b32_sdwa v43, v42, v43 dst_sel:DWORD dst_unused:UNUSED_PAD src0_sel:WORD_0 src1_sel:DWORD
	s_waitcnt lgkmcnt(0)
	v_lshlrev_b16_e32 v42, 8, v51
	v_or_b32_e32 v42, v47, v42
	v_or_b32_sdwa v52, v44, v52 dst_sel:WORD_1 dst_unused:UNUSED_PAD src0_sel:DWORD src1_sel:DWORD
	s_add_i32 s34, s34, 1
	s_cmp_eq_u32 s34, 10
	v_or_b32_sdwa v42, v42, v52 dst_sel:DWORD dst_unused:UNUSED_PAD src0_sel:WORD_0 src1_sel:DWORD
	s_cbranch_scc1 .LBB87_98
.LBB87_2:                               ; =>This Loop Header: Depth=1
                                        ;     Child Loop BB87_4 Depth 2
                                        ;     Child Loop BB87_20 Depth 2
	;; [unrolled: 1-line block ×6, first 2 shown]
	v_lshrrev_b32_e32 v45, 8, v43
	v_perm_b32 v44, v43, v43, s37
	v_cmp_lt_u16_sdwa s[10:11], v45, v43 src0_sel:BYTE_0 src1_sel:BYTE_0
	s_waitcnt lgkmcnt(0)
	; wave barrier
	s_nop 0
	v_cndmask_b32_e64 v43, v43, v44, s[10:11]
	v_lshrrev_b32_e32 v44, 16, v43
	v_perm_b32 v45, 0, v44, s38
	v_lshlrev_b32_e32 v45, 16, v45
	v_and_or_b32 v45, v43, s35, v45
	v_cmp_lt_u16_sdwa s[12:13], v43, v44 src0_sel:BYTE_3 src1_sel:BYTE_0
	s_nop 1
	v_cndmask_b32_e64 v45, v43, v45, s[12:13]
	v_min_u16_sdwa v43, v43, v44 dst_sel:DWORD dst_unused:UNUSED_PAD src0_sel:BYTE_3 src1_sel:BYTE_0
	v_and_b32_sdwa v46, v45, s39 dst_sel:DWORD dst_unused:UNUSED_PAD src0_sel:WORD_1 src1_sel:DWORD
	v_lshlrev_b16_e32 v47, 8, v43
	v_or_b32_sdwa v46, v45, v46 dst_sel:WORD_1 dst_unused:UNUSED_PAD src0_sel:BYTE_1 src1_sel:DWORD
	v_lshrrev_b32_e32 v44, 8, v45
	v_or_b32_sdwa v47, v45, v47 dst_sel:DWORD dst_unused:UNUSED_PAD src0_sel:BYTE_0 src1_sel:DWORD
	v_or_b32_sdwa v46, v47, v46 dst_sel:DWORD dst_unused:UNUSED_PAD src0_sel:WORD_0 src1_sel:DWORD
	v_cmp_lt_u16_sdwa s[14:15], v43, v44 src0_sel:DWORD src1_sel:BYTE_0
	v_min_u16_sdwa v43, v43, v44 dst_sel:DWORD dst_unused:UNUSED_PAD src0_sel:DWORD src1_sel:BYTE_0
	s_nop 0
	v_cndmask_b32_e64 v45, v45, v46, s[14:15]
	v_lshlrev_b16_e32 v46, 8, v45
	v_or_b32_e32 v44, v43, v46
	v_and_b32_e32 v44, 0xffff, v44
	v_and_or_b32 v44, v45, s40, v44
	v_cmp_lt_u16_sdwa s[16:17], v43, v45 src0_sel:DWORD src1_sel:BYTE_0
	s_nop 1
	v_cndmask_b32_e64 v43, v45, v44, s[16:17]
	v_lshrrev_b32_e32 v44, 16, v43
	v_perm_b32 v45, 0, v44, s38
	v_lshlrev_b32_e32 v45, 16, v45
	v_and_or_b32 v45, v43, s35, v45
	v_cmp_lt_u16_sdwa s[18:19], v43, v44 src0_sel:BYTE_3 src1_sel:BYTE_0
	s_nop 1
	v_cndmask_b32_e64 v45, v43, v45, s[18:19]
	v_min_u16_sdwa v43, v43, v44 dst_sel:DWORD dst_unused:UNUSED_PAD src0_sel:BYTE_3 src1_sel:BYTE_0
	v_and_b32_sdwa v46, v45, s39 dst_sel:DWORD dst_unused:UNUSED_PAD src0_sel:WORD_1 src1_sel:DWORD
	v_lshlrev_b16_e32 v47, 8, v43
	v_or_b32_sdwa v46, v45, v46 dst_sel:WORD_1 dst_unused:UNUSED_PAD src0_sel:BYTE_1 src1_sel:DWORD
	v_lshrrev_b32_e32 v44, 8, v45
	v_or_b32_sdwa v47, v45, v47 dst_sel:DWORD dst_unused:UNUSED_PAD src0_sel:BYTE_0 src1_sel:DWORD
	v_or_b32_sdwa v46, v47, v46 dst_sel:DWORD dst_unused:UNUSED_PAD src0_sel:WORD_0 src1_sel:DWORD
	v_cmp_lt_u16_sdwa s[20:21], v43, v44 src0_sel:DWORD src1_sel:BYTE_0
	v_mov_b32_e32 v44, v36
	s_nop 0
	v_cndmask_b32_e64 v43, v45, v46, s[20:21]
	ds_write_b32 v3, v43
	s_waitcnt lgkmcnt(0)
	; wave barrier
	s_waitcnt lgkmcnt(0)
	s_and_saveexec_b64 s[24:25], s[0:1]
	s_cbranch_execz .LBB87_6
; %bb.3:                                ;   in Loop: Header=BB87_2 Depth=1
	s_mov_b64 s[26:27], 0
	v_mov_b32_e32 v44, v36
	v_mov_b32_e32 v43, v31
.LBB87_4:                               ;   Parent Loop BB87_2 Depth=1
                                        ; =>  This Inner Loop Header: Depth=2
	v_sub_u32_e32 v45, v43, v44
	v_lshrrev_b32_e32 v46, 31, v45
	v_add_u32_e32 v45, v45, v46
	v_ashrrev_i32_e32 v45, 1, v45
	v_add_u32_e32 v45, v45, v44
	v_not_b32_e32 v47, v45
	v_add_u32_e32 v46, v4, v45
	v_add3_u32 v47, v5, v47, v16
	ds_read_u8 v46, v46
	ds_read_u8 v47, v47
	v_add_u32_e32 v48, 1, v45
	s_waitcnt lgkmcnt(0)
	v_cmp_lt_u16_e64 s[22:23], v47, v46
	s_nop 1
	v_cndmask_b32_e64 v43, v43, v45, s[22:23]
	v_cndmask_b32_e64 v44, v48, v44, s[22:23]
	v_cmp_ge_i32_e64 s[22:23], v44, v43
	s_or_b64 s[26:27], s[22:23], s[26:27]
	s_andn2_b64 exec, exec, s[26:27]
	s_cbranch_execnz .LBB87_4
; %bb.5:                                ;   in Loop: Header=BB87_2 Depth=1
	s_or_b64 exec, exec, s[26:27]
.LBB87_6:                               ;   in Loop: Header=BB87_2 Depth=1
	s_or_b64 exec, exec, s[24:25]
	v_add_u32_e32 v43, v44, v4
	v_sub_u32_e32 v44, v26, v44
	ds_read_u8 v45, v43
	ds_read_u8 v46, v44
	v_cmp_le_i32_e64 s[24:25], v16, v43
	v_cmp_gt_i32_e64 s[22:23], v17, v44
                                        ; implicit-def: $vgpr47
                                        ; implicit-def: $vgpr48
	s_waitcnt lgkmcnt(0)
	v_cmp_lt_u16_sdwa s[26:27], v46, v45 src0_sel:BYTE_0 src1_sel:BYTE_0
	s_or_b64 s[24:25], s[24:25], s[26:27]
	s_and_b64 s[22:23], s[22:23], s[24:25]
	s_xor_b64 s[24:25], s[22:23], -1
	s_and_saveexec_b64 s[26:27], s[24:25]
	s_xor_b64 s[24:25], exec, s[26:27]
	s_cbranch_execz .LBB87_8
; %bb.7:                                ;   in Loop: Header=BB87_2 Depth=1
	ds_read_u8 v48, v43 offset:1
	v_mov_b32_e32 v47, v46
.LBB87_8:                               ;   in Loop: Header=BB87_2 Depth=1
	s_andn2_saveexec_b64 s[24:25], s[24:25]
	s_cbranch_execz .LBB87_10
; %bb.9:                                ;   in Loop: Header=BB87_2 Depth=1
	ds_read_u8 v47, v44 offset:1
	s_waitcnt lgkmcnt(1)
	v_mov_b32_e32 v48, v45
.LBB87_10:                              ;   in Loop: Header=BB87_2 Depth=1
	s_or_b64 exec, exec, s[24:25]
	v_add_u32_e32 v50, 1, v43
	v_add_u32_e32 v49, 1, v44
	v_cndmask_b32_e64 v50, v50, v43, s[22:23]
	v_cndmask_b32_e64 v49, v44, v49, s[22:23]
	v_cmp_ge_i32_e64 s[26:27], v50, v16
	s_waitcnt lgkmcnt(0)
	v_cmp_lt_u16_sdwa s[28:29], v47, v48 src0_sel:BYTE_0 src1_sel:BYTE_0
	v_cmp_lt_i32_e64 s[24:25], v49, v17
	s_or_b64 s[26:27], s[26:27], s[28:29]
	s_and_b64 s[24:25], s[24:25], s[26:27]
	s_xor_b64 s[26:27], s[24:25], -1
                                        ; implicit-def: $vgpr51
	s_and_saveexec_b64 s[28:29], s[26:27]
	s_xor_b64 s[26:27], exec, s[28:29]
	s_cbranch_execz .LBB87_12
; %bb.11:                               ;   in Loop: Header=BB87_2 Depth=1
	ds_read_u8 v51, v50 offset:1
.LBB87_12:                              ;   in Loop: Header=BB87_2 Depth=1
	s_or_saveexec_b64 s[26:27], s[26:27]
	v_mov_b32_e32 v53, v47
	s_xor_b64 exec, exec, s[26:27]
	s_cbranch_execz .LBB87_14
; %bb.13:                               ;   in Loop: Header=BB87_2 Depth=1
	ds_read_u8 v53, v49 offset:1
	s_waitcnt lgkmcnt(1)
	v_mov_b32_e32 v51, v48
.LBB87_14:                              ;   in Loop: Header=BB87_2 Depth=1
	s_or_b64 exec, exec, s[26:27]
	v_add_u32_e32 v55, 1, v50
	v_add_u32_e32 v52, 1, v49
	v_cndmask_b32_e64 v56, v55, v50, s[24:25]
	v_cndmask_b32_e64 v54, v49, v52, s[24:25]
	v_cmp_ge_i32_e64 s[28:29], v56, v16
	s_waitcnt lgkmcnt(0)
	v_cmp_lt_u16_sdwa s[42:43], v53, v51 src0_sel:BYTE_0 src1_sel:BYTE_0
	v_cmp_lt_i32_e64 s[26:27], v54, v17
	s_or_b64 s[28:29], s[28:29], s[42:43]
	s_and_b64 s[26:27], s[26:27], s[28:29]
	s_xor_b64 s[28:29], s[26:27], -1
                                        ; implicit-def: $vgpr52
	s_and_saveexec_b64 s[42:43], s[28:29]
	s_xor_b64 s[28:29], exec, s[42:43]
	s_cbranch_execz .LBB87_16
; %bb.15:                               ;   in Loop: Header=BB87_2 Depth=1
	ds_read_u8 v52, v56 offset:1
.LBB87_16:                              ;   in Loop: Header=BB87_2 Depth=1
	s_or_saveexec_b64 s[28:29], s[28:29]
	v_mov_b32_e32 v55, v53
	s_xor_b64 exec, exec, s[28:29]
	s_cbranch_execz .LBB87_18
; %bb.17:                               ;   in Loop: Header=BB87_2 Depth=1
	ds_read_u8 v55, v54 offset:1
	s_waitcnt lgkmcnt(1)
	v_mov_b32_e32 v52, v51
.LBB87_18:                              ;   in Loop: Header=BB87_2 Depth=1
	s_or_b64 exec, exec, s[28:29]
	v_perm_b32 v57, v42, v42, s37
	v_cndmask_b32_e64 v42, v42, v57, s[10:11]
	v_cndmask_b32_e64 v43, v43, v44, s[22:23]
	v_lshrrev_b32_e32 v44, 16, v42
	v_perm_b32 v44, 0, v44, s38
	v_lshlrev_b32_e32 v44, 16, v44
	v_and_or_b32 v44, v42, s35, v44
	v_cndmask_b32_e64 v42, v42, v44, s[12:13]
	v_perm_b32 v44, v42, v42, s41
	v_cndmask_b32_e64 v42, v42, v44, s[14:15]
	v_perm_b32 v44, 0, v42, s38
	v_and_or_b32 v44, v42, s40, v44
	v_cndmask_b32_e64 v42, v42, v44, s[16:17]
	v_lshrrev_b32_e32 v44, 16, v42
	v_add_u32_e32 v58, 1, v56
	v_perm_b32 v44, 0, v44, s38
	v_cndmask_b32_e64 v51, v51, v53, s[26:27]
	v_add_u32_e32 v53, 1, v54
	v_cndmask_b32_e64 v58, v58, v56, s[26:27]
	v_lshlrev_b32_e32 v44, 16, v44
	v_cndmask_b32_e64 v53, v54, v53, s[26:27]
	v_and_or_b32 v44, v42, s35, v44
	v_cmp_ge_i32_e64 s[12:13], v58, v16
	s_waitcnt lgkmcnt(0)
	v_cmp_lt_u16_sdwa s[14:15], v55, v52 src0_sel:BYTE_0 src1_sel:BYTE_0
	v_cndmask_b32_e64 v42, v42, v44, s[18:19]
	v_cmp_lt_i32_e64 s[10:11], v53, v17
	s_or_b64 s[12:13], s[12:13], s[14:15]
	v_perm_b32 v44, v42, v42, s41
	s_and_b64 s[10:11], s[10:11], s[12:13]
	v_cndmask_b32_e64 v42, v42, v44, s[20:21]
	v_cndmask_b32_e64 v44, v58, v53, s[10:11]
	;; [unrolled: 1-line block ×6, first 2 shown]
	s_waitcnt lgkmcnt(0)
	; wave barrier
	ds_write_b32 v3, v42
	s_waitcnt lgkmcnt(0)
	; wave barrier
	s_waitcnt lgkmcnt(0)
	ds_read_u8 v42, v44
	ds_read_u8 v43, v43
	;; [unrolled: 1-line block ×4, first 2 shown]
	v_cndmask_b32_e64 v49, v52, v55, s[10:11]
	s_waitcnt lgkmcnt(0)
	; wave barrier
	s_waitcnt lgkmcnt(0)
	ds_write_b8 v3, v46
	ds_write_b8 v3, v47 offset:1
	ds_write_b8 v3, v51 offset:2
	;; [unrolled: 1-line block ×3, first 2 shown]
	v_mov_b32_e32 v47, v37
	s_waitcnt lgkmcnt(0)
	; wave barrier
	s_waitcnt lgkmcnt(0)
	s_and_saveexec_b64 s[12:13], s[2:3]
	s_cbranch_execz .LBB87_22
; %bb.19:                               ;   in Loop: Header=BB87_2 Depth=1
	s_mov_b64 s[14:15], 0
	v_mov_b32_e32 v47, v37
	v_mov_b32_e32 v46, v32
.LBB87_20:                              ;   Parent Loop BB87_2 Depth=1
                                        ; =>  This Inner Loop Header: Depth=2
	v_sub_u32_e32 v48, v46, v47
	v_lshrrev_b32_e32 v49, 31, v48
	v_add_u32_e32 v48, v48, v49
	v_ashrrev_i32_e32 v48, 1, v48
	v_add_u32_e32 v48, v48, v47
	v_not_b32_e32 v50, v48
	v_add_u32_e32 v49, v6, v48
	v_add3_u32 v50, v7, v50, v18
	ds_read_u8 v49, v49
	ds_read_u8 v50, v50
	v_add_u32_e32 v51, 1, v48
	s_waitcnt lgkmcnt(0)
	v_cmp_lt_u16_e64 s[10:11], v50, v49
	s_nop 1
	v_cndmask_b32_e64 v46, v46, v48, s[10:11]
	v_cndmask_b32_e64 v47, v51, v47, s[10:11]
	v_cmp_ge_i32_e64 s[10:11], v47, v46
	s_or_b64 s[14:15], s[10:11], s[14:15]
	s_andn2_b64 exec, exec, s[14:15]
	s_cbranch_execnz .LBB87_20
; %bb.21:                               ;   in Loop: Header=BB87_2 Depth=1
	s_or_b64 exec, exec, s[14:15]
.LBB87_22:                              ;   in Loop: Header=BB87_2 Depth=1
	s_or_b64 exec, exec, s[12:13]
	v_add_u32_e32 v46, v47, v6
	v_sub_u32_e32 v47, v27, v47
	ds_read_u8 v48, v46
	ds_read_u8 v49, v47
	v_cmp_le_i32_e64 s[12:13], v18, v46
	v_cmp_gt_i32_e64 s[10:11], v19, v47
                                        ; implicit-def: $vgpr50
                                        ; implicit-def: $vgpr51
	s_waitcnt lgkmcnt(0)
	v_cmp_lt_u16_sdwa s[14:15], v49, v48 src0_sel:BYTE_0 src1_sel:BYTE_0
	s_or_b64 s[12:13], s[12:13], s[14:15]
	s_and_b64 s[10:11], s[10:11], s[12:13]
	s_xor_b64 s[12:13], s[10:11], -1
	s_and_saveexec_b64 s[14:15], s[12:13]
	s_xor_b64 s[12:13], exec, s[14:15]
	s_cbranch_execz .LBB87_24
; %bb.23:                               ;   in Loop: Header=BB87_2 Depth=1
	ds_read_u8 v51, v46 offset:1
	v_mov_b32_e32 v50, v49
.LBB87_24:                              ;   in Loop: Header=BB87_2 Depth=1
	s_andn2_saveexec_b64 s[12:13], s[12:13]
	s_cbranch_execz .LBB87_26
; %bb.25:                               ;   in Loop: Header=BB87_2 Depth=1
	ds_read_u8 v50, v47 offset:1
	s_waitcnt lgkmcnt(1)
	v_mov_b32_e32 v51, v48
.LBB87_26:                              ;   in Loop: Header=BB87_2 Depth=1
	s_or_b64 exec, exec, s[12:13]
	v_add_u32_e32 v53, 1, v46
	v_add_u32_e32 v52, 1, v47
	v_cndmask_b32_e64 v53, v53, v46, s[10:11]
	v_cndmask_b32_e64 v52, v47, v52, s[10:11]
	v_cmp_ge_i32_e64 s[14:15], v53, v18
	s_waitcnt lgkmcnt(0)
	v_cmp_lt_u16_sdwa s[16:17], v50, v51 src0_sel:BYTE_0 src1_sel:BYTE_0
	v_cmp_lt_i32_e64 s[12:13], v52, v19
	s_or_b64 s[14:15], s[14:15], s[16:17]
	s_and_b64 s[12:13], s[12:13], s[14:15]
	s_xor_b64 s[14:15], s[12:13], -1
                                        ; implicit-def: $vgpr54
	s_and_saveexec_b64 s[16:17], s[14:15]
	s_xor_b64 s[14:15], exec, s[16:17]
	s_cbranch_execz .LBB87_28
; %bb.27:                               ;   in Loop: Header=BB87_2 Depth=1
	ds_read_u8 v54, v53 offset:1
.LBB87_28:                              ;   in Loop: Header=BB87_2 Depth=1
	s_or_saveexec_b64 s[14:15], s[14:15]
	v_mov_b32_e32 v55, v50
	s_xor_b64 exec, exec, s[14:15]
	s_cbranch_execz .LBB87_30
; %bb.29:                               ;   in Loop: Header=BB87_2 Depth=1
	ds_read_u8 v55, v52 offset:1
	s_waitcnt lgkmcnt(1)
	v_mov_b32_e32 v54, v51
.LBB87_30:                              ;   in Loop: Header=BB87_2 Depth=1
	s_or_b64 exec, exec, s[14:15]
	v_add_u32_e32 v57, 1, v53
	v_add_u32_e32 v56, 1, v52
	v_cndmask_b32_e64 v57, v57, v53, s[12:13]
	v_cndmask_b32_e64 v56, v52, v56, s[12:13]
	v_cmp_ge_i32_e64 s[16:17], v57, v18
	s_waitcnt lgkmcnt(0)
	v_cmp_lt_u16_sdwa s[18:19], v55, v54 src0_sel:BYTE_0 src1_sel:BYTE_0
	v_cmp_lt_i32_e64 s[14:15], v56, v19
	s_or_b64 s[16:17], s[16:17], s[18:19]
	s_and_b64 s[14:15], s[14:15], s[16:17]
	s_xor_b64 s[16:17], s[14:15], -1
                                        ; implicit-def: $vgpr58
	s_and_saveexec_b64 s[18:19], s[16:17]
	s_xor_b64 s[16:17], exec, s[18:19]
	s_cbranch_execz .LBB87_32
; %bb.31:                               ;   in Loop: Header=BB87_2 Depth=1
	ds_read_u8 v58, v57 offset:1
.LBB87_32:                              ;   in Loop: Header=BB87_2 Depth=1
	s_or_saveexec_b64 s[16:17], s[16:17]
	v_mov_b32_e32 v59, v55
	s_xor_b64 exec, exec, s[16:17]
	s_cbranch_execz .LBB87_34
; %bb.33:                               ;   in Loop: Header=BB87_2 Depth=1
	ds_read_u8 v59, v56 offset:1
	s_waitcnt lgkmcnt(1)
	v_mov_b32_e32 v58, v54
.LBB87_34:                              ;   in Loop: Header=BB87_2 Depth=1
	s_or_b64 exec, exec, s[16:17]
	v_add_u32_e32 v60, 1, v57
	v_cndmask_b32_e64 v54, v54, v55, s[14:15]
	v_add_u32_e32 v55, 1, v56
	v_cndmask_b32_e64 v60, v60, v57, s[14:15]
	v_cndmask_b32_e64 v55, v56, v55, s[14:15]
	v_cndmask_b32_e64 v56, v57, v56, s[14:15]
	v_cndmask_b32_e64 v50, v51, v50, s[12:13]
	v_cndmask_b32_e64 v51, v53, v52, s[12:13]
	v_cmp_ge_i32_e64 s[12:13], v60, v18
	s_waitcnt lgkmcnt(0)
	v_cmp_lt_u16_sdwa s[14:15], v59, v58 src0_sel:BYTE_0 src1_sel:BYTE_0
	v_cndmask_b32_e64 v48, v48, v49, s[10:11]
	v_cndmask_b32_e64 v46, v46, v47, s[10:11]
	v_cmp_lt_i32_e64 s[10:11], v55, v19
	s_or_b64 s[12:13], s[12:13], s[14:15]
	s_and_b64 s[10:11], s[10:11], s[12:13]
	v_cndmask_b32_e64 v49, v60, v55, s[10:11]
	s_waitcnt lgkmcnt(0)
	; wave barrier
	ds_write_b8 v3, v43
	ds_write_b8 v3, v44 offset:1
	ds_write_b8 v3, v45 offset:2
	;; [unrolled: 1-line block ×3, first 2 shown]
	s_waitcnt lgkmcnt(0)
	; wave barrier
	s_waitcnt lgkmcnt(0)
	ds_read_u8 v42, v49
	ds_read_u8 v43, v46
	;; [unrolled: 1-line block ×4, first 2 shown]
	v_cndmask_b32_e64 v47, v58, v59, s[10:11]
	s_waitcnt lgkmcnt(0)
	; wave barrier
	s_waitcnt lgkmcnt(0)
	ds_write_b8 v3, v48
	ds_write_b8 v3, v50 offset:1
	ds_write_b8 v3, v54 offset:2
	;; [unrolled: 1-line block ×3, first 2 shown]
	v_mov_b32_e32 v47, v38
	s_waitcnt lgkmcnt(0)
	; wave barrier
	s_waitcnt lgkmcnt(0)
	s_and_saveexec_b64 s[12:13], s[4:5]
	s_cbranch_execz .LBB87_38
; %bb.35:                               ;   in Loop: Header=BB87_2 Depth=1
	s_mov_b64 s[14:15], 0
	v_mov_b32_e32 v47, v38
	v_mov_b32_e32 v46, v33
.LBB87_36:                              ;   Parent Loop BB87_2 Depth=1
                                        ; =>  This Inner Loop Header: Depth=2
	v_sub_u32_e32 v48, v46, v47
	v_lshrrev_b32_e32 v49, 31, v48
	v_add_u32_e32 v48, v48, v49
	v_ashrrev_i32_e32 v48, 1, v48
	v_add_u32_e32 v48, v48, v47
	v_not_b32_e32 v50, v48
	v_add_u32_e32 v49, v8, v48
	v_add3_u32 v50, v9, v50, v20
	ds_read_u8 v49, v49
	ds_read_u8 v50, v50
	v_add_u32_e32 v51, 1, v48
	s_waitcnt lgkmcnt(0)
	v_cmp_lt_u16_e64 s[10:11], v50, v49
	s_nop 1
	v_cndmask_b32_e64 v46, v46, v48, s[10:11]
	v_cndmask_b32_e64 v47, v51, v47, s[10:11]
	v_cmp_ge_i32_e64 s[10:11], v47, v46
	s_or_b64 s[14:15], s[10:11], s[14:15]
	s_andn2_b64 exec, exec, s[14:15]
	s_cbranch_execnz .LBB87_36
; %bb.37:                               ;   in Loop: Header=BB87_2 Depth=1
	s_or_b64 exec, exec, s[14:15]
.LBB87_38:                              ;   in Loop: Header=BB87_2 Depth=1
	s_or_b64 exec, exec, s[12:13]
	v_add_u32_e32 v46, v47, v8
	v_sub_u32_e32 v47, v28, v47
	ds_read_u8 v48, v46
	ds_read_u8 v49, v47
	v_cmp_le_i32_e64 s[12:13], v20, v46
	v_cmp_gt_i32_e64 s[10:11], v21, v47
                                        ; implicit-def: $vgpr50
                                        ; implicit-def: $vgpr51
	s_waitcnt lgkmcnt(0)
	v_cmp_lt_u16_sdwa s[14:15], v49, v48 src0_sel:BYTE_0 src1_sel:BYTE_0
	s_or_b64 s[12:13], s[12:13], s[14:15]
	s_and_b64 s[10:11], s[10:11], s[12:13]
	s_xor_b64 s[12:13], s[10:11], -1
	s_and_saveexec_b64 s[14:15], s[12:13]
	s_xor_b64 s[12:13], exec, s[14:15]
	s_cbranch_execz .LBB87_40
; %bb.39:                               ;   in Loop: Header=BB87_2 Depth=1
	ds_read_u8 v51, v46 offset:1
	v_mov_b32_e32 v50, v49
.LBB87_40:                              ;   in Loop: Header=BB87_2 Depth=1
	s_andn2_saveexec_b64 s[12:13], s[12:13]
	s_cbranch_execz .LBB87_42
; %bb.41:                               ;   in Loop: Header=BB87_2 Depth=1
	ds_read_u8 v50, v47 offset:1
	s_waitcnt lgkmcnt(1)
	v_mov_b32_e32 v51, v48
.LBB87_42:                              ;   in Loop: Header=BB87_2 Depth=1
	s_or_b64 exec, exec, s[12:13]
	v_add_u32_e32 v53, 1, v46
	v_add_u32_e32 v52, 1, v47
	v_cndmask_b32_e64 v53, v53, v46, s[10:11]
	v_cndmask_b32_e64 v52, v47, v52, s[10:11]
	v_cmp_ge_i32_e64 s[14:15], v53, v20
	s_waitcnt lgkmcnt(0)
	v_cmp_lt_u16_sdwa s[16:17], v50, v51 src0_sel:BYTE_0 src1_sel:BYTE_0
	v_cmp_lt_i32_e64 s[12:13], v52, v21
	s_or_b64 s[14:15], s[14:15], s[16:17]
	s_and_b64 s[12:13], s[12:13], s[14:15]
	s_xor_b64 s[14:15], s[12:13], -1
                                        ; implicit-def: $vgpr54
	s_and_saveexec_b64 s[16:17], s[14:15]
	s_xor_b64 s[14:15], exec, s[16:17]
	s_cbranch_execz .LBB87_44
; %bb.43:                               ;   in Loop: Header=BB87_2 Depth=1
	ds_read_u8 v54, v53 offset:1
.LBB87_44:                              ;   in Loop: Header=BB87_2 Depth=1
	s_or_saveexec_b64 s[14:15], s[14:15]
	v_mov_b32_e32 v55, v50
	s_xor_b64 exec, exec, s[14:15]
	s_cbranch_execz .LBB87_46
; %bb.45:                               ;   in Loop: Header=BB87_2 Depth=1
	ds_read_u8 v55, v52 offset:1
	s_waitcnt lgkmcnt(1)
	v_mov_b32_e32 v54, v51
.LBB87_46:                              ;   in Loop: Header=BB87_2 Depth=1
	s_or_b64 exec, exec, s[14:15]
	v_add_u32_e32 v57, 1, v53
	v_add_u32_e32 v56, 1, v52
	v_cndmask_b32_e64 v57, v57, v53, s[12:13]
	v_cndmask_b32_e64 v56, v52, v56, s[12:13]
	v_cmp_ge_i32_e64 s[16:17], v57, v20
	s_waitcnt lgkmcnt(0)
	v_cmp_lt_u16_sdwa s[18:19], v55, v54 src0_sel:BYTE_0 src1_sel:BYTE_0
	v_cmp_lt_i32_e64 s[14:15], v56, v21
	s_or_b64 s[16:17], s[16:17], s[18:19]
	s_and_b64 s[14:15], s[14:15], s[16:17]
	s_xor_b64 s[16:17], s[14:15], -1
                                        ; implicit-def: $vgpr58
	s_and_saveexec_b64 s[18:19], s[16:17]
	s_xor_b64 s[16:17], exec, s[18:19]
	s_cbranch_execz .LBB87_48
; %bb.47:                               ;   in Loop: Header=BB87_2 Depth=1
	ds_read_u8 v58, v57 offset:1
.LBB87_48:                              ;   in Loop: Header=BB87_2 Depth=1
	s_or_saveexec_b64 s[16:17], s[16:17]
	v_mov_b32_e32 v59, v55
	s_xor_b64 exec, exec, s[16:17]
	s_cbranch_execz .LBB87_50
; %bb.49:                               ;   in Loop: Header=BB87_2 Depth=1
	ds_read_u8 v59, v56 offset:1
	s_waitcnt lgkmcnt(1)
	v_mov_b32_e32 v58, v54
.LBB87_50:                              ;   in Loop: Header=BB87_2 Depth=1
	s_or_b64 exec, exec, s[16:17]
	v_add_u32_e32 v60, 1, v57
	v_cndmask_b32_e64 v54, v54, v55, s[14:15]
	v_add_u32_e32 v55, 1, v56
	v_cndmask_b32_e64 v60, v60, v57, s[14:15]
	v_cndmask_b32_e64 v55, v56, v55, s[14:15]
	;; [unrolled: 1-line block ×5, first 2 shown]
	v_cmp_ge_i32_e64 s[12:13], v60, v20
	s_waitcnt lgkmcnt(0)
	v_cmp_lt_u16_sdwa s[14:15], v59, v58 src0_sel:BYTE_0 src1_sel:BYTE_0
	v_cndmask_b32_e64 v48, v48, v49, s[10:11]
	v_cndmask_b32_e64 v46, v46, v47, s[10:11]
	v_cmp_lt_i32_e64 s[10:11], v55, v21
	s_or_b64 s[12:13], s[12:13], s[14:15]
	s_and_b64 s[10:11], s[10:11], s[12:13]
	v_cndmask_b32_e64 v49, v60, v55, s[10:11]
	s_waitcnt lgkmcnt(0)
	; wave barrier
	ds_write_b8 v3, v43
	ds_write_b8 v3, v44 offset:1
	ds_write_b8 v3, v45 offset:2
	;; [unrolled: 1-line block ×3, first 2 shown]
	s_waitcnt lgkmcnt(0)
	; wave barrier
	s_waitcnt lgkmcnt(0)
	ds_read_u8 v42, v49
	ds_read_u8 v43, v46
	;; [unrolled: 1-line block ×4, first 2 shown]
	v_cndmask_b32_e64 v47, v58, v59, s[10:11]
	s_waitcnt lgkmcnt(0)
	; wave barrier
	s_waitcnt lgkmcnt(0)
	ds_write_b8 v3, v48
	ds_write_b8 v3, v50 offset:1
	ds_write_b8 v3, v54 offset:2
	;; [unrolled: 1-line block ×3, first 2 shown]
	v_mov_b32_e32 v47, v39
	s_waitcnt lgkmcnt(0)
	; wave barrier
	s_waitcnt lgkmcnt(0)
	s_and_saveexec_b64 s[12:13], s[6:7]
	s_cbranch_execz .LBB87_54
; %bb.51:                               ;   in Loop: Header=BB87_2 Depth=1
	s_mov_b64 s[14:15], 0
	v_mov_b32_e32 v47, v39
	v_mov_b32_e32 v46, v34
.LBB87_52:                              ;   Parent Loop BB87_2 Depth=1
                                        ; =>  This Inner Loop Header: Depth=2
	v_sub_u32_e32 v48, v46, v47
	v_lshrrev_b32_e32 v49, 31, v48
	v_add_u32_e32 v48, v48, v49
	v_ashrrev_i32_e32 v48, 1, v48
	v_add_u32_e32 v48, v48, v47
	v_not_b32_e32 v50, v48
	v_add_u32_e32 v49, v10, v48
	v_add3_u32 v50, v11, v50, v22
	ds_read_u8 v49, v49
	ds_read_u8 v50, v50
	v_add_u32_e32 v51, 1, v48
	s_waitcnt lgkmcnt(0)
	v_cmp_lt_u16_e64 s[10:11], v50, v49
	s_nop 1
	v_cndmask_b32_e64 v46, v46, v48, s[10:11]
	v_cndmask_b32_e64 v47, v51, v47, s[10:11]
	v_cmp_ge_i32_e64 s[10:11], v47, v46
	s_or_b64 s[14:15], s[10:11], s[14:15]
	s_andn2_b64 exec, exec, s[14:15]
	s_cbranch_execnz .LBB87_52
; %bb.53:                               ;   in Loop: Header=BB87_2 Depth=1
	s_or_b64 exec, exec, s[14:15]
.LBB87_54:                              ;   in Loop: Header=BB87_2 Depth=1
	s_or_b64 exec, exec, s[12:13]
	v_add_u32_e32 v46, v47, v10
	v_sub_u32_e32 v47, v29, v47
	ds_read_u8 v48, v46
	ds_read_u8 v49, v47
	v_cmp_le_i32_e64 s[12:13], v22, v46
	v_cmp_gt_i32_e64 s[10:11], v23, v47
                                        ; implicit-def: $vgpr50
                                        ; implicit-def: $vgpr51
	s_waitcnt lgkmcnt(0)
	v_cmp_lt_u16_sdwa s[14:15], v49, v48 src0_sel:BYTE_0 src1_sel:BYTE_0
	s_or_b64 s[12:13], s[12:13], s[14:15]
	s_and_b64 s[10:11], s[10:11], s[12:13]
	s_xor_b64 s[12:13], s[10:11], -1
	s_and_saveexec_b64 s[14:15], s[12:13]
	s_xor_b64 s[12:13], exec, s[14:15]
	s_cbranch_execz .LBB87_56
; %bb.55:                               ;   in Loop: Header=BB87_2 Depth=1
	ds_read_u8 v51, v46 offset:1
	v_mov_b32_e32 v50, v49
.LBB87_56:                              ;   in Loop: Header=BB87_2 Depth=1
	s_andn2_saveexec_b64 s[12:13], s[12:13]
	s_cbranch_execz .LBB87_58
; %bb.57:                               ;   in Loop: Header=BB87_2 Depth=1
	ds_read_u8 v50, v47 offset:1
	s_waitcnt lgkmcnt(1)
	v_mov_b32_e32 v51, v48
.LBB87_58:                              ;   in Loop: Header=BB87_2 Depth=1
	s_or_b64 exec, exec, s[12:13]
	v_add_u32_e32 v53, 1, v46
	v_add_u32_e32 v52, 1, v47
	v_cndmask_b32_e64 v53, v53, v46, s[10:11]
	v_cndmask_b32_e64 v52, v47, v52, s[10:11]
	v_cmp_ge_i32_e64 s[14:15], v53, v22
	s_waitcnt lgkmcnt(0)
	v_cmp_lt_u16_sdwa s[16:17], v50, v51 src0_sel:BYTE_0 src1_sel:BYTE_0
	v_cmp_lt_i32_e64 s[12:13], v52, v23
	s_or_b64 s[14:15], s[14:15], s[16:17]
	s_and_b64 s[12:13], s[12:13], s[14:15]
	s_xor_b64 s[14:15], s[12:13], -1
                                        ; implicit-def: $vgpr54
	s_and_saveexec_b64 s[16:17], s[14:15]
	s_xor_b64 s[14:15], exec, s[16:17]
	s_cbranch_execz .LBB87_60
; %bb.59:                               ;   in Loop: Header=BB87_2 Depth=1
	ds_read_u8 v54, v53 offset:1
.LBB87_60:                              ;   in Loop: Header=BB87_2 Depth=1
	s_or_saveexec_b64 s[14:15], s[14:15]
	v_mov_b32_e32 v55, v50
	s_xor_b64 exec, exec, s[14:15]
	s_cbranch_execz .LBB87_62
; %bb.61:                               ;   in Loop: Header=BB87_2 Depth=1
	ds_read_u8 v55, v52 offset:1
	s_waitcnt lgkmcnt(1)
	v_mov_b32_e32 v54, v51
.LBB87_62:                              ;   in Loop: Header=BB87_2 Depth=1
	s_or_b64 exec, exec, s[14:15]
	v_add_u32_e32 v57, 1, v53
	v_add_u32_e32 v56, 1, v52
	v_cndmask_b32_e64 v57, v57, v53, s[12:13]
	v_cndmask_b32_e64 v56, v52, v56, s[12:13]
	v_cmp_ge_i32_e64 s[16:17], v57, v22
	s_waitcnt lgkmcnt(0)
	v_cmp_lt_u16_sdwa s[18:19], v55, v54 src0_sel:BYTE_0 src1_sel:BYTE_0
	v_cmp_lt_i32_e64 s[14:15], v56, v23
	s_or_b64 s[16:17], s[16:17], s[18:19]
	s_and_b64 s[14:15], s[14:15], s[16:17]
	s_xor_b64 s[16:17], s[14:15], -1
                                        ; implicit-def: $vgpr58
	s_and_saveexec_b64 s[18:19], s[16:17]
	s_xor_b64 s[16:17], exec, s[18:19]
	s_cbranch_execz .LBB87_64
; %bb.63:                               ;   in Loop: Header=BB87_2 Depth=1
	ds_read_u8 v58, v57 offset:1
.LBB87_64:                              ;   in Loop: Header=BB87_2 Depth=1
	s_or_saveexec_b64 s[16:17], s[16:17]
	v_mov_b32_e32 v59, v55
	s_xor_b64 exec, exec, s[16:17]
	s_cbranch_execz .LBB87_66
; %bb.65:                               ;   in Loop: Header=BB87_2 Depth=1
	ds_read_u8 v59, v56 offset:1
	s_waitcnt lgkmcnt(1)
	v_mov_b32_e32 v58, v54
.LBB87_66:                              ;   in Loop: Header=BB87_2 Depth=1
	s_or_b64 exec, exec, s[16:17]
	v_add_u32_e32 v60, 1, v57
	v_cndmask_b32_e64 v54, v54, v55, s[14:15]
	v_add_u32_e32 v55, 1, v56
	v_cndmask_b32_e64 v60, v60, v57, s[14:15]
	v_cndmask_b32_e64 v55, v56, v55, s[14:15]
	;; [unrolled: 1-line block ×5, first 2 shown]
	v_cmp_ge_i32_e64 s[12:13], v60, v22
	s_waitcnt lgkmcnt(0)
	v_cmp_lt_u16_sdwa s[14:15], v59, v58 src0_sel:BYTE_0 src1_sel:BYTE_0
	v_cndmask_b32_e64 v48, v48, v49, s[10:11]
	v_cndmask_b32_e64 v46, v46, v47, s[10:11]
	v_cmp_lt_i32_e64 s[10:11], v55, v23
	s_or_b64 s[12:13], s[12:13], s[14:15]
	s_and_b64 s[10:11], s[10:11], s[12:13]
	v_cndmask_b32_e64 v49, v60, v55, s[10:11]
	s_waitcnt lgkmcnt(0)
	; wave barrier
	ds_write_b8 v3, v43
	ds_write_b8 v3, v44 offset:1
	ds_write_b8 v3, v45 offset:2
	;; [unrolled: 1-line block ×3, first 2 shown]
	s_waitcnt lgkmcnt(0)
	; wave barrier
	s_waitcnt lgkmcnt(0)
	ds_read_u8 v42, v49
	ds_read_u8 v43, v46
	;; [unrolled: 1-line block ×4, first 2 shown]
	v_cndmask_b32_e64 v47, v58, v59, s[10:11]
	s_waitcnt lgkmcnt(0)
	; wave barrier
	s_waitcnt lgkmcnt(0)
	ds_write_b8 v3, v48
	ds_write_b8 v3, v50 offset:1
	ds_write_b8 v3, v54 offset:2
	;; [unrolled: 1-line block ×3, first 2 shown]
	v_mov_b32_e32 v47, v40
	s_waitcnt lgkmcnt(0)
	; wave barrier
	s_waitcnt lgkmcnt(0)
	s_and_saveexec_b64 s[12:13], s[8:9]
	s_cbranch_execz .LBB87_70
; %bb.67:                               ;   in Loop: Header=BB87_2 Depth=1
	s_mov_b64 s[14:15], 0
	v_mov_b32_e32 v47, v40
	v_mov_b32_e32 v46, v35
.LBB87_68:                              ;   Parent Loop BB87_2 Depth=1
                                        ; =>  This Inner Loop Header: Depth=2
	v_sub_u32_e32 v48, v46, v47
	v_lshrrev_b32_e32 v49, 31, v48
	v_add_u32_e32 v48, v48, v49
	v_ashrrev_i32_e32 v48, 1, v48
	v_add_u32_e32 v48, v48, v47
	v_not_b32_e32 v50, v48
	v_add_u32_e32 v49, v12, v48
	v_add3_u32 v50, v13, v50, v24
	ds_read_u8 v49, v49
	ds_read_u8 v50, v50
	v_add_u32_e32 v51, 1, v48
	s_waitcnt lgkmcnt(0)
	v_cmp_lt_u16_e64 s[10:11], v50, v49
	s_nop 1
	v_cndmask_b32_e64 v46, v46, v48, s[10:11]
	v_cndmask_b32_e64 v47, v51, v47, s[10:11]
	v_cmp_ge_i32_e64 s[10:11], v47, v46
	s_or_b64 s[14:15], s[10:11], s[14:15]
	s_andn2_b64 exec, exec, s[14:15]
	s_cbranch_execnz .LBB87_68
; %bb.69:                               ;   in Loop: Header=BB87_2 Depth=1
	s_or_b64 exec, exec, s[14:15]
.LBB87_70:                              ;   in Loop: Header=BB87_2 Depth=1
	s_or_b64 exec, exec, s[12:13]
	v_add_u32_e32 v46, v47, v12
	v_sub_u32_e32 v47, v30, v47
	ds_read_u8 v48, v46
	ds_read_u8 v49, v47
	v_cmp_le_i32_e64 s[12:13], v24, v46
	v_cmp_gt_i32_e64 s[10:11], v25, v47
                                        ; implicit-def: $vgpr50
                                        ; implicit-def: $vgpr51
	s_waitcnt lgkmcnt(0)
	v_cmp_lt_u16_sdwa s[14:15], v49, v48 src0_sel:BYTE_0 src1_sel:BYTE_0
	s_or_b64 s[12:13], s[12:13], s[14:15]
	s_and_b64 s[10:11], s[10:11], s[12:13]
	s_xor_b64 s[12:13], s[10:11], -1
	s_and_saveexec_b64 s[14:15], s[12:13]
	s_xor_b64 s[12:13], exec, s[14:15]
	s_cbranch_execz .LBB87_72
; %bb.71:                               ;   in Loop: Header=BB87_2 Depth=1
	ds_read_u8 v51, v46 offset:1
	v_mov_b32_e32 v50, v49
.LBB87_72:                              ;   in Loop: Header=BB87_2 Depth=1
	s_andn2_saveexec_b64 s[12:13], s[12:13]
	s_cbranch_execz .LBB87_74
; %bb.73:                               ;   in Loop: Header=BB87_2 Depth=1
	ds_read_u8 v50, v47 offset:1
	s_waitcnt lgkmcnt(1)
	v_mov_b32_e32 v51, v48
.LBB87_74:                              ;   in Loop: Header=BB87_2 Depth=1
	s_or_b64 exec, exec, s[12:13]
	v_add_u32_e32 v53, 1, v46
	v_add_u32_e32 v52, 1, v47
	v_cndmask_b32_e64 v53, v53, v46, s[10:11]
	v_cndmask_b32_e64 v52, v47, v52, s[10:11]
	v_cmp_ge_i32_e64 s[14:15], v53, v24
	s_waitcnt lgkmcnt(0)
	v_cmp_lt_u16_sdwa s[16:17], v50, v51 src0_sel:BYTE_0 src1_sel:BYTE_0
	v_cmp_lt_i32_e64 s[12:13], v52, v25
	s_or_b64 s[14:15], s[14:15], s[16:17]
	s_and_b64 s[12:13], s[12:13], s[14:15]
	s_xor_b64 s[14:15], s[12:13], -1
                                        ; implicit-def: $vgpr54
	s_and_saveexec_b64 s[16:17], s[14:15]
	s_xor_b64 s[14:15], exec, s[16:17]
	s_cbranch_execz .LBB87_76
; %bb.75:                               ;   in Loop: Header=BB87_2 Depth=1
	ds_read_u8 v54, v53 offset:1
.LBB87_76:                              ;   in Loop: Header=BB87_2 Depth=1
	s_or_saveexec_b64 s[14:15], s[14:15]
	v_mov_b32_e32 v55, v50
	s_xor_b64 exec, exec, s[14:15]
	s_cbranch_execz .LBB87_78
; %bb.77:                               ;   in Loop: Header=BB87_2 Depth=1
	ds_read_u8 v55, v52 offset:1
	s_waitcnt lgkmcnt(1)
	v_mov_b32_e32 v54, v51
.LBB87_78:                              ;   in Loop: Header=BB87_2 Depth=1
	s_or_b64 exec, exec, s[14:15]
	v_add_u32_e32 v57, 1, v53
	v_add_u32_e32 v56, 1, v52
	v_cndmask_b32_e64 v57, v57, v53, s[12:13]
	v_cndmask_b32_e64 v56, v52, v56, s[12:13]
	v_cmp_ge_i32_e64 s[16:17], v57, v24
	s_waitcnt lgkmcnt(0)
	v_cmp_lt_u16_sdwa s[18:19], v55, v54 src0_sel:BYTE_0 src1_sel:BYTE_0
	v_cmp_lt_i32_e64 s[14:15], v56, v25
	s_or_b64 s[16:17], s[16:17], s[18:19]
	s_and_b64 s[14:15], s[14:15], s[16:17]
	s_xor_b64 s[16:17], s[14:15], -1
                                        ; implicit-def: $vgpr58
	s_and_saveexec_b64 s[18:19], s[16:17]
	s_xor_b64 s[16:17], exec, s[18:19]
	s_cbranch_execz .LBB87_80
; %bb.79:                               ;   in Loop: Header=BB87_2 Depth=1
	ds_read_u8 v58, v57 offset:1
.LBB87_80:                              ;   in Loop: Header=BB87_2 Depth=1
	s_or_saveexec_b64 s[16:17], s[16:17]
	v_mov_b32_e32 v59, v55
	s_xor_b64 exec, exec, s[16:17]
	s_cbranch_execz .LBB87_82
; %bb.81:                               ;   in Loop: Header=BB87_2 Depth=1
	ds_read_u8 v59, v56 offset:1
	s_waitcnt lgkmcnt(1)
	v_mov_b32_e32 v58, v54
.LBB87_82:                              ;   in Loop: Header=BB87_2 Depth=1
	s_or_b64 exec, exec, s[16:17]
	v_add_u32_e32 v60, 1, v57
	v_cndmask_b32_e64 v54, v54, v55, s[14:15]
	v_add_u32_e32 v55, 1, v56
	v_cndmask_b32_e64 v60, v60, v57, s[14:15]
	v_cndmask_b32_e64 v55, v56, v55, s[14:15]
	;; [unrolled: 1-line block ×5, first 2 shown]
	v_cmp_ge_i32_e64 s[12:13], v60, v24
	s_waitcnt lgkmcnt(0)
	v_cmp_lt_u16_sdwa s[14:15], v59, v58 src0_sel:BYTE_0 src1_sel:BYTE_0
	v_cndmask_b32_e64 v48, v48, v49, s[10:11]
	v_cndmask_b32_e64 v46, v46, v47, s[10:11]
	v_cmp_lt_i32_e64 s[10:11], v55, v25
	s_or_b64 s[12:13], s[12:13], s[14:15]
	s_and_b64 s[10:11], s[10:11], s[12:13]
	v_cndmask_b32_e64 v49, v60, v55, s[10:11]
	s_waitcnt lgkmcnt(0)
	; wave barrier
	ds_write_b8 v3, v43
	ds_write_b8 v3, v44 offset:1
	ds_write_b8 v3, v45 offset:2
	;; [unrolled: 1-line block ×3, first 2 shown]
	s_waitcnt lgkmcnt(0)
	; wave barrier
	s_waitcnt lgkmcnt(0)
	ds_read_u8 v42, v49
	ds_read_u8 v43, v46
	ds_read_u8 v44, v51
	ds_read_u8 v45, v56
	v_mov_b32_e32 v46, v14
	v_cndmask_b32_e64 v47, v58, v59, s[10:11]
	s_waitcnt lgkmcnt(0)
	; wave barrier
	s_waitcnt lgkmcnt(0)
	ds_write_b8 v3, v48
	ds_write_b8 v3, v50 offset:1
	ds_write_b8 v3, v54 offset:2
	;; [unrolled: 1-line block ×3, first 2 shown]
	s_waitcnt lgkmcnt(0)
	; wave barrier
	s_waitcnt lgkmcnt(0)
	s_and_saveexec_b64 s[12:13], vcc
	s_cbranch_execz .LBB87_86
; %bb.83:                               ;   in Loop: Header=BB87_2 Depth=1
	s_mov_b64 s[14:15], 0
	v_mov_b32_e32 v46, v14
	v_mov_b32_e32 v47, v15
.LBB87_84:                              ;   Parent Loop BB87_2 Depth=1
                                        ; =>  This Inner Loop Header: Depth=2
	v_sub_u32_e32 v48, v47, v46
	v_lshrrev_b32_e32 v49, 31, v48
	v_add_u32_e32 v48, v48, v49
	v_ashrrev_i32_e32 v48, 1, v48
	v_add_u32_e32 v48, v48, v46
	v_not_b32_e32 v49, v48
	v_add3_u32 v49, v3, v49, v2
	ds_read_u8 v50, v48
	ds_read_u8 v49, v49
	v_add_u32_e32 v51, 1, v48
	s_waitcnt lgkmcnt(0)
	v_cmp_lt_u16_e64 s[10:11], v49, v50
	s_nop 1
	v_cndmask_b32_e64 v47, v47, v48, s[10:11]
	v_cndmask_b32_e64 v46, v51, v46, s[10:11]
	v_cmp_ge_i32_e64 s[10:11], v46, v47
	s_or_b64 s[14:15], s[10:11], s[14:15]
	s_andn2_b64 exec, exec, s[14:15]
	s_cbranch_execnz .LBB87_84
; %bb.85:                               ;   in Loop: Header=BB87_2 Depth=1
	s_or_b64 exec, exec, s[14:15]
.LBB87_86:                              ;   in Loop: Header=BB87_2 Depth=1
	s_or_b64 exec, exec, s[12:13]
	v_sub_u32_e32 v47, v41, v46
	ds_read_u8 v48, v46
	ds_read_u8 v49, v47
	v_cmp_le_i32_e64 s[12:13], v2, v46
	v_cmp_gt_i32_e64 s[10:11], s36, v47
                                        ; implicit-def: $vgpr50
                                        ; implicit-def: $vgpr51
	s_waitcnt lgkmcnt(0)
	v_cmp_lt_u16_sdwa s[14:15], v49, v48 src0_sel:BYTE_0 src1_sel:BYTE_0
	s_or_b64 s[12:13], s[12:13], s[14:15]
	s_and_b64 s[10:11], s[10:11], s[12:13]
	s_xor_b64 s[12:13], s[10:11], -1
	s_and_saveexec_b64 s[14:15], s[12:13]
	s_xor_b64 s[12:13], exec, s[14:15]
	s_cbranch_execz .LBB87_88
; %bb.87:                               ;   in Loop: Header=BB87_2 Depth=1
	ds_read_u8 v51, v46 offset:1
	v_mov_b32_e32 v50, v49
.LBB87_88:                              ;   in Loop: Header=BB87_2 Depth=1
	s_andn2_saveexec_b64 s[12:13], s[12:13]
	s_cbranch_execz .LBB87_90
; %bb.89:                               ;   in Loop: Header=BB87_2 Depth=1
	ds_read_u8 v50, v47 offset:1
	s_waitcnt lgkmcnt(1)
	v_mov_b32_e32 v51, v48
.LBB87_90:                              ;   in Loop: Header=BB87_2 Depth=1
	s_or_b64 exec, exec, s[12:13]
	v_add_u32_e32 v53, 1, v46
	v_add_u32_e32 v52, 1, v47
	v_cndmask_b32_e64 v53, v53, v46, s[10:11]
	v_cndmask_b32_e64 v52, v47, v52, s[10:11]
	v_cmp_ge_i32_e64 s[14:15], v53, v2
	s_waitcnt lgkmcnt(0)
	v_cmp_lt_u16_sdwa s[16:17], v50, v51 src0_sel:BYTE_0 src1_sel:BYTE_0
	v_cmp_gt_i32_e64 s[12:13], s36, v52
	s_or_b64 s[14:15], s[14:15], s[16:17]
	s_and_b64 s[12:13], s[12:13], s[14:15]
	s_xor_b64 s[14:15], s[12:13], -1
                                        ; implicit-def: $vgpr54
	s_and_saveexec_b64 s[16:17], s[14:15]
	s_xor_b64 s[14:15], exec, s[16:17]
	s_cbranch_execz .LBB87_92
; %bb.91:                               ;   in Loop: Header=BB87_2 Depth=1
	ds_read_u8 v54, v53 offset:1
.LBB87_92:                              ;   in Loop: Header=BB87_2 Depth=1
	s_or_saveexec_b64 s[14:15], s[14:15]
	v_mov_b32_e32 v55, v50
	s_xor_b64 exec, exec, s[14:15]
	s_cbranch_execz .LBB87_94
; %bb.93:                               ;   in Loop: Header=BB87_2 Depth=1
	ds_read_u8 v55, v52 offset:1
	s_waitcnt lgkmcnt(1)
	v_mov_b32_e32 v54, v51
.LBB87_94:                              ;   in Loop: Header=BB87_2 Depth=1
	s_or_b64 exec, exec, s[14:15]
	v_add_u32_e32 v57, 1, v53
	v_add_u32_e32 v56, 1, v52
	v_cndmask_b32_e64 v60, v57, v53, s[12:13]
	v_cndmask_b32_e64 v56, v52, v56, s[12:13]
	v_cmp_ge_i32_e64 s[16:17], v60, v2
	s_waitcnt lgkmcnt(0)
	v_cmp_lt_u16_sdwa s[18:19], v55, v54 src0_sel:BYTE_0 src1_sel:BYTE_0
	v_cmp_gt_i32_e64 s[14:15], s36, v56
	s_or_b64 s[16:17], s[16:17], s[18:19]
	s_and_b64 s[14:15], s[14:15], s[16:17]
	s_xor_b64 s[16:17], s[14:15], -1
                                        ; implicit-def: $vgpr58
                                        ; implicit-def: $vgpr57
	s_and_saveexec_b64 s[18:19], s[16:17]
	s_xor_b64 s[16:17], exec, s[18:19]
	s_cbranch_execz .LBB87_96
; %bb.95:                               ;   in Loop: Header=BB87_2 Depth=1
	ds_read_u8 v58, v60 offset:1
	v_add_u32_e32 v57, 1, v60
.LBB87_96:                              ;   in Loop: Header=BB87_2 Depth=1
	s_or_saveexec_b64 s[16:17], s[16:17]
	v_mov_b32_e32 v59, v60
	v_mov_b32_e32 v61, v55
	s_xor_b64 exec, exec, s[16:17]
	s_cbranch_execz .LBB87_1
; %bb.97:                               ;   in Loop: Header=BB87_2 Depth=1
	ds_read_u8 v61, v56 offset:1
	s_waitcnt lgkmcnt(1)
	v_add_u32_e32 v58, 1, v56
	v_mov_b32_e32 v59, v56
	v_mov_b32_e32 v57, v60
	;; [unrolled: 1-line block ×4, first 2 shown]
	s_branch .LBB87_1
.LBB87_98:
	s_add_u32 s0, s30, s33
	s_addc_u32 s1, s31, 0
	v_add_u16_e32 v2, v48, v47
	v_lshl_add_u64 v[0:1], s[0:1], 0, v[0:1]
	v_add_u16_e32 v3, v49, v51
	v_add_u16_e32 v4, v50, v44
	;; [unrolled: 1-line block ×3, first 2 shown]
	global_store_byte v[0:1], v2, off
	global_store_byte v[0:1], v3, off offset:64
	global_store_byte v[0:1], v4, off offset:128
	;; [unrolled: 1-line block ×3, first 2 shown]
	s_endpgm
	.section	.rodata,"a",@progbits
	.p2align	6, 0x0
	.amdhsa_kernel _Z17sort_pairs_kernelIhLj64ELj4EN10test_utils4lessELj10EEvPKT_PS2_T2_
		.amdhsa_group_segment_fixed_size 257
		.amdhsa_private_segment_fixed_size 0
		.amdhsa_kernarg_size 20
		.amdhsa_user_sgpr_count 2
		.amdhsa_user_sgpr_dispatch_ptr 0
		.amdhsa_user_sgpr_queue_ptr 0
		.amdhsa_user_sgpr_kernarg_segment_ptr 1
		.amdhsa_user_sgpr_dispatch_id 0
		.amdhsa_user_sgpr_kernarg_preload_length 0
		.amdhsa_user_sgpr_kernarg_preload_offset 0
		.amdhsa_user_sgpr_private_segment_size 0
		.amdhsa_uses_dynamic_stack 0
		.amdhsa_enable_private_segment 0
		.amdhsa_system_sgpr_workgroup_id_x 1
		.amdhsa_system_sgpr_workgroup_id_y 0
		.amdhsa_system_sgpr_workgroup_id_z 0
		.amdhsa_system_sgpr_workgroup_info 0
		.amdhsa_system_vgpr_workitem_id 0
		.amdhsa_next_free_vgpr 62
		.amdhsa_next_free_sgpr 44
		.amdhsa_accum_offset 64
		.amdhsa_reserve_vcc 1
		.amdhsa_float_round_mode_32 0
		.amdhsa_float_round_mode_16_64 0
		.amdhsa_float_denorm_mode_32 3
		.amdhsa_float_denorm_mode_16_64 3
		.amdhsa_dx10_clamp 1
		.amdhsa_ieee_mode 1
		.amdhsa_fp16_overflow 0
		.amdhsa_tg_split 0
		.amdhsa_exception_fp_ieee_invalid_op 0
		.amdhsa_exception_fp_denorm_src 0
		.amdhsa_exception_fp_ieee_div_zero 0
		.amdhsa_exception_fp_ieee_overflow 0
		.amdhsa_exception_fp_ieee_underflow 0
		.amdhsa_exception_fp_ieee_inexact 0
		.amdhsa_exception_int_div_zero 0
	.end_amdhsa_kernel
	.section	.text._Z17sort_pairs_kernelIhLj64ELj4EN10test_utils4lessELj10EEvPKT_PS2_T2_,"axG",@progbits,_Z17sort_pairs_kernelIhLj64ELj4EN10test_utils4lessELj10EEvPKT_PS2_T2_,comdat
.Lfunc_end87:
	.size	_Z17sort_pairs_kernelIhLj64ELj4EN10test_utils4lessELj10EEvPKT_PS2_T2_, .Lfunc_end87-_Z17sort_pairs_kernelIhLj64ELj4EN10test_utils4lessELj10EEvPKT_PS2_T2_
                                        ; -- End function
	.section	.AMDGPU.csdata,"",@progbits
; Kernel info:
; codeLenInByte = 5564
; NumSgprs: 50
; NumVgprs: 62
; NumAgprs: 0
; TotalNumVgprs: 62
; ScratchSize: 0
; MemoryBound: 0
; FloatMode: 240
; IeeeMode: 1
; LDSByteSize: 257 bytes/workgroup (compile time only)
; SGPRBlocks: 6
; VGPRBlocks: 7
; NumSGPRsForWavesPerEU: 50
; NumVGPRsForWavesPerEU: 62
; AccumOffset: 64
; Occupancy: 8
; WaveLimiterHint : 0
; COMPUTE_PGM_RSRC2:SCRATCH_EN: 0
; COMPUTE_PGM_RSRC2:USER_SGPR: 2
; COMPUTE_PGM_RSRC2:TRAP_HANDLER: 0
; COMPUTE_PGM_RSRC2:TGID_X_EN: 1
; COMPUTE_PGM_RSRC2:TGID_Y_EN: 0
; COMPUTE_PGM_RSRC2:TGID_Z_EN: 0
; COMPUTE_PGM_RSRC2:TIDIG_COMP_CNT: 0
; COMPUTE_PGM_RSRC3_GFX90A:ACCUM_OFFSET: 15
; COMPUTE_PGM_RSRC3_GFX90A:TG_SPLIT: 0
	.section	.text._Z16sort_keys_kernelIhLj64ELj8EN10test_utils4lessELj10EEvPKT_PS2_T2_,"axG",@progbits,_Z16sort_keys_kernelIhLj64ELj8EN10test_utils4lessELj10EEvPKT_PS2_T2_,comdat
	.protected	_Z16sort_keys_kernelIhLj64ELj8EN10test_utils4lessELj10EEvPKT_PS2_T2_ ; -- Begin function _Z16sort_keys_kernelIhLj64ELj8EN10test_utils4lessELj10EEvPKT_PS2_T2_
	.globl	_Z16sort_keys_kernelIhLj64ELj8EN10test_utils4lessELj10EEvPKT_PS2_T2_
	.p2align	8
	.type	_Z16sort_keys_kernelIhLj64ELj8EN10test_utils4lessELj10EEvPKT_PS2_T2_,@function
_Z16sort_keys_kernelIhLj64ELj8EN10test_utils4lessELj10EEvPKT_PS2_T2_: ; @_Z16sort_keys_kernelIhLj64ELj8EN10test_utils4lessELj10EEvPKT_PS2_T2_
; %bb.0:
	s_load_dwordx4 s[24:27], s[0:1], 0x0
	s_lshl_b32 s28, s2, 9
	v_lshlrev_b32_e32 v3, 3, v0
	v_and_b32_e32 v4, 0x1f0, v3
	v_and_b32_e32 v6, 0x1e0, v3
	s_waitcnt lgkmcnt(0)
	s_add_u32 s0, s24, s28
	s_addc_u32 s1, s25, 0
	global_load_ubyte v42, v0, s[0:1] offset:64
	global_load_ubyte v43, v0, s[0:1] offset:192
	;; [unrolled: 1-line block ×3, first 2 shown]
	global_load_ubyte v45, v0, s[0:1]
	global_load_ubyte v46, v0, s[0:1] offset:128
	global_load_ubyte v47, v0, s[0:1] offset:256
	;; [unrolled: 1-line block ×4, first 2 shown]
	v_or_b32_e32 v17, 8, v4
	v_add_u32_e32 v18, 16, v4
	v_and_b32_e32 v5, 8, v3
	v_and_b32_e32 v8, 0x1c0, v3
	v_or_b32_e32 v19, 16, v6
	v_add_u32_e32 v20, 32, v6
	v_sub_u32_e32 v37, v18, v17
	v_and_b32_e32 v7, 24, v3
	v_and_b32_e32 v10, 0x180, v3
	v_or_b32_e32 v21, 32, v8
	v_add_u32_e32 v22, 64, v8
	v_sub_u32_e32 v38, v20, v19
	v_sub_u32_e32 v50, v5, v37
	v_cmp_ge_i32_e64 s[0:1], v5, v37
	v_and_b32_e32 v9, 56, v3
	v_and_b32_e32 v12, 0x100, v3
	v_or_b32_e32 v23, 64, v10
	v_add_u32_e32 v24, 0x80, v10
	v_sub_u32_e32 v39, v22, v21
	v_sub_u32_e32 v51, v7, v38
	v_cndmask_b32_e64 v37, 0, v50, s[0:1]
	v_cmp_ge_i32_e64 s[0:1], v7, v38
	v_and_b32_e32 v11, 0x78, v3
	v_or_b32_e32 v25, 0x80, v12
	v_add_u32_e32 v26, 0x100, v12
	v_sub_u32_e32 v40, v24, v23
	v_sub_u32_e32 v52, v9, v39
	v_cndmask_b32_e64 v38, 0, v51, s[0:1]
	v_cmp_ge_i32_e64 s[0:1], v9, v39
	v_and_b32_e32 v13, 0xf8, v3
	v_sub_u32_e32 v41, v26, v25
	v_sub_u32_e32 v53, v11, v40
	v_cndmask_b32_e64 v39, 0, v52, s[0:1]
	v_cmp_ge_i32_e64 s[0:1], v11, v40
	v_mov_b32_e32 v2, 0x100
	v_sub_u32_e32 v32, v17, v4
	v_sub_u32_e32 v33, v19, v6
	;; [unrolled: 1-line block ×6, first 2 shown]
	v_cndmask_b32_e64 v40, 0, v53, s[0:1]
	v_cmp_ge_i32_e64 s[0:1], v13, v41
	v_sub_u32_e64 v14, v3, v2 clamp
	v_min_i32_e32 v15, 0x100, v3
	v_min_i32_e32 v32, v5, v32
	;; [unrolled: 1-line block ×6, first 2 shown]
	v_cndmask_b32_e64 v41, 0, v54, s[0:1]
	s_mov_b32 s29, 0
	v_mov_b32_e32 v1, 0
	s_mov_b32 s30, 0xffff
	v_add_u32_e32 v16, 0x100, v3
	v_cmp_lt_i32_e32 vcc, v14, v15
	v_add_u32_e32 v27, v17, v5
	v_add_u32_e32 v28, v19, v7
	;; [unrolled: 1-line block ×5, first 2 shown]
	v_cmp_lt_i32_e64 s[0:1], v37, v32
	v_cmp_lt_i32_e64 s[2:3], v38, v33
	;; [unrolled: 1-line block ×5, first 2 shown]
	s_mov_b32 s31, 0x7060405
	s_movk_i32 s33, 0xff
	s_mov_b32 s34, 0xc0c0001
	s_mov_b32 s35, 0x6070504
	s_movk_i32 s36, 0xff00
	s_mov_b32 s37, 0xffff0000
	s_waitcnt vmcnt(7)
	v_lshlrev_b16_e32 v42, 8, v42
	s_waitcnt vmcnt(6)
	v_lshlrev_b16_e32 v43, 8, v43
	;; [unrolled: 2-line block ×3, first 2 shown]
	s_waitcnt vmcnt(4)
	v_or_b32_e32 v42, v45, v42
	s_waitcnt vmcnt(3)
	v_or_b32_sdwa v43, v46, v43 dst_sel:WORD_1 dst_unused:UNUSED_PAD src0_sel:DWORD src1_sel:DWORD
	s_waitcnt vmcnt(2)
	v_or_b32_e32 v44, v47, v44
	v_or_b32_sdwa v43, v42, v43 dst_sel:DWORD dst_unused:UNUSED_PAD src0_sel:WORD_0 src1_sel:DWORD
	s_waitcnt vmcnt(1)
	v_lshlrev_b16_e32 v42, 8, v48
	s_waitcnt vmcnt(0)
	v_or_b32_sdwa v42, v49, v42 dst_sel:WORD_1 dst_unused:UNUSED_PAD src0_sel:DWORD src1_sel:DWORD
	s_movk_i32 s38, 0x200
	v_or_b32_sdwa v42, v44, v42 dst_sel:DWORD dst_unused:UNUSED_PAD src0_sel:WORD_0 src1_sel:DWORD
	s_branch .LBB88_2
.LBB88_1:                               ;   in Loop: Header=BB88_2 Depth=1
	s_or_b64 exec, exec, s[24:25]
	v_cndmask_b32_e64 v44, v45, v44, s[12:13]
	v_cndmask_b32_e64 v45, v46, v47, s[14:15]
	v_cmp_ge_i32_e64 s[12:13], v58, v2
	s_waitcnt lgkmcnt(0)
	v_cmp_lt_u16_sdwa s[14:15], v60, v57 src0_sel:BYTE_0 src1_sel:BYTE_0
	v_cndmask_b32_e64 v59, v42, v43, s[10:11]
	v_cndmask_b32_e64 v46, v48, v49, s[16:17]
	v_cmp_gt_i32_e64 s[10:11], s38, v56
	s_or_b64 s[12:13], s[12:13], s[14:15]
	s_and_b64 s[10:11], s[10:11], s[12:13]
	v_lshlrev_b16_e32 v42, 8, v44
	v_lshlrev_b16_e32 v43, 8, v46
	v_cndmask_b32_e64 v47, v50, v51, s[18:19]
	v_cndmask_b32_e64 v48, v52, v53, s[20:21]
	;; [unrolled: 1-line block ×3, first 2 shown]
	v_or_b32_sdwa v42, v59, v42 dst_sel:DWORD dst_unused:UNUSED_PAD src0_sel:BYTE_0 src1_sel:DWORD
	v_or_b32_sdwa v43, v45, v43 dst_sel:WORD_1 dst_unused:UNUSED_PAD src0_sel:BYTE_0 src1_sel:DWORD
	v_cndmask_b32_e64 v49, v54, v55, s[22:23]
	v_or_b32_sdwa v43, v42, v43 dst_sel:DWORD dst_unused:UNUSED_PAD src0_sel:WORD_0 src1_sel:DWORD
	v_lshlrev_b16_e32 v42, 8, v48
	v_lshlrev_b16_e32 v51, 8, v50
	s_add_i32 s29, s29, 1
	v_or_b32_sdwa v42, v47, v42 dst_sel:DWORD dst_unused:UNUSED_PAD src0_sel:BYTE_0 src1_sel:DWORD
	v_or_b32_sdwa v51, v49, v51 dst_sel:WORD_1 dst_unused:UNUSED_PAD src0_sel:BYTE_0 src1_sel:DWORD
	s_cmp_eq_u32 s29, 10
	v_or_b32_sdwa v42, v42, v51 dst_sel:DWORD dst_unused:UNUSED_PAD src0_sel:WORD_0 src1_sel:DWORD
	s_cbranch_scc1 .LBB88_194
.LBB88_2:                               ; =>This Loop Header: Depth=1
                                        ;     Child Loop BB88_4 Depth 2
                                        ;     Child Loop BB88_36 Depth 2
	;; [unrolled: 1-line block ×6, first 2 shown]
	v_lshrrev_b32_e32 v45, 8, v43
	v_perm_b32 v44, v43, v43, s31
	v_cmp_lt_u16_sdwa s[10:11], v45, v43 src0_sel:BYTE_0 src1_sel:BYTE_0
	v_min_u16_sdwa v48, v45, v43 dst_sel:DWORD dst_unused:UNUSED_PAD src0_sel:BYTE_0 src1_sel:BYTE_0
	s_nop 0
	v_cndmask_b32_e64 v44, v43, v44, s[10:11]
	v_lshrrev_b32_e32 v46, 16, v44
	v_perm_b32 v47, 0, v46, s34
	v_max_u16_sdwa v43, v45, v43 dst_sel:DWORD dst_unused:UNUSED_PAD src0_sel:BYTE_0 src1_sel:BYTE_0
	v_lshlrev_b32_e32 v45, 16, v47
	v_and_or_b32 v45, v44, s30, v45
	v_cmp_lt_u16_sdwa s[10:11], v44, v46 src0_sel:BYTE_3 src1_sel:BYTE_0
	v_max_u16_sdwa v49, v44, v46 dst_sel:DWORD dst_unused:UNUSED_PAD src0_sel:BYTE_3 src1_sel:BYTE_0
	v_perm_b32 v47, v42, v42, s31
	v_cndmask_b32_e64 v45, v44, v45, s[10:11]
	v_min_u16_sdwa v44, v44, v46 dst_sel:DWORD dst_unused:UNUSED_PAD src0_sel:BYTE_3 src1_sel:BYTE_0
	v_lshrrev_b32_e32 v46, 8, v42
	v_cmp_lt_u16_sdwa s[10:11], v46, v42 src0_sel:BYTE_0 src1_sel:BYTE_0
	v_max_u16_sdwa v50, v46, v42 dst_sel:DWORD dst_unused:UNUSED_PAD src0_sel:BYTE_0 src1_sel:BYTE_0
	v_and_b32_sdwa v52, v45, s36 dst_sel:DWORD dst_unused:UNUSED_PAD src0_sel:WORD_1 src1_sel:DWORD
	v_cndmask_b32_e64 v47, v42, v47, s[10:11]
	v_min_u16_sdwa v42, v46, v42 dst_sel:DWORD dst_unused:UNUSED_PAD src0_sel:BYTE_0 src1_sel:BYTE_0
	v_and_b32_sdwa v46, v47, s33 dst_sel:DWORD dst_unused:UNUSED_PAD src0_sel:WORD_1 src1_sel:DWORD
	v_perm_b32 v51, v47, v47, s35
	v_cmp_lt_u16_sdwa s[10:11], v47, v46 src0_sel:BYTE_3 src1_sel:DWORD
	v_max_u16_sdwa v53, v47, v46 dst_sel:DWORD dst_unused:UNUSED_PAD src0_sel:BYTE_3 src1_sel:DWORD
	v_min_u16_sdwa v46, v47, v46 dst_sel:DWORD dst_unused:UNUSED_PAD src0_sel:BYTE_3 src1_sel:DWORD
	v_cndmask_b32_e64 v51, v47, v51, s[10:11]
	v_lshlrev_b16_e32 v47, 8, v44
	v_or_b32_sdwa v52, v43, v52 dst_sel:WORD_1 dst_unused:UNUSED_PAD src0_sel:DWORD src1_sel:DWORD
	v_or_b32_sdwa v47, v45, v47 dst_sel:DWORD dst_unused:UNUSED_PAD src0_sel:BYTE_0 src1_sel:DWORD
	v_or_b32_sdwa v47, v47, v52 dst_sel:DWORD dst_unused:UNUSED_PAD src0_sel:WORD_0 src1_sel:DWORD
	v_cmp_lt_u16_e64 s[10:11], v44, v43
	v_and_b32_e32 v52, 0xffffff00, v51
	v_or_b32_e32 v52, v49, v52
	v_cndmask_b32_e64 v45, v45, v47, s[10:11]
	v_and_b32_sdwa v47, v45, s33 dst_sel:DWORD dst_unused:UNUSED_PAD src0_sel:WORD_1 src1_sel:DWORD
	v_lshlrev_b16_e32 v55, 8, v42
	v_and_b32_e32 v52, 0xffff, v52
	v_or_b32_sdwa v47, v47, v55 dst_sel:WORD_1 dst_unused:UNUSED_PAD src0_sel:DWORD src1_sel:DWORD
	v_and_or_b32 v52, v51, s37, v52
	v_and_or_b32 v47, v45, s30, v47
	v_cmp_lt_u16_e64 s[10:11], v42, v49
	v_max_u16_e32 v54, v44, v43
	v_min_u16_e32 v43, v44, v43
	v_cndmask_b32_e64 v45, v45, v47, s[10:11]
	v_cndmask_b32_e64 v47, v51, v52, s[10:11]
	v_and_b32_sdwa v51, v47, s36 dst_sel:DWORD dst_unused:UNUSED_PAD src0_sel:WORD_1 src1_sel:DWORD
	v_max_u16_e32 v52, v42, v49
	v_min_u16_e32 v42, v42, v49
	v_lshlrev_b16_e32 v49, 8, v46
	v_or_b32_sdwa v51, v50, v51 dst_sel:WORD_1 dst_unused:UNUSED_PAD src0_sel:DWORD src1_sel:DWORD
	v_or_b32_sdwa v49, v47, v49 dst_sel:DWORD dst_unused:UNUSED_PAD src0_sel:BYTE_0 src1_sel:DWORD
	v_or_b32_sdwa v49, v49, v51 dst_sel:DWORD dst_unused:UNUSED_PAD src0_sel:WORD_0 src1_sel:DWORD
	v_lshlrev_b16_e32 v51, 8, v48
	v_or_b32_e32 v51, v43, v51
	v_and_b32_e32 v51, 0xffff, v51
	v_cmp_lt_u16_e64 s[10:11], v46, v50
	v_and_or_b32 v51, v45, s37, v51
	; wave barrier
	s_nop 0
	v_cndmask_b32_e64 v47, v47, v49, s[10:11]
	v_cmp_lt_u16_e64 s[10:11], v44, v48
	v_max_u16_e32 v49, v46, v50
	v_min_u16_e32 v46, v46, v50
	v_cndmask_b32_e64 v44, v45, v51, s[10:11]
	v_cndmask_b32_e64 v45, v48, v43, s[10:11]
	;; [unrolled: 1-line block ×3, first 2 shown]
	v_lshlrev_b16_e32 v48, 8, v54
	v_or_b32_sdwa v48, v42, v48 dst_sel:WORD_1 dst_unused:UNUSED_PAD src0_sel:DWORD src1_sel:DWORD
	v_cmp_lt_u16_e64 s[10:11], v42, v54
	v_and_or_b32 v48, v44, s30, v48
	v_max_u16_e32 v51, v42, v54
	v_cndmask_b32_e64 v44, v44, v48, s[10:11]
	v_lshlrev_b16_e32 v48, 8, v52
	v_or_b32_e32 v48, v46, v48
	v_and_b32_e32 v48, 0xffff, v48
	v_and_or_b32 v48, v47, s37, v48
	v_cmp_lt_u16_e64 s[10:11], v46, v52
	v_min_u16_e32 v42, v42, v54
	v_and_b32_sdwa v54, v44, s36 dst_sel:DWORD dst_unused:UNUSED_PAD src0_sel:WORD_1 src1_sel:DWORD
	v_cndmask_b32_e64 v47, v47, v48, s[10:11]
	v_max_u16_e32 v48, v46, v52
	v_min_u16_e32 v46, v46, v52
	v_lshlrev_b16_e32 v52, 8, v49
	v_or_b32_sdwa v52, v53, v52 dst_sel:WORD_1 dst_unused:UNUSED_PAD src0_sel:DWORD src1_sel:DWORD
	v_cmp_gt_u16_e64 s[10:11], v50, v53
	v_and_or_b32 v52, v47, s30, v52
	v_or_b32_sdwa v54, v43, v54 dst_sel:WORD_1 dst_unused:UNUSED_PAD src0_sel:DWORD src1_sel:DWORD
	v_cndmask_b32_e64 v47, v47, v52, s[10:11]
	v_lshlrev_b16_e32 v52, 8, v42
	v_or_b32_sdwa v52, v44, v52 dst_sel:DWORD dst_unused:UNUSED_PAD src0_sel:BYTE_0 src1_sel:DWORD
	v_cndmask_b32_e64 v50, v53, v49, s[10:11]
	v_cndmask_b32_e64 v49, v49, v53, s[10:11]
	v_or_b32_sdwa v52, v52, v54 dst_sel:DWORD dst_unused:UNUSED_PAD src0_sel:WORD_0 src1_sel:DWORD
	v_cmp_lt_u16_e64 s[10:11], v42, v43
	v_and_b32_e32 v53, 0xffffff00, v47
	v_or_b32_e32 v53, v51, v53
	v_cndmask_b32_e64 v44, v44, v52, s[10:11]
	v_and_b32_sdwa v52, v44, s33 dst_sel:DWORD dst_unused:UNUSED_PAD src0_sel:WORD_1 src1_sel:DWORD
	v_max_u16_e32 v54, v42, v43
	v_min_u16_e32 v42, v42, v43
	v_lshlrev_b16_e32 v43, 8, v46
	v_and_b32_e32 v53, 0xffff, v53
	v_or_b32_sdwa v43, v52, v43 dst_sel:WORD_1 dst_unused:UNUSED_PAD src0_sel:DWORD src1_sel:DWORD
	v_and_or_b32 v53, v47, s37, v53
	v_and_or_b32 v43, v44, s30, v43
	v_cmp_lt_u16_e64 s[10:11], v46, v51
	v_max_u16_e32 v52, v46, v51
	v_min_u16_e32 v46, v46, v51
	v_cndmask_b32_e64 v43, v44, v43, s[10:11]
	v_cndmask_b32_e64 v44, v47, v53, s[10:11]
	v_and_b32_sdwa v47, v44, s36 dst_sel:DWORD dst_unused:UNUSED_PAD src0_sel:WORD_1 src1_sel:DWORD
	v_lshlrev_b16_e32 v51, 8, v49
	v_or_b32_sdwa v47, v48, v47 dst_sel:WORD_1 dst_unused:UNUSED_PAD src0_sel:DWORD src1_sel:DWORD
	v_or_b32_sdwa v51, v44, v51 dst_sel:DWORD dst_unused:UNUSED_PAD src0_sel:BYTE_0 src1_sel:DWORD
	v_or_b32_sdwa v47, v51, v47 dst_sel:DWORD dst_unused:UNUSED_PAD src0_sel:WORD_0 src1_sel:DWORD
	v_lshlrev_b16_e32 v51, 8, v45
	v_or_b32_e32 v51, v42, v51
	v_and_b32_e32 v51, 0xffff, v51
	v_cmp_lt_u16_e64 s[10:11], v49, v48
	v_and_or_b32 v51, v43, s37, v51
	s_nop 0
	v_cndmask_b32_e64 v44, v44, v47, s[10:11]
	v_max_u16_e32 v47, v49, v48
	v_min_u16_e32 v48, v49, v48
	v_cmp_lt_u16_e64 s[10:11], v42, v45
	v_min_u16_e32 v49, v42, v45
	v_max_u16_e32 v42, v42, v45
	v_lshlrev_b16_e32 v45, 8, v54
	v_cndmask_b32_e64 v43, v43, v51, s[10:11]
	v_or_b32_sdwa v45, v46, v45 dst_sel:WORD_1 dst_unused:UNUSED_PAD src0_sel:DWORD src1_sel:DWORD
	v_cmp_lt_u16_e64 s[10:11], v46, v54
	v_and_or_b32 v45, v43, s30, v45
	v_max_u16_e32 v51, v46, v54
	v_cndmask_b32_e64 v43, v43, v45, s[10:11]
	v_lshlrev_b16_e32 v45, 8, v52
	v_or_b32_e32 v45, v48, v45
	v_and_b32_e32 v45, 0xffff, v45
	v_and_or_b32 v45, v44, s37, v45
	v_cmp_lt_u16_e64 s[10:11], v48, v52
	v_min_u16_e32 v46, v46, v54
	v_and_b32_sdwa v53, v43, s36 dst_sel:DWORD dst_unused:UNUSED_PAD src0_sel:WORD_1 src1_sel:DWORD
	v_cndmask_b32_e64 v44, v44, v45, s[10:11]
	v_max_u16_e32 v45, v48, v52
	v_min_u16_e32 v48, v48, v52
	v_lshlrev_b16_e32 v52, 8, v47
	v_or_b32_sdwa v52, v50, v52 dst_sel:WORD_1 dst_unused:UNUSED_PAD src0_sel:DWORD src1_sel:DWORD
	v_cmp_lt_u16_e64 s[10:11], v50, v47
	v_and_or_b32 v52, v44, s30, v52
	v_or_b32_sdwa v53, v42, v53 dst_sel:WORD_1 dst_unused:UNUSED_PAD src0_sel:DWORD src1_sel:DWORD
	v_cndmask_b32_e64 v44, v44, v52, s[10:11]
	v_max_u16_e32 v52, v50, v47
	v_min_u16_e32 v47, v50, v47
	v_lshlrev_b16_e32 v50, 8, v46
	v_or_b32_sdwa v50, v43, v50 dst_sel:DWORD dst_unused:UNUSED_PAD src0_sel:BYTE_0 src1_sel:DWORD
	v_or_b32_sdwa v50, v50, v53 dst_sel:DWORD dst_unused:UNUSED_PAD src0_sel:WORD_0 src1_sel:DWORD
	v_cmp_lt_u16_e64 s[10:11], v46, v42
	v_and_b32_e32 v53, 0xffffff00, v44
	v_or_b32_e32 v53, v51, v53
	v_cndmask_b32_e64 v43, v43, v50, s[10:11]
	v_and_b32_sdwa v50, v43, s33 dst_sel:DWORD dst_unused:UNUSED_PAD src0_sel:WORD_1 src1_sel:DWORD
	v_and_b32_e32 v53, 0xffff, v53
	v_lshlrev_b16_e32 v55, 8, v48
	v_and_or_b32 v53, v44, s37, v53
	v_or_b32_sdwa v50, v50, v55 dst_sel:WORD_1 dst_unused:UNUSED_PAD src0_sel:DWORD src1_sel:DWORD
	v_cmp_lt_u16_e64 s[10:11], v48, v51
	v_and_or_b32 v50, v43, s30, v50
	v_max_u16_e32 v54, v46, v42
	v_cndmask_b32_e64 v44, v44, v53, s[10:11]
	v_cndmask_b32_e64 v43, v43, v50, s[10:11]
	v_and_b32_sdwa v50, v44, s36 dst_sel:DWORD dst_unused:UNUSED_PAD src0_sel:WORD_1 src1_sel:DWORD
	v_max_u16_e32 v53, v48, v51
	v_min_u16_e32 v48, v48, v51
	v_lshlrev_b16_e32 v51, 8, v47
	v_or_b32_sdwa v50, v45, v50 dst_sel:WORD_1 dst_unused:UNUSED_PAD src0_sel:DWORD src1_sel:DWORD
	v_or_b32_sdwa v51, v44, v51 dst_sel:DWORD dst_unused:UNUSED_PAD src0_sel:BYTE_0 src1_sel:DWORD
	v_min_u16_e32 v42, v46, v42
	v_or_b32_sdwa v50, v51, v50 dst_sel:DWORD dst_unused:UNUSED_PAD src0_sel:WORD_0 src1_sel:DWORD
	v_lshlrev_b16_e32 v51, 8, v49
	v_or_b32_e32 v51, v42, v51
	v_and_b32_e32 v51, 0xffff, v51
	v_cmp_lt_u16_e64 s[10:11], v47, v45
	v_and_or_b32 v51, v43, s37, v51
	s_nop 0
	v_cndmask_b32_e64 v44, v44, v50, s[10:11]
	v_cmp_lt_u16_e64 s[10:11], v46, v49
	v_lshlrev_b16_e32 v46, 8, v54
	v_or_b32_sdwa v46, v48, v46 dst_sel:WORD_1 dst_unused:UNUSED_PAD src0_sel:DWORD src1_sel:DWORD
	v_cndmask_b32_e64 v43, v43, v51, s[10:11]
	v_cndmask_b32_e64 v42, v42, v49, s[10:11]
	v_and_or_b32 v46, v43, s30, v46
	v_cmp_lt_u16_e64 s[10:11], v48, v54
	v_max_u16_e32 v50, v47, v45
	v_min_u16_e32 v47, v47, v45
	v_cndmask_b32_e64 v43, v43, v46, s[10:11]
	v_lshlrev_b16_e32 v46, 8, v53
	v_or_b32_e32 v46, v47, v46
	v_and_b32_e32 v46, 0xffff, v46
	v_and_or_b32 v46, v44, s37, v46
	v_cmp_lt_u16_e64 s[10:11], v47, v53
	v_max_u16_e32 v49, v48, v54
	v_min_u16_e32 v48, v48, v54
	v_cndmask_b32_e64 v44, v44, v46, s[10:11]
	v_lshlrev_b16_e32 v51, 8, v50
	v_cmp_gt_u16_e64 s[10:11], v45, v52
	v_max_u16_e32 v46, v47, v53
	v_min_u16_e32 v47, v47, v53
	v_or_b32_sdwa v51, v52, v51 dst_sel:WORD_1 dst_unused:UNUSED_PAD src0_sel:DWORD src1_sel:DWORD
	v_and_b32_sdwa v53, v43, s36 dst_sel:DWORD dst_unused:UNUSED_PAD src0_sel:WORD_1 src1_sel:DWORD
	v_cndmask_b32_e64 v45, v50, v52, s[10:11]
	v_lshlrev_b16_e32 v50, 8, v48
	v_and_or_b32 v51, v44, s30, v51
	v_or_b32_sdwa v53, v42, v53 dst_sel:WORD_1 dst_unused:UNUSED_PAD src0_sel:DWORD src1_sel:DWORD
	v_or_b32_sdwa v50, v43, v50 dst_sel:DWORD dst_unused:UNUSED_PAD src0_sel:BYTE_0 src1_sel:DWORD
	v_cndmask_b32_e64 v44, v44, v51, s[10:11]
	v_or_b32_sdwa v50, v50, v53 dst_sel:DWORD dst_unused:UNUSED_PAD src0_sel:WORD_0 src1_sel:DWORD
	v_cmp_lt_u16_e64 s[10:11], v48, v42
	v_and_b32_e32 v48, 0xffffff00, v44
	v_or_b32_e32 v48, v49, v48
	v_cndmask_b32_e64 v42, v43, v50, s[10:11]
	v_and_b32_sdwa v43, v42, s33 dst_sel:DWORD dst_unused:UNUSED_PAD src0_sel:WORD_1 src1_sel:DWORD
	v_lshlrev_b16_e32 v50, 8, v47
	v_and_b32_e32 v48, 0xffff, v48
	v_or_b32_sdwa v43, v43, v50 dst_sel:WORD_1 dst_unused:UNUSED_PAD src0_sel:DWORD src1_sel:DWORD
	v_and_or_b32 v48, v44, s37, v48
	v_and_or_b32 v43, v42, s30, v43
	v_cmp_lt_u16_e64 s[10:11], v47, v49
	v_lshlrev_b16_e32 v47, 8, v45
	s_nop 0
	v_cndmask_b32_e64 v42, v42, v43, s[10:11]
	v_cndmask_b32_e64 v43, v44, v48, s[10:11]
	v_and_b32_sdwa v44, v43, s36 dst_sel:DWORD dst_unused:UNUSED_PAD src0_sel:WORD_1 src1_sel:DWORD
	v_or_b32_sdwa v44, v46, v44 dst_sel:WORD_1 dst_unused:UNUSED_PAD src0_sel:DWORD src1_sel:DWORD
	v_or_b32_sdwa v47, v43, v47 dst_sel:DWORD dst_unused:UNUSED_PAD src0_sel:BYTE_0 src1_sel:DWORD
	v_or_b32_sdwa v44, v47, v44 dst_sel:DWORD dst_unused:UNUSED_PAD src0_sel:WORD_0 src1_sel:DWORD
	v_cmp_lt_u16_e64 s[10:11], v45, v46
	s_nop 1
	v_cndmask_b32_e64 v43, v43, v44, s[10:11]
	ds_write_b64 v3, v[42:43]
	v_mov_b32_e32 v42, v37
	s_waitcnt lgkmcnt(0)
	; wave barrier
	s_waitcnt lgkmcnt(0)
	s_and_saveexec_b64 s[12:13], s[0:1]
	s_cbranch_execz .LBB88_6
; %bb.3:                                ;   in Loop: Header=BB88_2 Depth=1
	s_mov_b64 s[14:15], 0
	v_mov_b32_e32 v42, v37
	v_mov_b32_e32 v43, v32
.LBB88_4:                               ;   Parent Loop BB88_2 Depth=1
                                        ; =>  This Inner Loop Header: Depth=2
	v_sub_u32_e32 v44, v43, v42
	v_lshrrev_b32_e32 v45, 31, v44
	v_add_u32_e32 v44, v44, v45
	v_ashrrev_i32_e32 v44, 1, v44
	v_add_u32_e32 v44, v44, v42
	v_not_b32_e32 v46, v44
	v_add_u32_e32 v45, v4, v44
	v_add3_u32 v46, v5, v46, v17
	ds_read_u8 v45, v45
	ds_read_u8 v46, v46
	v_add_u32_e32 v47, 1, v44
	s_waitcnt lgkmcnt(0)
	v_cmp_lt_u16_e64 s[10:11], v46, v45
	s_nop 1
	v_cndmask_b32_e64 v43, v43, v44, s[10:11]
	v_cndmask_b32_e64 v42, v47, v42, s[10:11]
	v_cmp_ge_i32_e64 s[10:11], v42, v43
	s_or_b64 s[14:15], s[10:11], s[14:15]
	s_andn2_b64 exec, exec, s[14:15]
	s_cbranch_execnz .LBB88_4
; %bb.5:                                ;   in Loop: Header=BB88_2 Depth=1
	s_or_b64 exec, exec, s[14:15]
.LBB88_6:                               ;   in Loop: Header=BB88_2 Depth=1
	s_or_b64 exec, exec, s[12:13]
	v_add_u32_e32 v46, v42, v4
	v_sub_u32_e32 v47, v27, v42
	ds_read_u8 v42, v46
	ds_read_u8 v43, v47
	v_cmp_le_i32_e64 s[12:13], v17, v46
	v_cmp_gt_i32_e64 s[10:11], v18, v47
                                        ; implicit-def: $vgpr44
                                        ; implicit-def: $vgpr45
	s_waitcnt lgkmcnt(0)
	v_cmp_lt_u16_sdwa s[14:15], v43, v42 src0_sel:BYTE_0 src1_sel:BYTE_0
	s_or_b64 s[12:13], s[12:13], s[14:15]
	s_and_b64 s[10:11], s[10:11], s[12:13]
	s_xor_b64 s[12:13], s[10:11], -1
	s_and_saveexec_b64 s[14:15], s[12:13]
	s_xor_b64 s[12:13], exec, s[14:15]
	s_cbranch_execz .LBB88_8
; %bb.7:                                ;   in Loop: Header=BB88_2 Depth=1
	ds_read_u8 v45, v46 offset:1
	v_mov_b32_e32 v44, v43
.LBB88_8:                               ;   in Loop: Header=BB88_2 Depth=1
	s_andn2_saveexec_b64 s[12:13], s[12:13]
	s_cbranch_execz .LBB88_10
; %bb.9:                                ;   in Loop: Header=BB88_2 Depth=1
	ds_read_u8 v44, v47 offset:1
	s_waitcnt lgkmcnt(1)
	v_mov_b32_e32 v45, v42
.LBB88_10:                              ;   in Loop: Header=BB88_2 Depth=1
	s_or_b64 exec, exec, s[12:13]
	v_add_u32_e32 v49, 1, v46
	v_add_u32_e32 v48, 1, v47
	v_cndmask_b32_e64 v49, v49, v46, s[10:11]
	v_cndmask_b32_e64 v48, v47, v48, s[10:11]
	v_cmp_ge_i32_e64 s[14:15], v49, v17
	s_waitcnt lgkmcnt(0)
	v_cmp_lt_u16_sdwa s[16:17], v44, v45 src0_sel:BYTE_0 src1_sel:BYTE_0
	v_cmp_lt_i32_e64 s[12:13], v48, v18
	s_or_b64 s[14:15], s[14:15], s[16:17]
	s_and_b64 s[12:13], s[12:13], s[14:15]
	s_xor_b64 s[14:15], s[12:13], -1
                                        ; implicit-def: $vgpr46
	s_and_saveexec_b64 s[16:17], s[14:15]
	s_xor_b64 s[14:15], exec, s[16:17]
	s_cbranch_execz .LBB88_12
; %bb.11:                               ;   in Loop: Header=BB88_2 Depth=1
	ds_read_u8 v46, v49 offset:1
.LBB88_12:                              ;   in Loop: Header=BB88_2 Depth=1
	s_or_saveexec_b64 s[14:15], s[14:15]
	v_mov_b32_e32 v47, v44
	s_xor_b64 exec, exec, s[14:15]
	s_cbranch_execz .LBB88_14
; %bb.13:                               ;   in Loop: Header=BB88_2 Depth=1
	ds_read_u8 v47, v48 offset:1
	s_waitcnt lgkmcnt(1)
	v_mov_b32_e32 v46, v45
.LBB88_14:                              ;   in Loop: Header=BB88_2 Depth=1
	s_or_b64 exec, exec, s[14:15]
	v_add_u32_e32 v51, 1, v49
	v_add_u32_e32 v50, 1, v48
	v_cndmask_b32_e64 v51, v51, v49, s[12:13]
	v_cndmask_b32_e64 v50, v48, v50, s[12:13]
	v_cmp_ge_i32_e64 s[16:17], v51, v17
	s_waitcnt lgkmcnt(0)
	v_cmp_lt_u16_sdwa s[18:19], v47, v46 src0_sel:BYTE_0 src1_sel:BYTE_0
	v_cmp_lt_i32_e64 s[14:15], v50, v18
	s_or_b64 s[16:17], s[16:17], s[18:19]
	s_and_b64 s[14:15], s[14:15], s[16:17]
	s_xor_b64 s[16:17], s[14:15], -1
                                        ; implicit-def: $vgpr48
	s_and_saveexec_b64 s[18:19], s[16:17]
	s_xor_b64 s[16:17], exec, s[18:19]
	s_cbranch_execz .LBB88_16
; %bb.15:                               ;   in Loop: Header=BB88_2 Depth=1
	ds_read_u8 v48, v51 offset:1
.LBB88_16:                              ;   in Loop: Header=BB88_2 Depth=1
	s_or_saveexec_b64 s[16:17], s[16:17]
	v_mov_b32_e32 v49, v47
	s_xor_b64 exec, exec, s[16:17]
	s_cbranch_execz .LBB88_18
; %bb.17:                               ;   in Loop: Header=BB88_2 Depth=1
	ds_read_u8 v49, v50 offset:1
	s_waitcnt lgkmcnt(1)
	v_mov_b32_e32 v48, v46
.LBB88_18:                              ;   in Loop: Header=BB88_2 Depth=1
	s_or_b64 exec, exec, s[16:17]
	v_add_u32_e32 v53, 1, v51
	v_add_u32_e32 v52, 1, v50
	v_cndmask_b32_e64 v53, v53, v51, s[14:15]
	v_cndmask_b32_e64 v52, v50, v52, s[14:15]
	v_cmp_ge_i32_e64 s[18:19], v53, v17
	s_waitcnt lgkmcnt(0)
	v_cmp_lt_u16_sdwa s[20:21], v49, v48 src0_sel:BYTE_0 src1_sel:BYTE_0
	v_cmp_lt_i32_e64 s[16:17], v52, v18
	s_or_b64 s[18:19], s[18:19], s[20:21]
	s_and_b64 s[16:17], s[16:17], s[18:19]
	s_xor_b64 s[18:19], s[16:17], -1
                                        ; implicit-def: $vgpr50
	s_and_saveexec_b64 s[20:21], s[18:19]
	s_xor_b64 s[18:19], exec, s[20:21]
	s_cbranch_execz .LBB88_20
; %bb.19:                               ;   in Loop: Header=BB88_2 Depth=1
	ds_read_u8 v50, v53 offset:1
.LBB88_20:                              ;   in Loop: Header=BB88_2 Depth=1
	s_or_saveexec_b64 s[18:19], s[18:19]
	v_mov_b32_e32 v51, v49
	s_xor_b64 exec, exec, s[18:19]
	s_cbranch_execz .LBB88_22
; %bb.21:                               ;   in Loop: Header=BB88_2 Depth=1
	ds_read_u8 v51, v52 offset:1
	s_waitcnt lgkmcnt(1)
	v_mov_b32_e32 v50, v48
.LBB88_22:                              ;   in Loop: Header=BB88_2 Depth=1
	s_or_b64 exec, exec, s[18:19]
	v_add_u32_e32 v55, 1, v53
	v_add_u32_e32 v54, 1, v52
	v_cndmask_b32_e64 v55, v55, v53, s[16:17]
	v_cndmask_b32_e64 v54, v52, v54, s[16:17]
	v_cmp_ge_i32_e64 s[20:21], v55, v17
	s_waitcnt lgkmcnt(0)
	v_cmp_lt_u16_sdwa s[22:23], v51, v50 src0_sel:BYTE_0 src1_sel:BYTE_0
	v_cmp_lt_i32_e64 s[18:19], v54, v18
	s_or_b64 s[20:21], s[20:21], s[22:23]
	s_and_b64 s[18:19], s[18:19], s[20:21]
	s_xor_b64 s[20:21], s[18:19], -1
                                        ; implicit-def: $vgpr52
	s_and_saveexec_b64 s[22:23], s[20:21]
	s_xor_b64 s[20:21], exec, s[22:23]
	s_cbranch_execz .LBB88_24
; %bb.23:                               ;   in Loop: Header=BB88_2 Depth=1
	ds_read_u8 v52, v55 offset:1
.LBB88_24:                              ;   in Loop: Header=BB88_2 Depth=1
	s_or_saveexec_b64 s[20:21], s[20:21]
	v_mov_b32_e32 v53, v51
	s_xor_b64 exec, exec, s[20:21]
	s_cbranch_execz .LBB88_26
; %bb.25:                               ;   in Loop: Header=BB88_2 Depth=1
	ds_read_u8 v53, v54 offset:1
	s_waitcnt lgkmcnt(1)
	v_mov_b32_e32 v52, v50
.LBB88_26:                              ;   in Loop: Header=BB88_2 Depth=1
	s_or_b64 exec, exec, s[20:21]
	v_add_u32_e32 v57, 1, v55
	v_add_u32_e32 v56, 1, v54
	v_cndmask_b32_e64 v58, v57, v55, s[18:19]
	v_cndmask_b32_e64 v56, v54, v56, s[18:19]
	v_cmp_ge_i32_e64 s[22:23], v58, v17
	s_waitcnt lgkmcnt(0)
	v_cmp_lt_u16_sdwa s[24:25], v53, v52 src0_sel:BYTE_0 src1_sel:BYTE_0
	v_cmp_lt_i32_e64 s[20:21], v56, v18
	s_or_b64 s[22:23], s[22:23], s[24:25]
	s_and_b64 s[20:21], s[20:21], s[22:23]
	s_xor_b64 s[22:23], s[20:21], -1
                                        ; implicit-def: $vgpr54
	s_and_saveexec_b64 s[24:25], s[22:23]
	s_xor_b64 s[22:23], exec, s[24:25]
	s_cbranch_execz .LBB88_28
; %bb.27:                               ;   in Loop: Header=BB88_2 Depth=1
	ds_read_u8 v54, v58 offset:1
.LBB88_28:                              ;   in Loop: Header=BB88_2 Depth=1
	s_or_saveexec_b64 s[22:23], s[22:23]
	v_mov_b32_e32 v55, v53
	s_xor_b64 exec, exec, s[22:23]
	s_cbranch_execz .LBB88_30
; %bb.29:                               ;   in Loop: Header=BB88_2 Depth=1
	ds_read_u8 v55, v56 offset:1
	s_waitcnt lgkmcnt(1)
	v_mov_b32_e32 v54, v52
.LBB88_30:                              ;   in Loop: Header=BB88_2 Depth=1
	s_or_b64 exec, exec, s[22:23]
	v_add_u32_e32 v59, 1, v58
	v_add_u32_e32 v57, 1, v56
	v_cndmask_b32_e64 v58, v59, v58, s[20:21]
	v_cndmask_b32_e64 v57, v56, v57, s[20:21]
	v_cmp_ge_i32_e64 s[24:25], v58, v17
	s_waitcnt lgkmcnt(0)
	v_cmp_lt_u16_sdwa s[40:41], v55, v54 src0_sel:BYTE_0 src1_sel:BYTE_0
	v_cmp_lt_i32_e64 s[22:23], v57, v18
	s_or_b64 s[24:25], s[24:25], s[40:41]
	s_and_b64 s[22:23], s[22:23], s[24:25]
	s_xor_b64 s[24:25], s[22:23], -1
                                        ; implicit-def: $vgpr56
	s_and_saveexec_b64 s[40:41], s[24:25]
	s_xor_b64 s[24:25], exec, s[40:41]
	s_cbranch_execz .LBB88_32
; %bb.31:                               ;   in Loop: Header=BB88_2 Depth=1
	ds_read_u8 v56, v58 offset:1
.LBB88_32:                              ;   in Loop: Header=BB88_2 Depth=1
	s_or_saveexec_b64 s[24:25], s[24:25]
	v_mov_b32_e32 v59, v55
	s_xor_b64 exec, exec, s[24:25]
	s_cbranch_execz .LBB88_34
; %bb.33:                               ;   in Loop: Header=BB88_2 Depth=1
	ds_read_u8 v59, v57 offset:1
	s_waitcnt lgkmcnt(1)
	v_mov_b32_e32 v56, v54
.LBB88_34:                              ;   in Loop: Header=BB88_2 Depth=1
	s_or_b64 exec, exec, s[24:25]
	v_cndmask_b32_e64 v54, v54, v55, s[22:23]
	v_add_u32_e32 v55, 1, v57
	v_add_u32_e32 v60, 1, v58
	v_cndmask_b32_e64 v55, v57, v55, s[22:23]
	v_cndmask_b32_e64 v57, v60, v58, s[22:23]
	;; [unrolled: 1-line block ×4, first 2 shown]
	v_cmp_ge_i32_e64 s[12:13], v57, v17
	s_waitcnt lgkmcnt(0)
	v_cmp_lt_u16_sdwa s[14:15], v59, v56 src0_sel:BYTE_0 src1_sel:BYTE_0
	v_cndmask_b32_e64 v48, v48, v49, s[16:17]
	v_cndmask_b32_e64 v42, v42, v43, s[10:11]
	v_cmp_lt_i32_e64 s[10:11], v55, v18
	s_or_b64 s[12:13], s[12:13], s[14:15]
	v_lshlrev_b16_e32 v44, 8, v44
	s_and_b64 s[10:11], s[10:11], s[12:13]
	v_or_b32_sdwa v42, v42, v44 dst_sel:DWORD dst_unused:UNUSED_PAD src0_sel:BYTE_0 src1_sel:DWORD
	v_lshlrev_b16_e32 v44, 8, v48
	v_cndmask_b32_e64 v52, v52, v53, s[20:21]
	v_cndmask_b32_e64 v43, v56, v59, s[10:11]
	v_or_b32_sdwa v44, v46, v44 dst_sel:WORD_1 dst_unused:UNUSED_PAD src0_sel:BYTE_0 src1_sel:DWORD
	v_cndmask_b32_e64 v50, v50, v51, s[18:19]
	v_or_b32_sdwa v42, v42, v44 dst_sel:DWORD dst_unused:UNUSED_PAD src0_sel:WORD_0 src1_sel:DWORD
	v_lshlrev_b16_e32 v44, 8, v52
	v_lshlrev_b16_e32 v43, 8, v43
	v_or_b32_sdwa v44, v50, v44 dst_sel:DWORD dst_unused:UNUSED_PAD src0_sel:BYTE_0 src1_sel:DWORD
	v_or_b32_sdwa v43, v54, v43 dst_sel:WORD_1 dst_unused:UNUSED_PAD src0_sel:BYTE_0 src1_sel:DWORD
	s_nop 0
	v_or_b32_sdwa v43, v44, v43 dst_sel:DWORD dst_unused:UNUSED_PAD src0_sel:WORD_0 src1_sel:DWORD
	; wave barrier
	ds_write_b64 v3, v[42:43]
	v_mov_b32_e32 v42, v38
	s_waitcnt lgkmcnt(0)
	; wave barrier
	s_waitcnt lgkmcnt(0)
	s_and_saveexec_b64 s[12:13], s[2:3]
	s_cbranch_execz .LBB88_38
; %bb.35:                               ;   in Loop: Header=BB88_2 Depth=1
	s_mov_b64 s[14:15], 0
	v_mov_b32_e32 v42, v38
	v_mov_b32_e32 v43, v33
.LBB88_36:                              ;   Parent Loop BB88_2 Depth=1
                                        ; =>  This Inner Loop Header: Depth=2
	v_sub_u32_e32 v44, v43, v42
	v_lshrrev_b32_e32 v45, 31, v44
	v_add_u32_e32 v44, v44, v45
	v_ashrrev_i32_e32 v44, 1, v44
	v_add_u32_e32 v44, v44, v42
	v_not_b32_e32 v46, v44
	v_add_u32_e32 v45, v6, v44
	v_add3_u32 v46, v7, v46, v19
	ds_read_u8 v45, v45
	ds_read_u8 v46, v46
	v_add_u32_e32 v47, 1, v44
	s_waitcnt lgkmcnt(0)
	v_cmp_lt_u16_e64 s[10:11], v46, v45
	s_nop 1
	v_cndmask_b32_e64 v43, v43, v44, s[10:11]
	v_cndmask_b32_e64 v42, v47, v42, s[10:11]
	v_cmp_ge_i32_e64 s[10:11], v42, v43
	s_or_b64 s[14:15], s[10:11], s[14:15]
	s_andn2_b64 exec, exec, s[14:15]
	s_cbranch_execnz .LBB88_36
; %bb.37:                               ;   in Loop: Header=BB88_2 Depth=1
	s_or_b64 exec, exec, s[14:15]
.LBB88_38:                              ;   in Loop: Header=BB88_2 Depth=1
	s_or_b64 exec, exec, s[12:13]
	v_add_u32_e32 v46, v42, v6
	v_sub_u32_e32 v47, v28, v42
	ds_read_u8 v42, v46
	ds_read_u8 v43, v47
	v_cmp_le_i32_e64 s[12:13], v19, v46
	v_cmp_gt_i32_e64 s[10:11], v20, v47
                                        ; implicit-def: $vgpr44
                                        ; implicit-def: $vgpr45
	s_waitcnt lgkmcnt(0)
	v_cmp_lt_u16_sdwa s[14:15], v43, v42 src0_sel:BYTE_0 src1_sel:BYTE_0
	s_or_b64 s[12:13], s[12:13], s[14:15]
	s_and_b64 s[10:11], s[10:11], s[12:13]
	s_xor_b64 s[12:13], s[10:11], -1
	s_and_saveexec_b64 s[14:15], s[12:13]
	s_xor_b64 s[12:13], exec, s[14:15]
	s_cbranch_execz .LBB88_40
; %bb.39:                               ;   in Loop: Header=BB88_2 Depth=1
	ds_read_u8 v45, v46 offset:1
	v_mov_b32_e32 v44, v43
.LBB88_40:                              ;   in Loop: Header=BB88_2 Depth=1
	s_andn2_saveexec_b64 s[12:13], s[12:13]
	s_cbranch_execz .LBB88_42
; %bb.41:                               ;   in Loop: Header=BB88_2 Depth=1
	ds_read_u8 v44, v47 offset:1
	s_waitcnt lgkmcnt(1)
	v_mov_b32_e32 v45, v42
.LBB88_42:                              ;   in Loop: Header=BB88_2 Depth=1
	s_or_b64 exec, exec, s[12:13]
	v_add_u32_e32 v49, 1, v46
	v_add_u32_e32 v48, 1, v47
	v_cndmask_b32_e64 v49, v49, v46, s[10:11]
	v_cndmask_b32_e64 v48, v47, v48, s[10:11]
	v_cmp_ge_i32_e64 s[14:15], v49, v19
	s_waitcnt lgkmcnt(0)
	v_cmp_lt_u16_sdwa s[16:17], v44, v45 src0_sel:BYTE_0 src1_sel:BYTE_0
	v_cmp_lt_i32_e64 s[12:13], v48, v20
	s_or_b64 s[14:15], s[14:15], s[16:17]
	s_and_b64 s[12:13], s[12:13], s[14:15]
	s_xor_b64 s[14:15], s[12:13], -1
                                        ; implicit-def: $vgpr46
	s_and_saveexec_b64 s[16:17], s[14:15]
	s_xor_b64 s[14:15], exec, s[16:17]
	s_cbranch_execz .LBB88_44
; %bb.43:                               ;   in Loop: Header=BB88_2 Depth=1
	ds_read_u8 v46, v49 offset:1
.LBB88_44:                              ;   in Loop: Header=BB88_2 Depth=1
	s_or_saveexec_b64 s[14:15], s[14:15]
	v_mov_b32_e32 v47, v44
	s_xor_b64 exec, exec, s[14:15]
	s_cbranch_execz .LBB88_46
; %bb.45:                               ;   in Loop: Header=BB88_2 Depth=1
	ds_read_u8 v47, v48 offset:1
	s_waitcnt lgkmcnt(1)
	v_mov_b32_e32 v46, v45
.LBB88_46:                              ;   in Loop: Header=BB88_2 Depth=1
	s_or_b64 exec, exec, s[14:15]
	v_add_u32_e32 v51, 1, v49
	v_add_u32_e32 v50, 1, v48
	v_cndmask_b32_e64 v51, v51, v49, s[12:13]
	v_cndmask_b32_e64 v50, v48, v50, s[12:13]
	v_cmp_ge_i32_e64 s[16:17], v51, v19
	s_waitcnt lgkmcnt(0)
	v_cmp_lt_u16_sdwa s[18:19], v47, v46 src0_sel:BYTE_0 src1_sel:BYTE_0
	v_cmp_lt_i32_e64 s[14:15], v50, v20
	s_or_b64 s[16:17], s[16:17], s[18:19]
	s_and_b64 s[14:15], s[14:15], s[16:17]
	s_xor_b64 s[16:17], s[14:15], -1
                                        ; implicit-def: $vgpr48
	s_and_saveexec_b64 s[18:19], s[16:17]
	s_xor_b64 s[16:17], exec, s[18:19]
	s_cbranch_execz .LBB88_48
; %bb.47:                               ;   in Loop: Header=BB88_2 Depth=1
	ds_read_u8 v48, v51 offset:1
.LBB88_48:                              ;   in Loop: Header=BB88_2 Depth=1
	s_or_saveexec_b64 s[16:17], s[16:17]
	v_mov_b32_e32 v49, v47
	s_xor_b64 exec, exec, s[16:17]
	s_cbranch_execz .LBB88_50
; %bb.49:                               ;   in Loop: Header=BB88_2 Depth=1
	ds_read_u8 v49, v50 offset:1
	s_waitcnt lgkmcnt(1)
	v_mov_b32_e32 v48, v46
.LBB88_50:                              ;   in Loop: Header=BB88_2 Depth=1
	s_or_b64 exec, exec, s[16:17]
	v_add_u32_e32 v53, 1, v51
	v_add_u32_e32 v52, 1, v50
	v_cndmask_b32_e64 v53, v53, v51, s[14:15]
	v_cndmask_b32_e64 v52, v50, v52, s[14:15]
	v_cmp_ge_i32_e64 s[18:19], v53, v19
	s_waitcnt lgkmcnt(0)
	v_cmp_lt_u16_sdwa s[20:21], v49, v48 src0_sel:BYTE_0 src1_sel:BYTE_0
	v_cmp_lt_i32_e64 s[16:17], v52, v20
	s_or_b64 s[18:19], s[18:19], s[20:21]
	s_and_b64 s[16:17], s[16:17], s[18:19]
	s_xor_b64 s[18:19], s[16:17], -1
                                        ; implicit-def: $vgpr50
	s_and_saveexec_b64 s[20:21], s[18:19]
	s_xor_b64 s[18:19], exec, s[20:21]
	s_cbranch_execz .LBB88_52
; %bb.51:                               ;   in Loop: Header=BB88_2 Depth=1
	ds_read_u8 v50, v53 offset:1
.LBB88_52:                              ;   in Loop: Header=BB88_2 Depth=1
	s_or_saveexec_b64 s[18:19], s[18:19]
	v_mov_b32_e32 v51, v49
	s_xor_b64 exec, exec, s[18:19]
	s_cbranch_execz .LBB88_54
; %bb.53:                               ;   in Loop: Header=BB88_2 Depth=1
	ds_read_u8 v51, v52 offset:1
	s_waitcnt lgkmcnt(1)
	v_mov_b32_e32 v50, v48
.LBB88_54:                              ;   in Loop: Header=BB88_2 Depth=1
	s_or_b64 exec, exec, s[18:19]
	v_add_u32_e32 v55, 1, v53
	v_add_u32_e32 v54, 1, v52
	v_cndmask_b32_e64 v55, v55, v53, s[16:17]
	v_cndmask_b32_e64 v54, v52, v54, s[16:17]
	v_cmp_ge_i32_e64 s[20:21], v55, v19
	s_waitcnt lgkmcnt(0)
	v_cmp_lt_u16_sdwa s[22:23], v51, v50 src0_sel:BYTE_0 src1_sel:BYTE_0
	v_cmp_lt_i32_e64 s[18:19], v54, v20
	s_or_b64 s[20:21], s[20:21], s[22:23]
	s_and_b64 s[18:19], s[18:19], s[20:21]
	s_xor_b64 s[20:21], s[18:19], -1
                                        ; implicit-def: $vgpr52
	s_and_saveexec_b64 s[22:23], s[20:21]
	s_xor_b64 s[20:21], exec, s[22:23]
	s_cbranch_execz .LBB88_56
; %bb.55:                               ;   in Loop: Header=BB88_2 Depth=1
	ds_read_u8 v52, v55 offset:1
.LBB88_56:                              ;   in Loop: Header=BB88_2 Depth=1
	s_or_saveexec_b64 s[20:21], s[20:21]
	v_mov_b32_e32 v53, v51
	s_xor_b64 exec, exec, s[20:21]
	s_cbranch_execz .LBB88_58
; %bb.57:                               ;   in Loop: Header=BB88_2 Depth=1
	ds_read_u8 v53, v54 offset:1
	s_waitcnt lgkmcnt(1)
	v_mov_b32_e32 v52, v50
.LBB88_58:                              ;   in Loop: Header=BB88_2 Depth=1
	s_or_b64 exec, exec, s[20:21]
	v_add_u32_e32 v57, 1, v55
	v_add_u32_e32 v56, 1, v54
	v_cndmask_b32_e64 v58, v57, v55, s[18:19]
	v_cndmask_b32_e64 v56, v54, v56, s[18:19]
	v_cmp_ge_i32_e64 s[22:23], v58, v19
	s_waitcnt lgkmcnt(0)
	v_cmp_lt_u16_sdwa s[24:25], v53, v52 src0_sel:BYTE_0 src1_sel:BYTE_0
	v_cmp_lt_i32_e64 s[20:21], v56, v20
	s_or_b64 s[22:23], s[22:23], s[24:25]
	s_and_b64 s[20:21], s[20:21], s[22:23]
	s_xor_b64 s[22:23], s[20:21], -1
                                        ; implicit-def: $vgpr54
	s_and_saveexec_b64 s[24:25], s[22:23]
	s_xor_b64 s[22:23], exec, s[24:25]
	s_cbranch_execz .LBB88_60
; %bb.59:                               ;   in Loop: Header=BB88_2 Depth=1
	ds_read_u8 v54, v58 offset:1
.LBB88_60:                              ;   in Loop: Header=BB88_2 Depth=1
	s_or_saveexec_b64 s[22:23], s[22:23]
	v_mov_b32_e32 v55, v53
	s_xor_b64 exec, exec, s[22:23]
	s_cbranch_execz .LBB88_62
; %bb.61:                               ;   in Loop: Header=BB88_2 Depth=1
	ds_read_u8 v55, v56 offset:1
	s_waitcnt lgkmcnt(1)
	v_mov_b32_e32 v54, v52
.LBB88_62:                              ;   in Loop: Header=BB88_2 Depth=1
	s_or_b64 exec, exec, s[22:23]
	v_add_u32_e32 v59, 1, v58
	v_add_u32_e32 v57, 1, v56
	v_cndmask_b32_e64 v58, v59, v58, s[20:21]
	v_cndmask_b32_e64 v57, v56, v57, s[20:21]
	v_cmp_ge_i32_e64 s[24:25], v58, v19
	s_waitcnt lgkmcnt(0)
	v_cmp_lt_u16_sdwa s[40:41], v55, v54 src0_sel:BYTE_0 src1_sel:BYTE_0
	v_cmp_lt_i32_e64 s[22:23], v57, v20
	s_or_b64 s[24:25], s[24:25], s[40:41]
	s_and_b64 s[22:23], s[22:23], s[24:25]
	s_xor_b64 s[24:25], s[22:23], -1
                                        ; implicit-def: $vgpr56
	s_and_saveexec_b64 s[40:41], s[24:25]
	s_xor_b64 s[24:25], exec, s[40:41]
	s_cbranch_execz .LBB88_64
; %bb.63:                               ;   in Loop: Header=BB88_2 Depth=1
	ds_read_u8 v56, v58 offset:1
.LBB88_64:                              ;   in Loop: Header=BB88_2 Depth=1
	s_or_saveexec_b64 s[24:25], s[24:25]
	v_mov_b32_e32 v59, v55
	s_xor_b64 exec, exec, s[24:25]
	s_cbranch_execz .LBB88_66
; %bb.65:                               ;   in Loop: Header=BB88_2 Depth=1
	ds_read_u8 v59, v57 offset:1
	s_waitcnt lgkmcnt(1)
	v_mov_b32_e32 v56, v54
.LBB88_66:                              ;   in Loop: Header=BB88_2 Depth=1
	s_or_b64 exec, exec, s[24:25]
	v_cndmask_b32_e64 v54, v54, v55, s[22:23]
	v_add_u32_e32 v55, 1, v57
	v_add_u32_e32 v60, 1, v58
	v_cndmask_b32_e64 v55, v57, v55, s[22:23]
	v_cndmask_b32_e64 v57, v60, v58, s[22:23]
	;; [unrolled: 1-line block ×4, first 2 shown]
	v_cmp_ge_i32_e64 s[12:13], v57, v19
	s_waitcnt lgkmcnt(0)
	v_cmp_lt_u16_sdwa s[14:15], v59, v56 src0_sel:BYTE_0 src1_sel:BYTE_0
	v_cndmask_b32_e64 v48, v48, v49, s[16:17]
	v_cndmask_b32_e64 v42, v42, v43, s[10:11]
	v_cmp_lt_i32_e64 s[10:11], v55, v20
	s_or_b64 s[12:13], s[12:13], s[14:15]
	v_lshlrev_b16_e32 v44, 8, v44
	s_and_b64 s[10:11], s[10:11], s[12:13]
	v_or_b32_sdwa v42, v42, v44 dst_sel:DWORD dst_unused:UNUSED_PAD src0_sel:BYTE_0 src1_sel:DWORD
	v_lshlrev_b16_e32 v44, 8, v48
	v_cndmask_b32_e64 v52, v52, v53, s[20:21]
	v_cndmask_b32_e64 v43, v56, v59, s[10:11]
	v_or_b32_sdwa v44, v46, v44 dst_sel:WORD_1 dst_unused:UNUSED_PAD src0_sel:BYTE_0 src1_sel:DWORD
	v_cndmask_b32_e64 v50, v50, v51, s[18:19]
	v_or_b32_sdwa v42, v42, v44 dst_sel:DWORD dst_unused:UNUSED_PAD src0_sel:WORD_0 src1_sel:DWORD
	v_lshlrev_b16_e32 v44, 8, v52
	v_lshlrev_b16_e32 v43, 8, v43
	v_or_b32_sdwa v44, v50, v44 dst_sel:DWORD dst_unused:UNUSED_PAD src0_sel:BYTE_0 src1_sel:DWORD
	v_or_b32_sdwa v43, v54, v43 dst_sel:WORD_1 dst_unused:UNUSED_PAD src0_sel:BYTE_0 src1_sel:DWORD
	s_nop 0
	v_or_b32_sdwa v43, v44, v43 dst_sel:DWORD dst_unused:UNUSED_PAD src0_sel:WORD_0 src1_sel:DWORD
	; wave barrier
	ds_write_b64 v3, v[42:43]
	v_mov_b32_e32 v42, v39
	s_waitcnt lgkmcnt(0)
	; wave barrier
	s_waitcnt lgkmcnt(0)
	s_and_saveexec_b64 s[12:13], s[4:5]
	s_cbranch_execz .LBB88_70
; %bb.67:                               ;   in Loop: Header=BB88_2 Depth=1
	s_mov_b64 s[14:15], 0
	v_mov_b32_e32 v42, v39
	v_mov_b32_e32 v43, v34
.LBB88_68:                              ;   Parent Loop BB88_2 Depth=1
                                        ; =>  This Inner Loop Header: Depth=2
	v_sub_u32_e32 v44, v43, v42
	v_lshrrev_b32_e32 v45, 31, v44
	v_add_u32_e32 v44, v44, v45
	v_ashrrev_i32_e32 v44, 1, v44
	v_add_u32_e32 v44, v44, v42
	v_not_b32_e32 v46, v44
	v_add_u32_e32 v45, v8, v44
	v_add3_u32 v46, v9, v46, v21
	ds_read_u8 v45, v45
	ds_read_u8 v46, v46
	v_add_u32_e32 v47, 1, v44
	s_waitcnt lgkmcnt(0)
	v_cmp_lt_u16_e64 s[10:11], v46, v45
	s_nop 1
	v_cndmask_b32_e64 v43, v43, v44, s[10:11]
	v_cndmask_b32_e64 v42, v47, v42, s[10:11]
	v_cmp_ge_i32_e64 s[10:11], v42, v43
	s_or_b64 s[14:15], s[10:11], s[14:15]
	s_andn2_b64 exec, exec, s[14:15]
	s_cbranch_execnz .LBB88_68
; %bb.69:                               ;   in Loop: Header=BB88_2 Depth=1
	s_or_b64 exec, exec, s[14:15]
.LBB88_70:                              ;   in Loop: Header=BB88_2 Depth=1
	s_or_b64 exec, exec, s[12:13]
	v_add_u32_e32 v46, v42, v8
	v_sub_u32_e32 v47, v29, v42
	ds_read_u8 v42, v46
	ds_read_u8 v43, v47
	v_cmp_le_i32_e64 s[12:13], v21, v46
	v_cmp_gt_i32_e64 s[10:11], v22, v47
                                        ; implicit-def: $vgpr44
                                        ; implicit-def: $vgpr45
	s_waitcnt lgkmcnt(0)
	v_cmp_lt_u16_sdwa s[14:15], v43, v42 src0_sel:BYTE_0 src1_sel:BYTE_0
	s_or_b64 s[12:13], s[12:13], s[14:15]
	s_and_b64 s[10:11], s[10:11], s[12:13]
	s_xor_b64 s[12:13], s[10:11], -1
	s_and_saveexec_b64 s[14:15], s[12:13]
	s_xor_b64 s[12:13], exec, s[14:15]
	s_cbranch_execz .LBB88_72
; %bb.71:                               ;   in Loop: Header=BB88_2 Depth=1
	ds_read_u8 v45, v46 offset:1
	v_mov_b32_e32 v44, v43
.LBB88_72:                              ;   in Loop: Header=BB88_2 Depth=1
	s_andn2_saveexec_b64 s[12:13], s[12:13]
	s_cbranch_execz .LBB88_74
; %bb.73:                               ;   in Loop: Header=BB88_2 Depth=1
	ds_read_u8 v44, v47 offset:1
	s_waitcnt lgkmcnt(1)
	v_mov_b32_e32 v45, v42
.LBB88_74:                              ;   in Loop: Header=BB88_2 Depth=1
	s_or_b64 exec, exec, s[12:13]
	v_add_u32_e32 v49, 1, v46
	v_add_u32_e32 v48, 1, v47
	v_cndmask_b32_e64 v49, v49, v46, s[10:11]
	v_cndmask_b32_e64 v48, v47, v48, s[10:11]
	v_cmp_ge_i32_e64 s[14:15], v49, v21
	s_waitcnt lgkmcnt(0)
	v_cmp_lt_u16_sdwa s[16:17], v44, v45 src0_sel:BYTE_0 src1_sel:BYTE_0
	v_cmp_lt_i32_e64 s[12:13], v48, v22
	s_or_b64 s[14:15], s[14:15], s[16:17]
	s_and_b64 s[12:13], s[12:13], s[14:15]
	s_xor_b64 s[14:15], s[12:13], -1
                                        ; implicit-def: $vgpr46
	s_and_saveexec_b64 s[16:17], s[14:15]
	s_xor_b64 s[14:15], exec, s[16:17]
	s_cbranch_execz .LBB88_76
; %bb.75:                               ;   in Loop: Header=BB88_2 Depth=1
	ds_read_u8 v46, v49 offset:1
.LBB88_76:                              ;   in Loop: Header=BB88_2 Depth=1
	s_or_saveexec_b64 s[14:15], s[14:15]
	v_mov_b32_e32 v47, v44
	s_xor_b64 exec, exec, s[14:15]
	s_cbranch_execz .LBB88_78
; %bb.77:                               ;   in Loop: Header=BB88_2 Depth=1
	ds_read_u8 v47, v48 offset:1
	s_waitcnt lgkmcnt(1)
	v_mov_b32_e32 v46, v45
.LBB88_78:                              ;   in Loop: Header=BB88_2 Depth=1
	s_or_b64 exec, exec, s[14:15]
	v_add_u32_e32 v51, 1, v49
	v_add_u32_e32 v50, 1, v48
	v_cndmask_b32_e64 v51, v51, v49, s[12:13]
	v_cndmask_b32_e64 v50, v48, v50, s[12:13]
	v_cmp_ge_i32_e64 s[16:17], v51, v21
	s_waitcnt lgkmcnt(0)
	v_cmp_lt_u16_sdwa s[18:19], v47, v46 src0_sel:BYTE_0 src1_sel:BYTE_0
	v_cmp_lt_i32_e64 s[14:15], v50, v22
	s_or_b64 s[16:17], s[16:17], s[18:19]
	s_and_b64 s[14:15], s[14:15], s[16:17]
	s_xor_b64 s[16:17], s[14:15], -1
                                        ; implicit-def: $vgpr48
	s_and_saveexec_b64 s[18:19], s[16:17]
	s_xor_b64 s[16:17], exec, s[18:19]
	s_cbranch_execz .LBB88_80
; %bb.79:                               ;   in Loop: Header=BB88_2 Depth=1
	ds_read_u8 v48, v51 offset:1
.LBB88_80:                              ;   in Loop: Header=BB88_2 Depth=1
	s_or_saveexec_b64 s[16:17], s[16:17]
	v_mov_b32_e32 v49, v47
	s_xor_b64 exec, exec, s[16:17]
	s_cbranch_execz .LBB88_82
; %bb.81:                               ;   in Loop: Header=BB88_2 Depth=1
	ds_read_u8 v49, v50 offset:1
	s_waitcnt lgkmcnt(1)
	v_mov_b32_e32 v48, v46
.LBB88_82:                              ;   in Loop: Header=BB88_2 Depth=1
	s_or_b64 exec, exec, s[16:17]
	v_add_u32_e32 v53, 1, v51
	v_add_u32_e32 v52, 1, v50
	v_cndmask_b32_e64 v53, v53, v51, s[14:15]
	v_cndmask_b32_e64 v52, v50, v52, s[14:15]
	v_cmp_ge_i32_e64 s[18:19], v53, v21
	s_waitcnt lgkmcnt(0)
	v_cmp_lt_u16_sdwa s[20:21], v49, v48 src0_sel:BYTE_0 src1_sel:BYTE_0
	v_cmp_lt_i32_e64 s[16:17], v52, v22
	s_or_b64 s[18:19], s[18:19], s[20:21]
	s_and_b64 s[16:17], s[16:17], s[18:19]
	s_xor_b64 s[18:19], s[16:17], -1
                                        ; implicit-def: $vgpr50
	s_and_saveexec_b64 s[20:21], s[18:19]
	s_xor_b64 s[18:19], exec, s[20:21]
	s_cbranch_execz .LBB88_84
; %bb.83:                               ;   in Loop: Header=BB88_2 Depth=1
	ds_read_u8 v50, v53 offset:1
.LBB88_84:                              ;   in Loop: Header=BB88_2 Depth=1
	s_or_saveexec_b64 s[18:19], s[18:19]
	v_mov_b32_e32 v51, v49
	s_xor_b64 exec, exec, s[18:19]
	s_cbranch_execz .LBB88_86
; %bb.85:                               ;   in Loop: Header=BB88_2 Depth=1
	ds_read_u8 v51, v52 offset:1
	s_waitcnt lgkmcnt(1)
	v_mov_b32_e32 v50, v48
.LBB88_86:                              ;   in Loop: Header=BB88_2 Depth=1
	s_or_b64 exec, exec, s[18:19]
	v_add_u32_e32 v55, 1, v53
	v_add_u32_e32 v54, 1, v52
	v_cndmask_b32_e64 v55, v55, v53, s[16:17]
	v_cndmask_b32_e64 v54, v52, v54, s[16:17]
	v_cmp_ge_i32_e64 s[20:21], v55, v21
	s_waitcnt lgkmcnt(0)
	v_cmp_lt_u16_sdwa s[22:23], v51, v50 src0_sel:BYTE_0 src1_sel:BYTE_0
	v_cmp_lt_i32_e64 s[18:19], v54, v22
	s_or_b64 s[20:21], s[20:21], s[22:23]
	s_and_b64 s[18:19], s[18:19], s[20:21]
	s_xor_b64 s[20:21], s[18:19], -1
                                        ; implicit-def: $vgpr52
	s_and_saveexec_b64 s[22:23], s[20:21]
	s_xor_b64 s[20:21], exec, s[22:23]
	s_cbranch_execz .LBB88_88
; %bb.87:                               ;   in Loop: Header=BB88_2 Depth=1
	ds_read_u8 v52, v55 offset:1
.LBB88_88:                              ;   in Loop: Header=BB88_2 Depth=1
	s_or_saveexec_b64 s[20:21], s[20:21]
	v_mov_b32_e32 v53, v51
	s_xor_b64 exec, exec, s[20:21]
	s_cbranch_execz .LBB88_90
; %bb.89:                               ;   in Loop: Header=BB88_2 Depth=1
	ds_read_u8 v53, v54 offset:1
	s_waitcnt lgkmcnt(1)
	v_mov_b32_e32 v52, v50
.LBB88_90:                              ;   in Loop: Header=BB88_2 Depth=1
	s_or_b64 exec, exec, s[20:21]
	v_add_u32_e32 v57, 1, v55
	v_add_u32_e32 v56, 1, v54
	v_cndmask_b32_e64 v58, v57, v55, s[18:19]
	v_cndmask_b32_e64 v56, v54, v56, s[18:19]
	v_cmp_ge_i32_e64 s[22:23], v58, v21
	s_waitcnt lgkmcnt(0)
	v_cmp_lt_u16_sdwa s[24:25], v53, v52 src0_sel:BYTE_0 src1_sel:BYTE_0
	v_cmp_lt_i32_e64 s[20:21], v56, v22
	s_or_b64 s[22:23], s[22:23], s[24:25]
	s_and_b64 s[20:21], s[20:21], s[22:23]
	s_xor_b64 s[22:23], s[20:21], -1
                                        ; implicit-def: $vgpr54
	s_and_saveexec_b64 s[24:25], s[22:23]
	s_xor_b64 s[22:23], exec, s[24:25]
	s_cbranch_execz .LBB88_92
; %bb.91:                               ;   in Loop: Header=BB88_2 Depth=1
	ds_read_u8 v54, v58 offset:1
.LBB88_92:                              ;   in Loop: Header=BB88_2 Depth=1
	s_or_saveexec_b64 s[22:23], s[22:23]
	v_mov_b32_e32 v55, v53
	s_xor_b64 exec, exec, s[22:23]
	s_cbranch_execz .LBB88_94
; %bb.93:                               ;   in Loop: Header=BB88_2 Depth=1
	ds_read_u8 v55, v56 offset:1
	s_waitcnt lgkmcnt(1)
	v_mov_b32_e32 v54, v52
.LBB88_94:                              ;   in Loop: Header=BB88_2 Depth=1
	s_or_b64 exec, exec, s[22:23]
	v_add_u32_e32 v59, 1, v58
	v_add_u32_e32 v57, 1, v56
	v_cndmask_b32_e64 v58, v59, v58, s[20:21]
	v_cndmask_b32_e64 v57, v56, v57, s[20:21]
	v_cmp_ge_i32_e64 s[24:25], v58, v21
	s_waitcnt lgkmcnt(0)
	v_cmp_lt_u16_sdwa s[40:41], v55, v54 src0_sel:BYTE_0 src1_sel:BYTE_0
	v_cmp_lt_i32_e64 s[22:23], v57, v22
	s_or_b64 s[24:25], s[24:25], s[40:41]
	s_and_b64 s[22:23], s[22:23], s[24:25]
	s_xor_b64 s[24:25], s[22:23], -1
                                        ; implicit-def: $vgpr56
	s_and_saveexec_b64 s[40:41], s[24:25]
	s_xor_b64 s[24:25], exec, s[40:41]
	s_cbranch_execz .LBB88_96
; %bb.95:                               ;   in Loop: Header=BB88_2 Depth=1
	ds_read_u8 v56, v58 offset:1
.LBB88_96:                              ;   in Loop: Header=BB88_2 Depth=1
	s_or_saveexec_b64 s[24:25], s[24:25]
	v_mov_b32_e32 v59, v55
	s_xor_b64 exec, exec, s[24:25]
	s_cbranch_execz .LBB88_98
; %bb.97:                               ;   in Loop: Header=BB88_2 Depth=1
	ds_read_u8 v59, v57 offset:1
	s_waitcnt lgkmcnt(1)
	v_mov_b32_e32 v56, v54
.LBB88_98:                              ;   in Loop: Header=BB88_2 Depth=1
	s_or_b64 exec, exec, s[24:25]
	v_cndmask_b32_e64 v54, v54, v55, s[22:23]
	v_add_u32_e32 v55, 1, v57
	v_add_u32_e32 v60, 1, v58
	v_cndmask_b32_e64 v55, v57, v55, s[22:23]
	v_cndmask_b32_e64 v57, v60, v58, s[22:23]
	;; [unrolled: 1-line block ×4, first 2 shown]
	v_cmp_ge_i32_e64 s[12:13], v57, v21
	s_waitcnt lgkmcnt(0)
	v_cmp_lt_u16_sdwa s[14:15], v59, v56 src0_sel:BYTE_0 src1_sel:BYTE_0
	v_cndmask_b32_e64 v48, v48, v49, s[16:17]
	v_cndmask_b32_e64 v42, v42, v43, s[10:11]
	v_cmp_lt_i32_e64 s[10:11], v55, v22
	s_or_b64 s[12:13], s[12:13], s[14:15]
	v_lshlrev_b16_e32 v44, 8, v44
	s_and_b64 s[10:11], s[10:11], s[12:13]
	v_or_b32_sdwa v42, v42, v44 dst_sel:DWORD dst_unused:UNUSED_PAD src0_sel:BYTE_0 src1_sel:DWORD
	v_lshlrev_b16_e32 v44, 8, v48
	v_cndmask_b32_e64 v52, v52, v53, s[20:21]
	v_cndmask_b32_e64 v43, v56, v59, s[10:11]
	v_or_b32_sdwa v44, v46, v44 dst_sel:WORD_1 dst_unused:UNUSED_PAD src0_sel:BYTE_0 src1_sel:DWORD
	v_cndmask_b32_e64 v50, v50, v51, s[18:19]
	v_or_b32_sdwa v42, v42, v44 dst_sel:DWORD dst_unused:UNUSED_PAD src0_sel:WORD_0 src1_sel:DWORD
	v_lshlrev_b16_e32 v44, 8, v52
	v_lshlrev_b16_e32 v43, 8, v43
	v_or_b32_sdwa v44, v50, v44 dst_sel:DWORD dst_unused:UNUSED_PAD src0_sel:BYTE_0 src1_sel:DWORD
	v_or_b32_sdwa v43, v54, v43 dst_sel:WORD_1 dst_unused:UNUSED_PAD src0_sel:BYTE_0 src1_sel:DWORD
	s_nop 0
	v_or_b32_sdwa v43, v44, v43 dst_sel:DWORD dst_unused:UNUSED_PAD src0_sel:WORD_0 src1_sel:DWORD
	; wave barrier
	ds_write_b64 v3, v[42:43]
	v_mov_b32_e32 v42, v40
	s_waitcnt lgkmcnt(0)
	; wave barrier
	s_waitcnt lgkmcnt(0)
	s_and_saveexec_b64 s[12:13], s[6:7]
	s_cbranch_execz .LBB88_102
; %bb.99:                               ;   in Loop: Header=BB88_2 Depth=1
	s_mov_b64 s[14:15], 0
	v_mov_b32_e32 v42, v40
	v_mov_b32_e32 v43, v35
.LBB88_100:                             ;   Parent Loop BB88_2 Depth=1
                                        ; =>  This Inner Loop Header: Depth=2
	v_sub_u32_e32 v44, v43, v42
	v_lshrrev_b32_e32 v45, 31, v44
	v_add_u32_e32 v44, v44, v45
	v_ashrrev_i32_e32 v44, 1, v44
	v_add_u32_e32 v44, v44, v42
	v_not_b32_e32 v46, v44
	v_add_u32_e32 v45, v10, v44
	v_add3_u32 v46, v11, v46, v23
	ds_read_u8 v45, v45
	ds_read_u8 v46, v46
	v_add_u32_e32 v47, 1, v44
	s_waitcnt lgkmcnt(0)
	v_cmp_lt_u16_e64 s[10:11], v46, v45
	s_nop 1
	v_cndmask_b32_e64 v43, v43, v44, s[10:11]
	v_cndmask_b32_e64 v42, v47, v42, s[10:11]
	v_cmp_ge_i32_e64 s[10:11], v42, v43
	s_or_b64 s[14:15], s[10:11], s[14:15]
	s_andn2_b64 exec, exec, s[14:15]
	s_cbranch_execnz .LBB88_100
; %bb.101:                              ;   in Loop: Header=BB88_2 Depth=1
	s_or_b64 exec, exec, s[14:15]
.LBB88_102:                             ;   in Loop: Header=BB88_2 Depth=1
	s_or_b64 exec, exec, s[12:13]
	v_add_u32_e32 v46, v42, v10
	v_sub_u32_e32 v47, v30, v42
	ds_read_u8 v42, v46
	ds_read_u8 v43, v47
	v_cmp_le_i32_e64 s[12:13], v23, v46
	v_cmp_gt_i32_e64 s[10:11], v24, v47
                                        ; implicit-def: $vgpr44
                                        ; implicit-def: $vgpr45
	s_waitcnt lgkmcnt(0)
	v_cmp_lt_u16_sdwa s[14:15], v43, v42 src0_sel:BYTE_0 src1_sel:BYTE_0
	s_or_b64 s[12:13], s[12:13], s[14:15]
	s_and_b64 s[10:11], s[10:11], s[12:13]
	s_xor_b64 s[12:13], s[10:11], -1
	s_and_saveexec_b64 s[14:15], s[12:13]
	s_xor_b64 s[12:13], exec, s[14:15]
	s_cbranch_execz .LBB88_104
; %bb.103:                              ;   in Loop: Header=BB88_2 Depth=1
	ds_read_u8 v45, v46 offset:1
	v_mov_b32_e32 v44, v43
.LBB88_104:                             ;   in Loop: Header=BB88_2 Depth=1
	s_andn2_saveexec_b64 s[12:13], s[12:13]
	s_cbranch_execz .LBB88_106
; %bb.105:                              ;   in Loop: Header=BB88_2 Depth=1
	ds_read_u8 v44, v47 offset:1
	s_waitcnt lgkmcnt(1)
	v_mov_b32_e32 v45, v42
.LBB88_106:                             ;   in Loop: Header=BB88_2 Depth=1
	s_or_b64 exec, exec, s[12:13]
	v_add_u32_e32 v49, 1, v46
	v_add_u32_e32 v48, 1, v47
	v_cndmask_b32_e64 v49, v49, v46, s[10:11]
	v_cndmask_b32_e64 v48, v47, v48, s[10:11]
	v_cmp_ge_i32_e64 s[14:15], v49, v23
	s_waitcnt lgkmcnt(0)
	v_cmp_lt_u16_sdwa s[16:17], v44, v45 src0_sel:BYTE_0 src1_sel:BYTE_0
	v_cmp_lt_i32_e64 s[12:13], v48, v24
	s_or_b64 s[14:15], s[14:15], s[16:17]
	s_and_b64 s[12:13], s[12:13], s[14:15]
	s_xor_b64 s[14:15], s[12:13], -1
                                        ; implicit-def: $vgpr46
	s_and_saveexec_b64 s[16:17], s[14:15]
	s_xor_b64 s[14:15], exec, s[16:17]
	s_cbranch_execz .LBB88_108
; %bb.107:                              ;   in Loop: Header=BB88_2 Depth=1
	ds_read_u8 v46, v49 offset:1
.LBB88_108:                             ;   in Loop: Header=BB88_2 Depth=1
	s_or_saveexec_b64 s[14:15], s[14:15]
	v_mov_b32_e32 v47, v44
	s_xor_b64 exec, exec, s[14:15]
	s_cbranch_execz .LBB88_110
; %bb.109:                              ;   in Loop: Header=BB88_2 Depth=1
	ds_read_u8 v47, v48 offset:1
	s_waitcnt lgkmcnt(1)
	v_mov_b32_e32 v46, v45
.LBB88_110:                             ;   in Loop: Header=BB88_2 Depth=1
	s_or_b64 exec, exec, s[14:15]
	v_add_u32_e32 v51, 1, v49
	v_add_u32_e32 v50, 1, v48
	v_cndmask_b32_e64 v51, v51, v49, s[12:13]
	v_cndmask_b32_e64 v50, v48, v50, s[12:13]
	v_cmp_ge_i32_e64 s[16:17], v51, v23
	s_waitcnt lgkmcnt(0)
	v_cmp_lt_u16_sdwa s[18:19], v47, v46 src0_sel:BYTE_0 src1_sel:BYTE_0
	v_cmp_lt_i32_e64 s[14:15], v50, v24
	s_or_b64 s[16:17], s[16:17], s[18:19]
	s_and_b64 s[14:15], s[14:15], s[16:17]
	s_xor_b64 s[16:17], s[14:15], -1
                                        ; implicit-def: $vgpr48
	s_and_saveexec_b64 s[18:19], s[16:17]
	s_xor_b64 s[16:17], exec, s[18:19]
	s_cbranch_execz .LBB88_112
; %bb.111:                              ;   in Loop: Header=BB88_2 Depth=1
	ds_read_u8 v48, v51 offset:1
.LBB88_112:                             ;   in Loop: Header=BB88_2 Depth=1
	s_or_saveexec_b64 s[16:17], s[16:17]
	v_mov_b32_e32 v49, v47
	s_xor_b64 exec, exec, s[16:17]
	s_cbranch_execz .LBB88_114
; %bb.113:                              ;   in Loop: Header=BB88_2 Depth=1
	ds_read_u8 v49, v50 offset:1
	s_waitcnt lgkmcnt(1)
	v_mov_b32_e32 v48, v46
.LBB88_114:                             ;   in Loop: Header=BB88_2 Depth=1
	s_or_b64 exec, exec, s[16:17]
	v_add_u32_e32 v53, 1, v51
	v_add_u32_e32 v52, 1, v50
	v_cndmask_b32_e64 v53, v53, v51, s[14:15]
	v_cndmask_b32_e64 v52, v50, v52, s[14:15]
	v_cmp_ge_i32_e64 s[18:19], v53, v23
	s_waitcnt lgkmcnt(0)
	v_cmp_lt_u16_sdwa s[20:21], v49, v48 src0_sel:BYTE_0 src1_sel:BYTE_0
	v_cmp_lt_i32_e64 s[16:17], v52, v24
	s_or_b64 s[18:19], s[18:19], s[20:21]
	s_and_b64 s[16:17], s[16:17], s[18:19]
	s_xor_b64 s[18:19], s[16:17], -1
                                        ; implicit-def: $vgpr50
	s_and_saveexec_b64 s[20:21], s[18:19]
	s_xor_b64 s[18:19], exec, s[20:21]
	s_cbranch_execz .LBB88_116
; %bb.115:                              ;   in Loop: Header=BB88_2 Depth=1
	ds_read_u8 v50, v53 offset:1
.LBB88_116:                             ;   in Loop: Header=BB88_2 Depth=1
	s_or_saveexec_b64 s[18:19], s[18:19]
	v_mov_b32_e32 v51, v49
	s_xor_b64 exec, exec, s[18:19]
	s_cbranch_execz .LBB88_118
; %bb.117:                              ;   in Loop: Header=BB88_2 Depth=1
	ds_read_u8 v51, v52 offset:1
	s_waitcnt lgkmcnt(1)
	v_mov_b32_e32 v50, v48
.LBB88_118:                             ;   in Loop: Header=BB88_2 Depth=1
	s_or_b64 exec, exec, s[18:19]
	v_add_u32_e32 v55, 1, v53
	v_add_u32_e32 v54, 1, v52
	v_cndmask_b32_e64 v55, v55, v53, s[16:17]
	v_cndmask_b32_e64 v54, v52, v54, s[16:17]
	v_cmp_ge_i32_e64 s[20:21], v55, v23
	s_waitcnt lgkmcnt(0)
	v_cmp_lt_u16_sdwa s[22:23], v51, v50 src0_sel:BYTE_0 src1_sel:BYTE_0
	v_cmp_lt_i32_e64 s[18:19], v54, v24
	s_or_b64 s[20:21], s[20:21], s[22:23]
	s_and_b64 s[18:19], s[18:19], s[20:21]
	s_xor_b64 s[20:21], s[18:19], -1
                                        ; implicit-def: $vgpr52
	s_and_saveexec_b64 s[22:23], s[20:21]
	s_xor_b64 s[20:21], exec, s[22:23]
	s_cbranch_execz .LBB88_120
; %bb.119:                              ;   in Loop: Header=BB88_2 Depth=1
	ds_read_u8 v52, v55 offset:1
.LBB88_120:                             ;   in Loop: Header=BB88_2 Depth=1
	s_or_saveexec_b64 s[20:21], s[20:21]
	v_mov_b32_e32 v53, v51
	s_xor_b64 exec, exec, s[20:21]
	s_cbranch_execz .LBB88_122
; %bb.121:                              ;   in Loop: Header=BB88_2 Depth=1
	ds_read_u8 v53, v54 offset:1
	s_waitcnt lgkmcnt(1)
	v_mov_b32_e32 v52, v50
.LBB88_122:                             ;   in Loop: Header=BB88_2 Depth=1
	s_or_b64 exec, exec, s[20:21]
	v_add_u32_e32 v57, 1, v55
	v_add_u32_e32 v56, 1, v54
	v_cndmask_b32_e64 v58, v57, v55, s[18:19]
	v_cndmask_b32_e64 v56, v54, v56, s[18:19]
	v_cmp_ge_i32_e64 s[22:23], v58, v23
	s_waitcnt lgkmcnt(0)
	v_cmp_lt_u16_sdwa s[24:25], v53, v52 src0_sel:BYTE_0 src1_sel:BYTE_0
	v_cmp_lt_i32_e64 s[20:21], v56, v24
	s_or_b64 s[22:23], s[22:23], s[24:25]
	s_and_b64 s[20:21], s[20:21], s[22:23]
	s_xor_b64 s[22:23], s[20:21], -1
                                        ; implicit-def: $vgpr54
	s_and_saveexec_b64 s[24:25], s[22:23]
	s_xor_b64 s[22:23], exec, s[24:25]
	s_cbranch_execz .LBB88_124
; %bb.123:                              ;   in Loop: Header=BB88_2 Depth=1
	ds_read_u8 v54, v58 offset:1
.LBB88_124:                             ;   in Loop: Header=BB88_2 Depth=1
	s_or_saveexec_b64 s[22:23], s[22:23]
	v_mov_b32_e32 v55, v53
	s_xor_b64 exec, exec, s[22:23]
	s_cbranch_execz .LBB88_126
; %bb.125:                              ;   in Loop: Header=BB88_2 Depth=1
	ds_read_u8 v55, v56 offset:1
	s_waitcnt lgkmcnt(1)
	v_mov_b32_e32 v54, v52
.LBB88_126:                             ;   in Loop: Header=BB88_2 Depth=1
	s_or_b64 exec, exec, s[22:23]
	v_add_u32_e32 v59, 1, v58
	v_add_u32_e32 v57, 1, v56
	v_cndmask_b32_e64 v58, v59, v58, s[20:21]
	v_cndmask_b32_e64 v57, v56, v57, s[20:21]
	v_cmp_ge_i32_e64 s[24:25], v58, v23
	s_waitcnt lgkmcnt(0)
	v_cmp_lt_u16_sdwa s[40:41], v55, v54 src0_sel:BYTE_0 src1_sel:BYTE_0
	v_cmp_lt_i32_e64 s[22:23], v57, v24
	s_or_b64 s[24:25], s[24:25], s[40:41]
	s_and_b64 s[22:23], s[22:23], s[24:25]
	s_xor_b64 s[24:25], s[22:23], -1
                                        ; implicit-def: $vgpr56
	s_and_saveexec_b64 s[40:41], s[24:25]
	s_xor_b64 s[24:25], exec, s[40:41]
	s_cbranch_execz .LBB88_128
; %bb.127:                              ;   in Loop: Header=BB88_2 Depth=1
	ds_read_u8 v56, v58 offset:1
.LBB88_128:                             ;   in Loop: Header=BB88_2 Depth=1
	s_or_saveexec_b64 s[24:25], s[24:25]
	v_mov_b32_e32 v59, v55
	s_xor_b64 exec, exec, s[24:25]
	s_cbranch_execz .LBB88_130
; %bb.129:                              ;   in Loop: Header=BB88_2 Depth=1
	ds_read_u8 v59, v57 offset:1
	s_waitcnt lgkmcnt(1)
	v_mov_b32_e32 v56, v54
.LBB88_130:                             ;   in Loop: Header=BB88_2 Depth=1
	s_or_b64 exec, exec, s[24:25]
	v_cndmask_b32_e64 v54, v54, v55, s[22:23]
	v_add_u32_e32 v55, 1, v57
	v_add_u32_e32 v60, 1, v58
	v_cndmask_b32_e64 v55, v57, v55, s[22:23]
	v_cndmask_b32_e64 v57, v60, v58, s[22:23]
	;; [unrolled: 1-line block ×4, first 2 shown]
	v_cmp_ge_i32_e64 s[12:13], v57, v23
	s_waitcnt lgkmcnt(0)
	v_cmp_lt_u16_sdwa s[14:15], v59, v56 src0_sel:BYTE_0 src1_sel:BYTE_0
	v_cndmask_b32_e64 v48, v48, v49, s[16:17]
	v_cndmask_b32_e64 v42, v42, v43, s[10:11]
	v_cmp_lt_i32_e64 s[10:11], v55, v24
	s_or_b64 s[12:13], s[12:13], s[14:15]
	v_lshlrev_b16_e32 v44, 8, v44
	s_and_b64 s[10:11], s[10:11], s[12:13]
	v_or_b32_sdwa v42, v42, v44 dst_sel:DWORD dst_unused:UNUSED_PAD src0_sel:BYTE_0 src1_sel:DWORD
	v_lshlrev_b16_e32 v44, 8, v48
	v_cndmask_b32_e64 v52, v52, v53, s[20:21]
	v_cndmask_b32_e64 v43, v56, v59, s[10:11]
	v_or_b32_sdwa v44, v46, v44 dst_sel:WORD_1 dst_unused:UNUSED_PAD src0_sel:BYTE_0 src1_sel:DWORD
	v_cndmask_b32_e64 v50, v50, v51, s[18:19]
	v_or_b32_sdwa v42, v42, v44 dst_sel:DWORD dst_unused:UNUSED_PAD src0_sel:WORD_0 src1_sel:DWORD
	v_lshlrev_b16_e32 v44, 8, v52
	v_lshlrev_b16_e32 v43, 8, v43
	v_or_b32_sdwa v44, v50, v44 dst_sel:DWORD dst_unused:UNUSED_PAD src0_sel:BYTE_0 src1_sel:DWORD
	v_or_b32_sdwa v43, v54, v43 dst_sel:WORD_1 dst_unused:UNUSED_PAD src0_sel:BYTE_0 src1_sel:DWORD
	s_nop 0
	v_or_b32_sdwa v43, v44, v43 dst_sel:DWORD dst_unused:UNUSED_PAD src0_sel:WORD_0 src1_sel:DWORD
	; wave barrier
	ds_write_b64 v3, v[42:43]
	v_mov_b32_e32 v42, v41
	s_waitcnt lgkmcnt(0)
	; wave barrier
	s_waitcnt lgkmcnt(0)
	s_and_saveexec_b64 s[12:13], s[8:9]
	s_cbranch_execz .LBB88_134
; %bb.131:                              ;   in Loop: Header=BB88_2 Depth=1
	s_mov_b64 s[14:15], 0
	v_mov_b32_e32 v42, v41
	v_mov_b32_e32 v43, v36
.LBB88_132:                             ;   Parent Loop BB88_2 Depth=1
                                        ; =>  This Inner Loop Header: Depth=2
	v_sub_u32_e32 v44, v43, v42
	v_lshrrev_b32_e32 v45, 31, v44
	v_add_u32_e32 v44, v44, v45
	v_ashrrev_i32_e32 v44, 1, v44
	v_add_u32_e32 v44, v44, v42
	v_not_b32_e32 v46, v44
	v_add_u32_e32 v45, v12, v44
	v_add3_u32 v46, v13, v46, v25
	ds_read_u8 v45, v45
	ds_read_u8 v46, v46
	v_add_u32_e32 v47, 1, v44
	s_waitcnt lgkmcnt(0)
	v_cmp_lt_u16_e64 s[10:11], v46, v45
	s_nop 1
	v_cndmask_b32_e64 v43, v43, v44, s[10:11]
	v_cndmask_b32_e64 v42, v47, v42, s[10:11]
	v_cmp_ge_i32_e64 s[10:11], v42, v43
	s_or_b64 s[14:15], s[10:11], s[14:15]
	s_andn2_b64 exec, exec, s[14:15]
	s_cbranch_execnz .LBB88_132
; %bb.133:                              ;   in Loop: Header=BB88_2 Depth=1
	s_or_b64 exec, exec, s[14:15]
.LBB88_134:                             ;   in Loop: Header=BB88_2 Depth=1
	s_or_b64 exec, exec, s[12:13]
	v_add_u32_e32 v46, v42, v12
	v_sub_u32_e32 v47, v31, v42
	ds_read_u8 v42, v46
	ds_read_u8 v43, v47
	v_cmp_le_i32_e64 s[12:13], v25, v46
	v_cmp_gt_i32_e64 s[10:11], v26, v47
                                        ; implicit-def: $vgpr44
                                        ; implicit-def: $vgpr45
	s_waitcnt lgkmcnt(0)
	v_cmp_lt_u16_sdwa s[14:15], v43, v42 src0_sel:BYTE_0 src1_sel:BYTE_0
	s_or_b64 s[12:13], s[12:13], s[14:15]
	s_and_b64 s[10:11], s[10:11], s[12:13]
	s_xor_b64 s[12:13], s[10:11], -1
	s_and_saveexec_b64 s[14:15], s[12:13]
	s_xor_b64 s[12:13], exec, s[14:15]
	s_cbranch_execz .LBB88_136
; %bb.135:                              ;   in Loop: Header=BB88_2 Depth=1
	ds_read_u8 v45, v46 offset:1
	v_mov_b32_e32 v44, v43
.LBB88_136:                             ;   in Loop: Header=BB88_2 Depth=1
	s_andn2_saveexec_b64 s[12:13], s[12:13]
	s_cbranch_execz .LBB88_138
; %bb.137:                              ;   in Loop: Header=BB88_2 Depth=1
	ds_read_u8 v44, v47 offset:1
	s_waitcnt lgkmcnt(1)
	v_mov_b32_e32 v45, v42
.LBB88_138:                             ;   in Loop: Header=BB88_2 Depth=1
	s_or_b64 exec, exec, s[12:13]
	v_add_u32_e32 v49, 1, v46
	v_add_u32_e32 v48, 1, v47
	v_cndmask_b32_e64 v49, v49, v46, s[10:11]
	v_cndmask_b32_e64 v48, v47, v48, s[10:11]
	v_cmp_ge_i32_e64 s[14:15], v49, v25
	s_waitcnt lgkmcnt(0)
	v_cmp_lt_u16_sdwa s[16:17], v44, v45 src0_sel:BYTE_0 src1_sel:BYTE_0
	v_cmp_lt_i32_e64 s[12:13], v48, v26
	s_or_b64 s[14:15], s[14:15], s[16:17]
	s_and_b64 s[12:13], s[12:13], s[14:15]
	s_xor_b64 s[14:15], s[12:13], -1
                                        ; implicit-def: $vgpr46
	s_and_saveexec_b64 s[16:17], s[14:15]
	s_xor_b64 s[14:15], exec, s[16:17]
	s_cbranch_execz .LBB88_140
; %bb.139:                              ;   in Loop: Header=BB88_2 Depth=1
	ds_read_u8 v46, v49 offset:1
.LBB88_140:                             ;   in Loop: Header=BB88_2 Depth=1
	s_or_saveexec_b64 s[14:15], s[14:15]
	v_mov_b32_e32 v47, v44
	s_xor_b64 exec, exec, s[14:15]
	s_cbranch_execz .LBB88_142
; %bb.141:                              ;   in Loop: Header=BB88_2 Depth=1
	ds_read_u8 v47, v48 offset:1
	s_waitcnt lgkmcnt(1)
	v_mov_b32_e32 v46, v45
.LBB88_142:                             ;   in Loop: Header=BB88_2 Depth=1
	s_or_b64 exec, exec, s[14:15]
	v_add_u32_e32 v51, 1, v49
	v_add_u32_e32 v50, 1, v48
	v_cndmask_b32_e64 v51, v51, v49, s[12:13]
	v_cndmask_b32_e64 v50, v48, v50, s[12:13]
	v_cmp_ge_i32_e64 s[16:17], v51, v25
	s_waitcnt lgkmcnt(0)
	v_cmp_lt_u16_sdwa s[18:19], v47, v46 src0_sel:BYTE_0 src1_sel:BYTE_0
	v_cmp_lt_i32_e64 s[14:15], v50, v26
	s_or_b64 s[16:17], s[16:17], s[18:19]
	s_and_b64 s[14:15], s[14:15], s[16:17]
	s_xor_b64 s[16:17], s[14:15], -1
                                        ; implicit-def: $vgpr48
	s_and_saveexec_b64 s[18:19], s[16:17]
	s_xor_b64 s[16:17], exec, s[18:19]
	s_cbranch_execz .LBB88_144
; %bb.143:                              ;   in Loop: Header=BB88_2 Depth=1
	ds_read_u8 v48, v51 offset:1
.LBB88_144:                             ;   in Loop: Header=BB88_2 Depth=1
	s_or_saveexec_b64 s[16:17], s[16:17]
	v_mov_b32_e32 v49, v47
	s_xor_b64 exec, exec, s[16:17]
	s_cbranch_execz .LBB88_146
; %bb.145:                              ;   in Loop: Header=BB88_2 Depth=1
	ds_read_u8 v49, v50 offset:1
	s_waitcnt lgkmcnt(1)
	v_mov_b32_e32 v48, v46
.LBB88_146:                             ;   in Loop: Header=BB88_2 Depth=1
	s_or_b64 exec, exec, s[16:17]
	v_add_u32_e32 v53, 1, v51
	v_add_u32_e32 v52, 1, v50
	v_cndmask_b32_e64 v53, v53, v51, s[14:15]
	v_cndmask_b32_e64 v52, v50, v52, s[14:15]
	v_cmp_ge_i32_e64 s[18:19], v53, v25
	s_waitcnt lgkmcnt(0)
	v_cmp_lt_u16_sdwa s[20:21], v49, v48 src0_sel:BYTE_0 src1_sel:BYTE_0
	v_cmp_lt_i32_e64 s[16:17], v52, v26
	s_or_b64 s[18:19], s[18:19], s[20:21]
	s_and_b64 s[16:17], s[16:17], s[18:19]
	s_xor_b64 s[18:19], s[16:17], -1
                                        ; implicit-def: $vgpr50
	s_and_saveexec_b64 s[20:21], s[18:19]
	s_xor_b64 s[18:19], exec, s[20:21]
	s_cbranch_execz .LBB88_148
; %bb.147:                              ;   in Loop: Header=BB88_2 Depth=1
	ds_read_u8 v50, v53 offset:1
.LBB88_148:                             ;   in Loop: Header=BB88_2 Depth=1
	s_or_saveexec_b64 s[18:19], s[18:19]
	v_mov_b32_e32 v51, v49
	s_xor_b64 exec, exec, s[18:19]
	s_cbranch_execz .LBB88_150
; %bb.149:                              ;   in Loop: Header=BB88_2 Depth=1
	ds_read_u8 v51, v52 offset:1
	s_waitcnt lgkmcnt(1)
	v_mov_b32_e32 v50, v48
.LBB88_150:                             ;   in Loop: Header=BB88_2 Depth=1
	s_or_b64 exec, exec, s[18:19]
	v_add_u32_e32 v55, 1, v53
	v_add_u32_e32 v54, 1, v52
	v_cndmask_b32_e64 v55, v55, v53, s[16:17]
	v_cndmask_b32_e64 v54, v52, v54, s[16:17]
	v_cmp_ge_i32_e64 s[20:21], v55, v25
	s_waitcnt lgkmcnt(0)
	v_cmp_lt_u16_sdwa s[22:23], v51, v50 src0_sel:BYTE_0 src1_sel:BYTE_0
	v_cmp_lt_i32_e64 s[18:19], v54, v26
	s_or_b64 s[20:21], s[20:21], s[22:23]
	s_and_b64 s[18:19], s[18:19], s[20:21]
	s_xor_b64 s[20:21], s[18:19], -1
                                        ; implicit-def: $vgpr52
	s_and_saveexec_b64 s[22:23], s[20:21]
	s_xor_b64 s[20:21], exec, s[22:23]
	s_cbranch_execz .LBB88_152
; %bb.151:                              ;   in Loop: Header=BB88_2 Depth=1
	ds_read_u8 v52, v55 offset:1
.LBB88_152:                             ;   in Loop: Header=BB88_2 Depth=1
	s_or_saveexec_b64 s[20:21], s[20:21]
	v_mov_b32_e32 v53, v51
	s_xor_b64 exec, exec, s[20:21]
	s_cbranch_execz .LBB88_154
; %bb.153:                              ;   in Loop: Header=BB88_2 Depth=1
	ds_read_u8 v53, v54 offset:1
	s_waitcnt lgkmcnt(1)
	v_mov_b32_e32 v52, v50
.LBB88_154:                             ;   in Loop: Header=BB88_2 Depth=1
	s_or_b64 exec, exec, s[20:21]
	v_add_u32_e32 v57, 1, v55
	v_add_u32_e32 v56, 1, v54
	v_cndmask_b32_e64 v58, v57, v55, s[18:19]
	v_cndmask_b32_e64 v56, v54, v56, s[18:19]
	v_cmp_ge_i32_e64 s[22:23], v58, v25
	s_waitcnt lgkmcnt(0)
	v_cmp_lt_u16_sdwa s[24:25], v53, v52 src0_sel:BYTE_0 src1_sel:BYTE_0
	v_cmp_lt_i32_e64 s[20:21], v56, v26
	s_or_b64 s[22:23], s[22:23], s[24:25]
	s_and_b64 s[20:21], s[20:21], s[22:23]
	s_xor_b64 s[22:23], s[20:21], -1
                                        ; implicit-def: $vgpr54
	s_and_saveexec_b64 s[24:25], s[22:23]
	s_xor_b64 s[22:23], exec, s[24:25]
	s_cbranch_execz .LBB88_156
; %bb.155:                              ;   in Loop: Header=BB88_2 Depth=1
	ds_read_u8 v54, v58 offset:1
.LBB88_156:                             ;   in Loop: Header=BB88_2 Depth=1
	s_or_saveexec_b64 s[22:23], s[22:23]
	v_mov_b32_e32 v55, v53
	s_xor_b64 exec, exec, s[22:23]
	s_cbranch_execz .LBB88_158
; %bb.157:                              ;   in Loop: Header=BB88_2 Depth=1
	ds_read_u8 v55, v56 offset:1
	s_waitcnt lgkmcnt(1)
	v_mov_b32_e32 v54, v52
.LBB88_158:                             ;   in Loop: Header=BB88_2 Depth=1
	s_or_b64 exec, exec, s[22:23]
	v_add_u32_e32 v59, 1, v58
	v_add_u32_e32 v57, 1, v56
	v_cndmask_b32_e64 v58, v59, v58, s[20:21]
	v_cndmask_b32_e64 v57, v56, v57, s[20:21]
	v_cmp_ge_i32_e64 s[24:25], v58, v25
	s_waitcnt lgkmcnt(0)
	v_cmp_lt_u16_sdwa s[40:41], v55, v54 src0_sel:BYTE_0 src1_sel:BYTE_0
	v_cmp_lt_i32_e64 s[22:23], v57, v26
	s_or_b64 s[24:25], s[24:25], s[40:41]
	s_and_b64 s[22:23], s[22:23], s[24:25]
	s_xor_b64 s[24:25], s[22:23], -1
                                        ; implicit-def: $vgpr56
	s_and_saveexec_b64 s[40:41], s[24:25]
	s_xor_b64 s[24:25], exec, s[40:41]
	s_cbranch_execz .LBB88_160
; %bb.159:                              ;   in Loop: Header=BB88_2 Depth=1
	ds_read_u8 v56, v58 offset:1
.LBB88_160:                             ;   in Loop: Header=BB88_2 Depth=1
	s_or_saveexec_b64 s[24:25], s[24:25]
	v_mov_b32_e32 v59, v55
	s_xor_b64 exec, exec, s[24:25]
	s_cbranch_execz .LBB88_162
; %bb.161:                              ;   in Loop: Header=BB88_2 Depth=1
	ds_read_u8 v59, v57 offset:1
	s_waitcnt lgkmcnt(1)
	v_mov_b32_e32 v56, v54
.LBB88_162:                             ;   in Loop: Header=BB88_2 Depth=1
	s_or_b64 exec, exec, s[24:25]
	v_cndmask_b32_e64 v54, v54, v55, s[22:23]
	v_add_u32_e32 v55, 1, v57
	v_add_u32_e32 v60, 1, v58
	v_cndmask_b32_e64 v55, v57, v55, s[22:23]
	v_cndmask_b32_e64 v57, v60, v58, s[22:23]
	v_cndmask_b32_e64 v46, v46, v47, s[14:15]
	v_cndmask_b32_e64 v44, v45, v44, s[12:13]
	v_cmp_ge_i32_e64 s[12:13], v57, v25
	s_waitcnt lgkmcnt(0)
	v_cmp_lt_u16_sdwa s[14:15], v59, v56 src0_sel:BYTE_0 src1_sel:BYTE_0
	v_cndmask_b32_e64 v48, v48, v49, s[16:17]
	v_cndmask_b32_e64 v42, v42, v43, s[10:11]
	v_cmp_lt_i32_e64 s[10:11], v55, v26
	s_or_b64 s[12:13], s[12:13], s[14:15]
	v_lshlrev_b16_e32 v44, 8, v44
	s_and_b64 s[10:11], s[10:11], s[12:13]
	v_or_b32_sdwa v42, v42, v44 dst_sel:DWORD dst_unused:UNUSED_PAD src0_sel:BYTE_0 src1_sel:DWORD
	v_lshlrev_b16_e32 v44, 8, v48
	v_cndmask_b32_e64 v52, v52, v53, s[20:21]
	v_cndmask_b32_e64 v43, v56, v59, s[10:11]
	v_or_b32_sdwa v44, v46, v44 dst_sel:WORD_1 dst_unused:UNUSED_PAD src0_sel:BYTE_0 src1_sel:DWORD
	v_cndmask_b32_e64 v50, v50, v51, s[18:19]
	v_or_b32_sdwa v42, v42, v44 dst_sel:DWORD dst_unused:UNUSED_PAD src0_sel:WORD_0 src1_sel:DWORD
	v_lshlrev_b16_e32 v44, 8, v52
	v_lshlrev_b16_e32 v43, 8, v43
	v_or_b32_sdwa v44, v50, v44 dst_sel:DWORD dst_unused:UNUSED_PAD src0_sel:BYTE_0 src1_sel:DWORD
	v_or_b32_sdwa v43, v54, v43 dst_sel:WORD_1 dst_unused:UNUSED_PAD src0_sel:BYTE_0 src1_sel:DWORD
	v_mov_b32_e32 v46, v14
	v_or_b32_sdwa v43, v44, v43 dst_sel:DWORD dst_unused:UNUSED_PAD src0_sel:WORD_0 src1_sel:DWORD
	s_waitcnt lgkmcnt(0)
	; wave barrier
	ds_write_b64 v3, v[42:43]
	s_waitcnt lgkmcnt(0)
	; wave barrier
	s_waitcnt lgkmcnt(0)
	s_and_saveexec_b64 s[12:13], vcc
	s_cbranch_execz .LBB88_166
; %bb.163:                              ;   in Loop: Header=BB88_2 Depth=1
	s_mov_b64 s[14:15], 0
	v_mov_b32_e32 v46, v14
	v_mov_b32_e32 v42, v15
.LBB88_164:                             ;   Parent Loop BB88_2 Depth=1
                                        ; =>  This Inner Loop Header: Depth=2
	v_sub_u32_e32 v43, v42, v46
	v_lshrrev_b32_e32 v44, 31, v43
	v_add_u32_e32 v43, v43, v44
	v_ashrrev_i32_e32 v43, 1, v43
	v_add_u32_e32 v43, v43, v46
	v_not_b32_e32 v44, v43
	v_add3_u32 v44, v3, v44, v2
	ds_read_u8 v45, v43
	ds_read_u8 v44, v44
	v_add_u32_e32 v47, 1, v43
	s_waitcnt lgkmcnt(0)
	v_cmp_lt_u16_e64 s[10:11], v44, v45
	s_nop 1
	v_cndmask_b32_e64 v42, v42, v43, s[10:11]
	v_cndmask_b32_e64 v46, v47, v46, s[10:11]
	v_cmp_ge_i32_e64 s[10:11], v46, v42
	s_or_b64 s[14:15], s[10:11], s[14:15]
	s_andn2_b64 exec, exec, s[14:15]
	s_cbranch_execnz .LBB88_164
; %bb.165:                              ;   in Loop: Header=BB88_2 Depth=1
	s_or_b64 exec, exec, s[14:15]
.LBB88_166:                             ;   in Loop: Header=BB88_2 Depth=1
	s_or_b64 exec, exec, s[12:13]
	v_sub_u32_e32 v47, v16, v46
	ds_read_u8 v42, v46
	ds_read_u8 v43, v47
	v_cmp_le_i32_e64 s[12:13], v2, v46
	v_cmp_gt_i32_e64 s[10:11], s38, v47
                                        ; implicit-def: $vgpr44
                                        ; implicit-def: $vgpr45
	s_waitcnt lgkmcnt(0)
	v_cmp_lt_u16_sdwa s[14:15], v43, v42 src0_sel:BYTE_0 src1_sel:BYTE_0
	s_or_b64 s[12:13], s[12:13], s[14:15]
	s_and_b64 s[10:11], s[10:11], s[12:13]
	s_xor_b64 s[12:13], s[10:11], -1
	s_and_saveexec_b64 s[14:15], s[12:13]
	s_xor_b64 s[12:13], exec, s[14:15]
	s_cbranch_execz .LBB88_168
; %bb.167:                              ;   in Loop: Header=BB88_2 Depth=1
	ds_read_u8 v45, v46 offset:1
	v_mov_b32_e32 v44, v43
.LBB88_168:                             ;   in Loop: Header=BB88_2 Depth=1
	s_andn2_saveexec_b64 s[12:13], s[12:13]
	s_cbranch_execz .LBB88_170
; %bb.169:                              ;   in Loop: Header=BB88_2 Depth=1
	ds_read_u8 v44, v47 offset:1
	s_waitcnt lgkmcnt(1)
	v_mov_b32_e32 v45, v42
.LBB88_170:                             ;   in Loop: Header=BB88_2 Depth=1
	s_or_b64 exec, exec, s[12:13]
	v_add_u32_e32 v49, 1, v46
	v_add_u32_e32 v48, 1, v47
	v_cndmask_b32_e64 v49, v49, v46, s[10:11]
	v_cndmask_b32_e64 v48, v47, v48, s[10:11]
	v_cmp_ge_i32_e64 s[14:15], v49, v2
	s_waitcnt lgkmcnt(0)
	v_cmp_lt_u16_sdwa s[16:17], v44, v45 src0_sel:BYTE_0 src1_sel:BYTE_0
	v_cmp_gt_i32_e64 s[12:13], s38, v48
	s_or_b64 s[14:15], s[14:15], s[16:17]
	s_and_b64 s[12:13], s[12:13], s[14:15]
	s_xor_b64 s[14:15], s[12:13], -1
                                        ; implicit-def: $vgpr46
	s_and_saveexec_b64 s[16:17], s[14:15]
	s_xor_b64 s[14:15], exec, s[16:17]
	s_cbranch_execz .LBB88_172
; %bb.171:                              ;   in Loop: Header=BB88_2 Depth=1
	ds_read_u8 v46, v49 offset:1
.LBB88_172:                             ;   in Loop: Header=BB88_2 Depth=1
	s_or_saveexec_b64 s[14:15], s[14:15]
	v_mov_b32_e32 v47, v44
	s_xor_b64 exec, exec, s[14:15]
	s_cbranch_execz .LBB88_174
; %bb.173:                              ;   in Loop: Header=BB88_2 Depth=1
	ds_read_u8 v47, v48 offset:1
	s_waitcnt lgkmcnt(1)
	v_mov_b32_e32 v46, v45
.LBB88_174:                             ;   in Loop: Header=BB88_2 Depth=1
	s_or_b64 exec, exec, s[14:15]
	v_add_u32_e32 v51, 1, v49
	v_add_u32_e32 v50, 1, v48
	v_cndmask_b32_e64 v51, v51, v49, s[12:13]
	v_cndmask_b32_e64 v50, v48, v50, s[12:13]
	v_cmp_ge_i32_e64 s[16:17], v51, v2
	s_waitcnt lgkmcnt(0)
	v_cmp_lt_u16_sdwa s[18:19], v47, v46 src0_sel:BYTE_0 src1_sel:BYTE_0
	v_cmp_gt_i32_e64 s[14:15], s38, v50
	s_or_b64 s[16:17], s[16:17], s[18:19]
	s_and_b64 s[14:15], s[14:15], s[16:17]
	s_xor_b64 s[16:17], s[14:15], -1
                                        ; implicit-def: $vgpr48
	s_and_saveexec_b64 s[18:19], s[16:17]
	s_xor_b64 s[16:17], exec, s[18:19]
	s_cbranch_execz .LBB88_176
; %bb.175:                              ;   in Loop: Header=BB88_2 Depth=1
	ds_read_u8 v48, v51 offset:1
.LBB88_176:                             ;   in Loop: Header=BB88_2 Depth=1
	s_or_saveexec_b64 s[16:17], s[16:17]
	v_mov_b32_e32 v49, v47
	s_xor_b64 exec, exec, s[16:17]
	s_cbranch_execz .LBB88_178
; %bb.177:                              ;   in Loop: Header=BB88_2 Depth=1
	ds_read_u8 v49, v50 offset:1
	s_waitcnt lgkmcnt(1)
	v_mov_b32_e32 v48, v46
.LBB88_178:                             ;   in Loop: Header=BB88_2 Depth=1
	s_or_b64 exec, exec, s[16:17]
	v_add_u32_e32 v53, 1, v51
	v_add_u32_e32 v52, 1, v50
	v_cndmask_b32_e64 v53, v53, v51, s[14:15]
	v_cndmask_b32_e64 v52, v50, v52, s[14:15]
	v_cmp_ge_i32_e64 s[18:19], v53, v2
	s_waitcnt lgkmcnt(0)
	v_cmp_lt_u16_sdwa s[20:21], v49, v48 src0_sel:BYTE_0 src1_sel:BYTE_0
	v_cmp_gt_i32_e64 s[16:17], s38, v52
	s_or_b64 s[18:19], s[18:19], s[20:21]
	s_and_b64 s[16:17], s[16:17], s[18:19]
	s_xor_b64 s[18:19], s[16:17], -1
                                        ; implicit-def: $vgpr50
	s_and_saveexec_b64 s[20:21], s[18:19]
	s_xor_b64 s[18:19], exec, s[20:21]
	s_cbranch_execz .LBB88_180
; %bb.179:                              ;   in Loop: Header=BB88_2 Depth=1
	ds_read_u8 v50, v53 offset:1
.LBB88_180:                             ;   in Loop: Header=BB88_2 Depth=1
	s_or_saveexec_b64 s[18:19], s[18:19]
	v_mov_b32_e32 v51, v49
	s_xor_b64 exec, exec, s[18:19]
	s_cbranch_execz .LBB88_182
; %bb.181:                              ;   in Loop: Header=BB88_2 Depth=1
	ds_read_u8 v51, v52 offset:1
	s_waitcnt lgkmcnt(1)
	v_mov_b32_e32 v50, v48
.LBB88_182:                             ;   in Loop: Header=BB88_2 Depth=1
	s_or_b64 exec, exec, s[18:19]
	v_add_u32_e32 v55, 1, v53
	v_add_u32_e32 v54, 1, v52
	v_cndmask_b32_e64 v55, v55, v53, s[16:17]
	v_cndmask_b32_e64 v54, v52, v54, s[16:17]
	v_cmp_ge_i32_e64 s[20:21], v55, v2
	s_waitcnt lgkmcnt(0)
	v_cmp_lt_u16_sdwa s[22:23], v51, v50 src0_sel:BYTE_0 src1_sel:BYTE_0
	v_cmp_gt_i32_e64 s[18:19], s38, v54
	s_or_b64 s[20:21], s[20:21], s[22:23]
	s_and_b64 s[18:19], s[18:19], s[20:21]
	s_xor_b64 s[20:21], s[18:19], -1
                                        ; implicit-def: $vgpr52
	s_and_saveexec_b64 s[22:23], s[20:21]
	s_xor_b64 s[20:21], exec, s[22:23]
	s_cbranch_execz .LBB88_184
; %bb.183:                              ;   in Loop: Header=BB88_2 Depth=1
	ds_read_u8 v52, v55 offset:1
.LBB88_184:                             ;   in Loop: Header=BB88_2 Depth=1
	s_or_saveexec_b64 s[20:21], s[20:21]
	v_mov_b32_e32 v53, v51
	s_xor_b64 exec, exec, s[20:21]
	s_cbranch_execz .LBB88_186
; %bb.185:                              ;   in Loop: Header=BB88_2 Depth=1
	ds_read_u8 v53, v54 offset:1
	s_waitcnt lgkmcnt(1)
	v_mov_b32_e32 v52, v50
.LBB88_186:                             ;   in Loop: Header=BB88_2 Depth=1
	s_or_b64 exec, exec, s[20:21]
	v_add_u32_e32 v57, 1, v55
	v_add_u32_e32 v56, 1, v54
	v_cndmask_b32_e64 v57, v57, v55, s[18:19]
	v_cndmask_b32_e64 v56, v54, v56, s[18:19]
	v_cmp_ge_i32_e64 s[22:23], v57, v2
	s_waitcnt lgkmcnt(0)
	v_cmp_lt_u16_sdwa s[24:25], v53, v52 src0_sel:BYTE_0 src1_sel:BYTE_0
	v_cmp_gt_i32_e64 s[20:21], s38, v56
	s_or_b64 s[22:23], s[22:23], s[24:25]
	s_and_b64 s[20:21], s[20:21], s[22:23]
	s_xor_b64 s[22:23], s[20:21], -1
                                        ; implicit-def: $vgpr54
	s_and_saveexec_b64 s[24:25], s[22:23]
	s_xor_b64 s[22:23], exec, s[24:25]
	s_cbranch_execz .LBB88_188
; %bb.187:                              ;   in Loop: Header=BB88_2 Depth=1
	ds_read_u8 v54, v57 offset:1
.LBB88_188:                             ;   in Loop: Header=BB88_2 Depth=1
	s_or_saveexec_b64 s[22:23], s[22:23]
	v_mov_b32_e32 v55, v53
	s_xor_b64 exec, exec, s[22:23]
	s_cbranch_execz .LBB88_190
; %bb.189:                              ;   in Loop: Header=BB88_2 Depth=1
	ds_read_u8 v55, v56 offset:1
	s_waitcnt lgkmcnt(1)
	v_mov_b32_e32 v54, v52
.LBB88_190:                             ;   in Loop: Header=BB88_2 Depth=1
	s_or_b64 exec, exec, s[22:23]
	v_add_u32_e32 v59, 1, v57
	v_add_u32_e32 v58, 1, v56
	v_cndmask_b32_e64 v59, v59, v57, s[20:21]
	v_cndmask_b32_e64 v56, v56, v58, s[20:21]
	v_cmp_ge_i32_e64 s[24:25], v59, v2
	s_waitcnt lgkmcnt(0)
	v_cmp_lt_u16_sdwa s[40:41], v55, v54 src0_sel:BYTE_0 src1_sel:BYTE_0
	v_cmp_gt_i32_e64 s[22:23], s38, v56
	s_or_b64 s[24:25], s[24:25], s[40:41]
	s_and_b64 s[22:23], s[22:23], s[24:25]
	s_xor_b64 s[24:25], s[22:23], -1
                                        ; implicit-def: $vgpr57
                                        ; implicit-def: $vgpr58
	s_and_saveexec_b64 s[40:41], s[24:25]
	s_xor_b64 s[24:25], exec, s[40:41]
	s_cbranch_execz .LBB88_192
; %bb.191:                              ;   in Loop: Header=BB88_2 Depth=1
	ds_read_u8 v57, v59 offset:1
	v_add_u32_e32 v58, 1, v59
                                        ; implicit-def: $vgpr59
.LBB88_192:                             ;   in Loop: Header=BB88_2 Depth=1
	s_or_saveexec_b64 s[24:25], s[24:25]
	v_mov_b32_e32 v60, v55
	s_xor_b64 exec, exec, s[24:25]
	s_cbranch_execz .LBB88_1
; %bb.193:                              ;   in Loop: Header=BB88_2 Depth=1
	ds_read_u8 v60, v56 offset:1
	v_add_u32_e32 v56, 1, v56
	v_mov_b32_e32 v58, v59
	s_waitcnt lgkmcnt(1)
	v_mov_b32_e32 v57, v54
	s_branch .LBB88_1
.LBB88_194:
	s_add_u32 s0, s26, s28
	s_addc_u32 s1, s27, 0
	v_lshl_add_u64 v[0:1], s[0:1], 0, v[0:1]
	global_store_byte v[0:1], v59, off
	global_store_byte v[0:1], v44, off offset:64
	global_store_byte v[0:1], v45, off offset:128
	;; [unrolled: 1-line block ×7, first 2 shown]
	s_endpgm
	.section	.rodata,"a",@progbits
	.p2align	6, 0x0
	.amdhsa_kernel _Z16sort_keys_kernelIhLj64ELj8EN10test_utils4lessELj10EEvPKT_PS2_T2_
		.amdhsa_group_segment_fixed_size 513
		.amdhsa_private_segment_fixed_size 0
		.amdhsa_kernarg_size 20
		.amdhsa_user_sgpr_count 2
		.amdhsa_user_sgpr_dispatch_ptr 0
		.amdhsa_user_sgpr_queue_ptr 0
		.amdhsa_user_sgpr_kernarg_segment_ptr 1
		.amdhsa_user_sgpr_dispatch_id 0
		.amdhsa_user_sgpr_kernarg_preload_length 0
		.amdhsa_user_sgpr_kernarg_preload_offset 0
		.amdhsa_user_sgpr_private_segment_size 0
		.amdhsa_uses_dynamic_stack 0
		.amdhsa_enable_private_segment 0
		.amdhsa_system_sgpr_workgroup_id_x 1
		.amdhsa_system_sgpr_workgroup_id_y 0
		.amdhsa_system_sgpr_workgroup_id_z 0
		.amdhsa_system_sgpr_workgroup_info 0
		.amdhsa_system_vgpr_workitem_id 0
		.amdhsa_next_free_vgpr 61
		.amdhsa_next_free_sgpr 42
		.amdhsa_accum_offset 64
		.amdhsa_reserve_vcc 1
		.amdhsa_float_round_mode_32 0
		.amdhsa_float_round_mode_16_64 0
		.amdhsa_float_denorm_mode_32 3
		.amdhsa_float_denorm_mode_16_64 3
		.amdhsa_dx10_clamp 1
		.amdhsa_ieee_mode 1
		.amdhsa_fp16_overflow 0
		.amdhsa_tg_split 0
		.amdhsa_exception_fp_ieee_invalid_op 0
		.amdhsa_exception_fp_denorm_src 0
		.amdhsa_exception_fp_ieee_div_zero 0
		.amdhsa_exception_fp_ieee_overflow 0
		.amdhsa_exception_fp_ieee_underflow 0
		.amdhsa_exception_fp_ieee_inexact 0
		.amdhsa_exception_int_div_zero 0
	.end_amdhsa_kernel
	.section	.text._Z16sort_keys_kernelIhLj64ELj8EN10test_utils4lessELj10EEvPKT_PS2_T2_,"axG",@progbits,_Z16sort_keys_kernelIhLj64ELj8EN10test_utils4lessELj10EEvPKT_PS2_T2_,comdat
.Lfunc_end88:
	.size	_Z16sort_keys_kernelIhLj64ELj8EN10test_utils4lessELj10EEvPKT_PS2_T2_, .Lfunc_end88-_Z16sort_keys_kernelIhLj64ELj8EN10test_utils4lessELj10EEvPKT_PS2_T2_
                                        ; -- End function
	.section	.AMDGPU.csdata,"",@progbits
; Kernel info:
; codeLenInByte = 9392
; NumSgprs: 48
; NumVgprs: 61
; NumAgprs: 0
; TotalNumVgprs: 61
; ScratchSize: 0
; MemoryBound: 0
; FloatMode: 240
; IeeeMode: 1
; LDSByteSize: 513 bytes/workgroup (compile time only)
; SGPRBlocks: 5
; VGPRBlocks: 7
; NumSGPRsForWavesPerEU: 48
; NumVGPRsForWavesPerEU: 61
; AccumOffset: 64
; Occupancy: 8
; WaveLimiterHint : 0
; COMPUTE_PGM_RSRC2:SCRATCH_EN: 0
; COMPUTE_PGM_RSRC2:USER_SGPR: 2
; COMPUTE_PGM_RSRC2:TRAP_HANDLER: 0
; COMPUTE_PGM_RSRC2:TGID_X_EN: 1
; COMPUTE_PGM_RSRC2:TGID_Y_EN: 0
; COMPUTE_PGM_RSRC2:TGID_Z_EN: 0
; COMPUTE_PGM_RSRC2:TIDIG_COMP_CNT: 0
; COMPUTE_PGM_RSRC3_GFX90A:ACCUM_OFFSET: 15
; COMPUTE_PGM_RSRC3_GFX90A:TG_SPLIT: 0
	.section	.text._Z17sort_pairs_kernelIhLj64ELj8EN10test_utils4lessELj10EEvPKT_PS2_T2_,"axG",@progbits,_Z17sort_pairs_kernelIhLj64ELj8EN10test_utils4lessELj10EEvPKT_PS2_T2_,comdat
	.protected	_Z17sort_pairs_kernelIhLj64ELj8EN10test_utils4lessELj10EEvPKT_PS2_T2_ ; -- Begin function _Z17sort_pairs_kernelIhLj64ELj8EN10test_utils4lessELj10EEvPKT_PS2_T2_
	.globl	_Z17sort_pairs_kernelIhLj64ELj8EN10test_utils4lessELj10EEvPKT_PS2_T2_
	.p2align	8
	.type	_Z17sort_pairs_kernelIhLj64ELj8EN10test_utils4lessELj10EEvPKT_PS2_T2_,@function
_Z17sort_pairs_kernelIhLj64ELj8EN10test_utils4lessELj10EEvPKT_PS2_T2_: ; @_Z17sort_pairs_kernelIhLj64ELj8EN10test_utils4lessELj10EEvPKT_PS2_T2_
; %bb.0:
	s_load_dwordx4 s[84:87], s[0:1], 0x0
	s_lshl_b32 s33, s2, 9
	v_lshlrev_b32_e32 v3, 3, v0
	v_and_b32_e32 v4, 0x1f0, v3
	v_and_b32_e32 v6, 0x1e0, v3
	s_waitcnt lgkmcnt(0)
	s_add_u32 s0, s84, s33
	s_addc_u32 s1, s85, 0
	global_load_ubyte v42, v0, s[0:1]
	global_load_ubyte v43, v0, s[0:1] offset:128
	global_load_ubyte v44, v0, s[0:1] offset:256
	;; [unrolled: 1-line block ×7, first 2 shown]
	v_or_b32_e32 v17, 8, v4
	v_add_u32_e32 v18, 16, v4
	v_and_b32_e32 v5, 8, v3
	v_and_b32_e32 v8, 0x1c0, v3
	v_or_b32_e32 v19, 16, v6
	v_add_u32_e32 v20, 32, v6
	v_sub_u32_e32 v37, v18, v17
	v_and_b32_e32 v7, 24, v3
	v_and_b32_e32 v10, 0x180, v3
	v_or_b32_e32 v21, 32, v8
	v_add_u32_e32 v22, 64, v8
	v_sub_u32_e32 v38, v20, v19
	v_sub_u32_e32 v50, v5, v37
	v_cmp_ge_i32_e64 s[0:1], v5, v37
	v_and_b32_e32 v9, 56, v3
	v_and_b32_e32 v12, 0x100, v3
	v_or_b32_e32 v23, 64, v10
	v_add_u32_e32 v24, 0x80, v10
	v_sub_u32_e32 v39, v22, v21
	v_sub_u32_e32 v51, v7, v38
	v_cndmask_b32_e64 v37, 0, v50, s[0:1]
	v_cmp_ge_i32_e64 s[0:1], v7, v38
	v_and_b32_e32 v11, 0x78, v3
	v_or_b32_e32 v25, 0x80, v12
	v_add_u32_e32 v26, 0x100, v12
	v_sub_u32_e32 v40, v24, v23
	v_sub_u32_e32 v52, v9, v39
	v_cndmask_b32_e64 v38, 0, v51, s[0:1]
	v_cmp_ge_i32_e64 s[0:1], v9, v39
	v_and_b32_e32 v13, 0xf8, v3
	v_sub_u32_e32 v41, v26, v25
	v_sub_u32_e32 v53, v11, v40
	v_cndmask_b32_e64 v39, 0, v52, s[0:1]
	v_cmp_ge_i32_e64 s[0:1], v11, v40
	v_sub_u32_e32 v54, v13, v41
	s_movk_i32 s10, 0x100
	v_cndmask_b32_e64 v40, 0, v53, s[0:1]
	v_cmp_ge_i32_e64 s[0:1], v13, v41
	v_mov_b32_e32 v2, 0x100
	v_sub_u32_e32 v32, v17, v4
	v_cndmask_b32_e64 v41, 0, v54, s[0:1]
	v_sub_u32_e32 v33, v19, v6
	v_sub_u32_e32 v34, v21, v8
	v_sub_u32_e32 v35, v23, v10
	v_sub_u32_e32 v36, v25, v12
	v_sub_u32_e64 v14, v3, v2 clamp
	v_min_i32_e32 v15, 0x100, v3
	v_min_i32_e32 v32, v5, v32
	;; [unrolled: 1-line block ×6, first 2 shown]
	s_mov_b32 s84, 0
	v_mov_b32_e32 v1, 0
	s_mov_b32 s85, 0xffff
	v_add_u32_e32 v16, 0x100, v3
	v_cmp_lt_i32_e32 vcc, v14, v15
	v_add_u32_e32 v27, v17, v5
	v_add_u32_e32 v28, v19, v7
	;; [unrolled: 1-line block ×5, first 2 shown]
	v_cmp_lt_i32_e64 s[0:1], v37, v32
	v_cmp_lt_i32_e64 s[2:3], v38, v33
	;; [unrolled: 1-line block ×5, first 2 shown]
	s_movk_i32 s88, 0xff
	s_mov_b32 s89, 0x7060405
	s_mov_b32 s90, 0xc0c0001
	;; [unrolled: 1-line block ×4, first 2 shown]
	s_waitcnt vmcnt(7)
	v_add_u16_e32 v50, 1, v42
	s_waitcnt vmcnt(6)
	v_add_u16_e32 v51, 1, v43
	;; [unrolled: 2-line block ×4, first 2 shown]
	s_waitcnt vmcnt(3)
	v_lshlrev_b16_e32 v54, 8, v45
	s_waitcnt vmcnt(2)
	v_lshlrev_b16_e32 v47, 8, v47
	v_or_b32_e32 v42, v42, v54
	v_or_b32_sdwa v43, v43, v47 dst_sel:WORD_1 dst_unused:UNUSED_PAD src0_sel:DWORD src1_sel:DWORD
	s_mov_b32 s93, 0x3020107
	v_or_b32_sdwa v45, v42, v43 dst_sel:DWORD dst_unused:UNUSED_PAD src0_sel:WORD_0 src1_sel:DWORD
	s_waitcnt vmcnt(1)
	v_lshlrev_b16_e32 v43, 8, v48
	s_waitcnt vmcnt(0)
	v_lshlrev_b16_e32 v48, 8, v49
	v_or_b32_e32 v42, v44, v43
	v_or_b32_sdwa v44, v46, v48 dst_sel:WORD_1 dst_unused:UNUSED_PAD src0_sel:DWORD src1_sel:DWORD
	v_or_b32_sdwa v46, v47, v51 dst_sel:DWORD dst_unused:UNUSED_PAD src0_sel:DWORD src1_sel:BYTE_0
	v_or_b32_sdwa v44, v42, v44 dst_sel:DWORD dst_unused:UNUSED_PAD src0_sel:WORD_0 src1_sel:DWORD
	v_or_b32_sdwa v42, v54, v50 dst_sel:DWORD dst_unused:UNUSED_PAD src0_sel:DWORD src1_sel:BYTE_0
	v_add_u16_e32 v42, 0x100, v42
	v_add_u16_sdwa v46, v46, s10 dst_sel:WORD_1 dst_unused:UNUSED_PAD src0_sel:DWORD src1_sel:DWORD
	v_or_b32_sdwa v43, v43, v52 dst_sel:DWORD dst_unused:UNUSED_PAD src0_sel:DWORD src1_sel:BYTE_0
	v_or_b32_e32 v42, v42, v46
	v_or_b32_sdwa v46, v48, v53 dst_sel:DWORD dst_unused:UNUSED_PAD src0_sel:DWORD src1_sel:BYTE_0
	v_add_u16_e32 v43, 0x100, v43
	v_add_u16_sdwa v46, v46, s10 dst_sel:WORD_1 dst_unused:UNUSED_PAD src0_sel:DWORD src1_sel:DWORD
	s_mov_b32 s94, 0xffff0000
	v_or_b32_e32 v43, v43, v46
	s_movk_i32 s95, 0x200
	s_branch .LBB89_2
.LBB89_1:                               ;   in Loop: Header=BB89_2 Depth=1
	s_or_b64 exec, exec, s[24:25]
	v_cndmask_b32_e64 v52, v52, v53, s[10:11]
	v_cndmask_b32_e64 v53, v55, v54, s[12:13]
	;; [unrolled: 1-line block ×5, first 2 shown]
	v_cmp_ge_i32_e64 s[12:13], v78, v2
	s_waitcnt lgkmcnt(0)
	v_cmp_lt_u16_sdwa s[14:15], v81, v79 src0_sel:BYTE_0 src1_sel:BYTE_0
	v_lshlrev_b16_e32 v44, 8, v44
	v_cndmask_b32_e64 v51, v50, v51, s[10:11]
	v_cmp_gt_i32_e64 s[10:11], s95, v76
	s_or_b64 s[12:13], s[12:13], s[14:15]
	v_lshlrev_b16_e32 v49, 8, v49
	v_lshlrev_b16_e32 v46, 8, v46
	v_or_b32_sdwa v42, v42, v44 dst_sel:DWORD dst_unused:UNUSED_PAD src0_sel:BYTE_0 src1_sel:DWORD
	v_lshlrev_b16_e32 v44, 8, v45
	v_cndmask_b32_e64 v55, v62, v63, s[16:17]
	s_and_b64 s[10:11], s[10:11], s[12:13]
	v_or_b32_sdwa v47, v47, v49 dst_sel:DWORD dst_unused:UNUSED_PAD src0_sel:BYTE_0 src1_sel:DWORD
	v_or_b32_sdwa v46, v48, v46 dst_sel:WORD_1 dst_unused:UNUSED_PAD src0_sel:BYTE_0 src1_sel:DWORD
	v_or_b32_sdwa v43, v43, v44 dst_sel:WORD_1 dst_unused:UNUSED_PAD src0_sel:BYTE_0 src1_sel:DWORD
	v_cndmask_b32_e64 v57, v78, v76, s[10:11]
	v_or_b32_sdwa v47, v47, v46 dst_sel:DWORD dst_unused:UNUSED_PAD src0_sel:WORD_0 src1_sel:DWORD
	v_or_b32_sdwa v46, v42, v43 dst_sel:DWORD dst_unused:UNUSED_PAD src0_sel:WORD_0 src1_sel:DWORD
	v_lshlrev_b16_e32 v42, 8, v53
	v_lshlrev_b16_e32 v43, 8, v55
	v_cndmask_b32_e64 v58, v66, v67, s[18:19]
	v_cndmask_b32_e64 v59, v70, v71, s[20:21]
	;; [unrolled: 1-line block ×6, first 2 shown]
	s_waitcnt lgkmcnt(0)
	; wave barrier
	ds_write_b64 v3, v[46:47]
	s_waitcnt lgkmcnt(0)
	; wave barrier
	s_waitcnt lgkmcnt(0)
	ds_read_u8 v46, v77
	ds_read_u8 v47, v57
	ds_read_u8 v48, v51
	ds_read_u8 v49, v56
	ds_read_u8 v51, v60
	ds_read_u8 v56, v64
	ds_read_u8 v57, v66
	ds_read_u8 v60, v63
	v_or_b32_sdwa v42, v52, v42 dst_sel:DWORD dst_unused:UNUSED_PAD src0_sel:BYTE_0 src1_sel:DWORD
	v_or_b32_sdwa v43, v54, v43 dst_sel:WORD_1 dst_unused:UNUSED_PAD src0_sel:BYTE_0 src1_sel:DWORD
	v_cndmask_b32_e64 v62, v74, v75, s[22:23]
	v_or_b32_sdwa v45, v42, v43 dst_sel:DWORD dst_unused:UNUSED_PAD src0_sel:WORD_0 src1_sel:DWORD
	v_lshlrev_b16_e32 v42, 8, v59
	v_lshlrev_b16_e32 v43, 8, v50
	v_or_b32_sdwa v42, v58, v42 dst_sel:DWORD dst_unused:UNUSED_PAD src0_sel:BYTE_0 src1_sel:DWORD
	v_or_b32_sdwa v43, v62, v43 dst_sel:WORD_1 dst_unused:UNUSED_PAD src0_sel:BYTE_0 src1_sel:DWORD
	s_waitcnt lgkmcnt(6)
	v_lshlrev_b16_e32 v61, 8, v47
	v_or_b32_sdwa v44, v42, v43 dst_sel:DWORD dst_unused:UNUSED_PAD src0_sel:WORD_0 src1_sel:DWORD
	s_waitcnt lgkmcnt(4)
	v_lshlrev_b16_e32 v42, 8, v49
	s_waitcnt lgkmcnt(2)
	v_lshlrev_b16_e32 v43, 8, v56
	v_or_b32_e32 v42, v48, v42
	v_or_b32_sdwa v43, v51, v43 dst_sel:WORD_1 dst_unused:UNUSED_PAD src0_sel:DWORD src1_sel:DWORD
	s_add_i32 s84, s84, 1
	v_or_b32_sdwa v42, v42, v43 dst_sel:DWORD dst_unused:UNUSED_PAD src0_sel:WORD_0 src1_sel:DWORD
	s_waitcnt lgkmcnt(0)
	v_lshlrev_b16_e32 v43, 8, v60
	v_or_b32_e32 v43, v57, v43
	v_or_b32_sdwa v61, v46, v61 dst_sel:WORD_1 dst_unused:UNUSED_PAD src0_sel:DWORD src1_sel:DWORD
	s_cmp_eq_u32 s84, 10
	v_or_b32_sdwa v43, v43, v61 dst_sel:DWORD dst_unused:UNUSED_PAD src0_sel:WORD_0 src1_sel:DWORD
	s_cbranch_scc1 .LBB89_194
.LBB89_2:                               ; =>This Loop Header: Depth=1
                                        ;     Child Loop BB89_4 Depth 2
                                        ;     Child Loop BB89_36 Depth 2
	;; [unrolled: 1-line block ×6, first 2 shown]
	v_lshrrev_b32_e32 v47, 8, v45
	v_perm_b32 v46, v45, v45, s89
	v_cmp_lt_u16_sdwa s[10:11], v47, v45 src0_sel:BYTE_0 src1_sel:BYTE_0
	s_waitcnt lgkmcnt(0)
	; wave barrier
	s_nop 0
	v_cndmask_b32_e64 v45, v45, v46, s[10:11]
	v_lshrrev_b32_e32 v46, 16, v45
	v_perm_b32 v47, 0, v46, s90
	v_lshlrev_b32_e32 v47, 16, v47
	v_and_or_b32 v47, v45, s85, v47
	v_cmp_lt_u16_sdwa s[12:13], v45, v46 src0_sel:BYTE_3 src1_sel:BYTE_0
	v_perm_b32 v46, v44, v44, s89
	s_nop 0
	v_cndmask_b32_e64 v45, v45, v47, s[12:13]
	v_lshrrev_b32_e32 v47, 8, v44
	v_cmp_lt_u16_sdwa s[14:15], v47, v44 src0_sel:BYTE_0 src1_sel:BYTE_0
	v_perm_b32 v48, v45, v45, s92
	s_nop 0
	v_cndmask_b32_e64 v44, v44, v46, s[14:15]
	v_and_b32_sdwa v46, v44, s88 dst_sel:DWORD dst_unused:UNUSED_PAD src0_sel:WORD_1 src1_sel:DWORD
	v_perm_b32 v47, v44, v44, s91
	v_cmp_lt_u16_sdwa s[16:17], v44, v46 src0_sel:BYTE_3 src1_sel:DWORD
	v_and_b32_sdwa v46, v45, s88 dst_sel:DWORD dst_unused:UNUSED_PAD src0_sel:WORD_1 src1_sel:DWORD
	s_nop 0
	v_cndmask_b32_e64 v44, v44, v47, s[16:17]
	v_lshrrev_b32_e32 v47, 8, v45
	v_cmp_lt_u16_sdwa s[18:19], v46, v47 src0_sel:DWORD src1_sel:BYTE_0
	s_nop 1
	v_cndmask_b32_e64 v45, v45, v48, s[18:19]
	v_and_b32_sdwa v47, v45, s88 dst_sel:DWORD dst_unused:UNUSED_PAD src0_sel:WORD_1 src1_sel:DWORD
	v_lshlrev_b16_e32 v48, 8, v44
	v_perm_b32 v46, v45, v44, s93
	v_or_b32_sdwa v47, v47, v48 dst_sel:WORD_1 dst_unused:UNUSED_PAD src0_sel:DWORD src1_sel:DWORD
	v_cmp_lt_u16_sdwa s[20:21], v44, v45 src0_sel:BYTE_0 src1_sel:BYTE_3
	v_and_or_b32 v47, v45, s85, v47
	s_nop 0
	v_cndmask_b32_e64 v44, v44, v46, s[20:21]
	v_cndmask_b32_e64 v45, v45, v47, s[20:21]
	v_and_b32_sdwa v46, v44, s88 dst_sel:DWORD dst_unused:UNUSED_PAD src0_sel:WORD_1 src1_sel:DWORD
	v_lshrrev_b32_e32 v47, 8, v44
	v_cmp_lt_u16_sdwa s[22:23], v46, v47 src0_sel:DWORD src1_sel:BYTE_0
	v_perm_b32 v46, 0, v45, s90
	v_lshrrev_b32_e32 v47, 8, v45
	v_and_or_b32 v46, v45, s94, v46
	v_cmp_lt_u16_sdwa s[24:25], v47, v45 src0_sel:BYTE_0 src1_sel:BYTE_0
	v_perm_b32 v48, v44, v44, s92
	v_cndmask_b32_e64 v44, v44, v48, s[22:23]
	v_cndmask_b32_e64 v45, v45, v46, s[24:25]
	v_lshrrev_b32_e32 v46, 16, v45
	v_perm_b32 v47, 0, v46, s90
	v_lshlrev_b32_e32 v47, 16, v47
	v_and_or_b32 v47, v45, s85, v47
	v_cmp_lt_u16_sdwa s[26:27], v45, v46 src0_sel:BYTE_3 src1_sel:BYTE_0
	v_perm_b32 v46, v44, v44, s89
	s_nop 0
	v_cndmask_b32_e64 v45, v45, v47, s[26:27]
	v_lshrrev_b32_e32 v47, 8, v44
	v_cmp_lt_u16_sdwa s[28:29], v47, v44 src0_sel:BYTE_0 src1_sel:BYTE_0
	v_perm_b32 v48, v45, v45, s92
	s_nop 0
	v_cndmask_b32_e64 v44, v44, v46, s[28:29]
	v_and_b32_sdwa v46, v44, s88 dst_sel:DWORD dst_unused:UNUSED_PAD src0_sel:WORD_1 src1_sel:DWORD
	v_perm_b32 v47, v44, v44, s91
	v_cmp_lt_u16_sdwa s[30:31], v44, v46 src0_sel:BYTE_3 src1_sel:DWORD
	v_and_b32_sdwa v46, v45, s88 dst_sel:DWORD dst_unused:UNUSED_PAD src0_sel:WORD_1 src1_sel:DWORD
	s_nop 0
	v_cndmask_b32_e64 v44, v44, v47, s[30:31]
	v_lshrrev_b32_e32 v47, 8, v45
	v_cmp_lt_u16_sdwa s[34:35], v46, v47 src0_sel:DWORD src1_sel:BYTE_0
	s_nop 1
	v_cndmask_b32_e64 v45, v45, v48, s[34:35]
	v_and_b32_sdwa v47, v45, s88 dst_sel:DWORD dst_unused:UNUSED_PAD src0_sel:WORD_1 src1_sel:DWORD
	v_lshlrev_b16_e32 v48, 8, v44
	v_perm_b32 v46, v45, v44, s93
	v_or_b32_sdwa v47, v47, v48 dst_sel:WORD_1 dst_unused:UNUSED_PAD src0_sel:DWORD src1_sel:DWORD
	v_cmp_lt_u16_sdwa s[36:37], v44, v45 src0_sel:BYTE_0 src1_sel:BYTE_3
	v_and_or_b32 v47, v45, s85, v47
	s_nop 0
	v_cndmask_b32_e64 v44, v44, v46, s[36:37]
	v_cndmask_b32_e64 v45, v45, v47, s[36:37]
	v_and_b32_sdwa v46, v44, s88 dst_sel:DWORD dst_unused:UNUSED_PAD src0_sel:WORD_1 src1_sel:DWORD
	v_lshrrev_b32_e32 v47, 8, v44
	v_cmp_lt_u16_sdwa s[38:39], v46, v47 src0_sel:DWORD src1_sel:BYTE_0
	v_perm_b32 v46, 0, v45, s90
	v_lshrrev_b32_e32 v47, 8, v45
	v_and_or_b32 v46, v45, s94, v46
	v_cmp_lt_u16_sdwa s[40:41], v47, v45 src0_sel:BYTE_0 src1_sel:BYTE_0
	v_perm_b32 v48, v44, v44, s92
	v_cndmask_b32_e64 v44, v44, v48, s[38:39]
	;; [unrolled: 42-line block ×3, first 2 shown]
	v_cndmask_b32_e64 v45, v45, v46, s[54:55]
	v_lshrrev_b32_e32 v46, 16, v45
	v_perm_b32 v47, 0, v46, s90
	v_lshlrev_b32_e32 v47, 16, v47
	v_and_or_b32 v47, v45, s85, v47
	v_cmp_lt_u16_sdwa s[56:57], v45, v46 src0_sel:BYTE_3 src1_sel:BYTE_0
	v_perm_b32 v46, v44, v44, s89
	s_nop 0
	v_cndmask_b32_e64 v45, v45, v47, s[56:57]
	v_lshrrev_b32_e32 v47, 8, v44
	v_cmp_lt_u16_sdwa s[58:59], v47, v44 src0_sel:BYTE_0 src1_sel:BYTE_0
	v_perm_b32 v48, v45, v45, s92
	s_nop 0
	v_cndmask_b32_e64 v44, v44, v46, s[58:59]
	v_and_b32_sdwa v46, v44, s88 dst_sel:DWORD dst_unused:UNUSED_PAD src0_sel:WORD_1 src1_sel:DWORD
	v_perm_b32 v47, v44, v44, s91
	v_cmp_lt_u16_sdwa s[60:61], v44, v46 src0_sel:BYTE_3 src1_sel:DWORD
	s_nop 1
	v_cndmask_b32_e64 v46, v44, v47, s[60:61]
	v_and_b32_sdwa v44, v45, s88 dst_sel:DWORD dst_unused:UNUSED_PAD src0_sel:WORD_1 src1_sel:DWORD
	v_lshrrev_b32_e32 v47, 8, v45
	v_cmp_lt_u16_sdwa s[62:63], v44, v47 src0_sel:DWORD src1_sel:BYTE_0
	s_nop 1
	v_cndmask_b32_e64 v44, v45, v48, s[62:63]
	v_and_b32_sdwa v47, v44, s88 dst_sel:DWORD dst_unused:UNUSED_PAD src0_sel:WORD_1 src1_sel:DWORD
	v_lshlrev_b16_e32 v48, 8, v46
	v_perm_b32 v45, v44, v46, s93
	v_or_b32_sdwa v47, v47, v48 dst_sel:WORD_1 dst_unused:UNUSED_PAD src0_sel:DWORD src1_sel:DWORD
	v_cmp_lt_u16_sdwa s[64:65], v46, v44 src0_sel:BYTE_0 src1_sel:BYTE_3
	v_and_or_b32 v47, v44, s85, v47
	s_nop 0
	v_cndmask_b32_e64 v45, v46, v45, s[64:65]
	v_cndmask_b32_e64 v44, v44, v47, s[64:65]
	v_and_b32_sdwa v46, v45, s88 dst_sel:DWORD dst_unused:UNUSED_PAD src0_sel:WORD_1 src1_sel:DWORD
	v_lshrrev_b32_e32 v47, 8, v45
	v_perm_b32 v48, v45, v45, s92
	v_cmp_lt_u16_sdwa s[66:67], v46, v47 src0_sel:DWORD src1_sel:BYTE_0
	s_nop 1
	v_cndmask_b32_e64 v45, v45, v48, s[66:67]
	ds_write_b64 v3, v[44:45]
	v_mov_b32_e32 v45, v37
	s_waitcnt lgkmcnt(0)
	; wave barrier
	s_waitcnt lgkmcnt(0)
	s_and_saveexec_b64 s[70:71], s[0:1]
	s_cbranch_execz .LBB89_6
; %bb.3:                                ;   in Loop: Header=BB89_2 Depth=1
	s_mov_b64 s[72:73], 0
	v_mov_b32_e32 v45, v37
	v_mov_b32_e32 v44, v32
.LBB89_4:                               ;   Parent Loop BB89_2 Depth=1
                                        ; =>  This Inner Loop Header: Depth=2
	v_sub_u32_e32 v46, v44, v45
	v_lshrrev_b32_e32 v47, 31, v46
	v_add_u32_e32 v46, v46, v47
	v_ashrrev_i32_e32 v46, 1, v46
	v_add_u32_e32 v46, v46, v45
	v_not_b32_e32 v48, v46
	v_add_u32_e32 v47, v4, v46
	v_add3_u32 v48, v5, v48, v17
	ds_read_u8 v47, v47
	ds_read_u8 v48, v48
	v_add_u32_e32 v49, 1, v46
	s_waitcnt lgkmcnt(0)
	v_cmp_lt_u16_e64 s[68:69], v48, v47
	s_nop 1
	v_cndmask_b32_e64 v44, v44, v46, s[68:69]
	v_cndmask_b32_e64 v45, v49, v45, s[68:69]
	v_cmp_ge_i32_e64 s[68:69], v45, v44
	s_or_b64 s[72:73], s[68:69], s[72:73]
	s_andn2_b64 exec, exec, s[72:73]
	s_cbranch_execnz .LBB89_4
; %bb.5:                                ;   in Loop: Header=BB89_2 Depth=1
	s_or_b64 exec, exec, s[72:73]
.LBB89_6:                               ;   in Loop: Header=BB89_2 Depth=1
	s_or_b64 exec, exec, s[70:71]
	v_add_u32_e32 v44, v45, v4
	v_sub_u32_e32 v45, v27, v45
	ds_read_u8 v46, v44
	ds_read_u8 v47, v45
	v_cmp_le_i32_e64 s[70:71], v17, v44
	v_cmp_gt_i32_e64 s[68:69], v18, v45
                                        ; implicit-def: $vgpr48
                                        ; implicit-def: $vgpr49
	s_waitcnt lgkmcnt(0)
	v_cmp_lt_u16_sdwa s[72:73], v47, v46 src0_sel:BYTE_0 src1_sel:BYTE_0
	s_or_b64 s[70:71], s[70:71], s[72:73]
	s_and_b64 s[68:69], s[68:69], s[70:71]
	s_xor_b64 s[70:71], s[68:69], -1
	s_and_saveexec_b64 s[72:73], s[70:71]
	s_xor_b64 s[70:71], exec, s[72:73]
	s_cbranch_execz .LBB89_8
; %bb.7:                                ;   in Loop: Header=BB89_2 Depth=1
	ds_read_u8 v49, v44 offset:1
	v_mov_b32_e32 v48, v47
.LBB89_8:                               ;   in Loop: Header=BB89_2 Depth=1
	s_andn2_saveexec_b64 s[70:71], s[70:71]
	s_cbranch_execz .LBB89_10
; %bb.9:                                ;   in Loop: Header=BB89_2 Depth=1
	ds_read_u8 v48, v45 offset:1
	s_waitcnt lgkmcnt(1)
	v_mov_b32_e32 v49, v46
.LBB89_10:                              ;   in Loop: Header=BB89_2 Depth=1
	s_or_b64 exec, exec, s[70:71]
	v_add_u32_e32 v51, 1, v44
	v_add_u32_e32 v50, 1, v45
	v_cndmask_b32_e64 v51, v51, v44, s[68:69]
	v_cndmask_b32_e64 v50, v45, v50, s[68:69]
	v_cmp_ge_i32_e64 s[72:73], v51, v17
	s_waitcnt lgkmcnt(0)
	v_cmp_lt_u16_sdwa s[74:75], v48, v49 src0_sel:BYTE_0 src1_sel:BYTE_0
	v_cmp_lt_i32_e64 s[70:71], v50, v18
	s_or_b64 s[72:73], s[72:73], s[74:75]
	s_and_b64 s[70:71], s[70:71], s[72:73]
	s_xor_b64 s[72:73], s[70:71], -1
                                        ; implicit-def: $vgpr52
	s_and_saveexec_b64 s[74:75], s[72:73]
	s_xor_b64 s[72:73], exec, s[74:75]
	s_cbranch_execz .LBB89_12
; %bb.11:                               ;   in Loop: Header=BB89_2 Depth=1
	ds_read_u8 v52, v51 offset:1
.LBB89_12:                              ;   in Loop: Header=BB89_2 Depth=1
	s_or_saveexec_b64 s[72:73], s[72:73]
	v_mov_b32_e32 v53, v48
	s_xor_b64 exec, exec, s[72:73]
	s_cbranch_execz .LBB89_14
; %bb.13:                               ;   in Loop: Header=BB89_2 Depth=1
	ds_read_u8 v53, v50 offset:1
	s_waitcnt lgkmcnt(1)
	v_mov_b32_e32 v52, v49
.LBB89_14:                              ;   in Loop: Header=BB89_2 Depth=1
	s_or_b64 exec, exec, s[72:73]
	v_add_u32_e32 v55, 1, v51
	v_add_u32_e32 v54, 1, v50
	v_cndmask_b32_e64 v55, v55, v51, s[70:71]
	v_cndmask_b32_e64 v54, v50, v54, s[70:71]
	v_cmp_ge_i32_e64 s[74:75], v55, v17
	s_waitcnt lgkmcnt(0)
	v_cmp_lt_u16_sdwa s[76:77], v53, v52 src0_sel:BYTE_0 src1_sel:BYTE_0
	v_cmp_lt_i32_e64 s[72:73], v54, v18
	s_or_b64 s[74:75], s[74:75], s[76:77]
	s_and_b64 s[72:73], s[72:73], s[74:75]
	s_xor_b64 s[74:75], s[72:73], -1
                                        ; implicit-def: $vgpr56
	s_and_saveexec_b64 s[76:77], s[74:75]
	s_xor_b64 s[74:75], exec, s[76:77]
	s_cbranch_execz .LBB89_16
; %bb.15:                               ;   in Loop: Header=BB89_2 Depth=1
	ds_read_u8 v56, v55 offset:1
.LBB89_16:                              ;   in Loop: Header=BB89_2 Depth=1
	s_or_saveexec_b64 s[74:75], s[74:75]
	v_mov_b32_e32 v57, v53
	s_xor_b64 exec, exec, s[74:75]
	s_cbranch_execz .LBB89_18
; %bb.17:                               ;   in Loop: Header=BB89_2 Depth=1
	ds_read_u8 v57, v54 offset:1
	s_waitcnt lgkmcnt(1)
	v_mov_b32_e32 v56, v52
.LBB89_18:                              ;   in Loop: Header=BB89_2 Depth=1
	s_or_b64 exec, exec, s[74:75]
	v_add_u32_e32 v59, 1, v55
	v_add_u32_e32 v58, 1, v54
	v_cndmask_b32_e64 v59, v59, v55, s[72:73]
	v_cndmask_b32_e64 v58, v54, v58, s[72:73]
	v_cmp_ge_i32_e64 s[76:77], v59, v17
	s_waitcnt lgkmcnt(0)
	v_cmp_lt_u16_sdwa s[78:79], v57, v56 src0_sel:BYTE_0 src1_sel:BYTE_0
	v_cmp_lt_i32_e64 s[74:75], v58, v18
	s_or_b64 s[76:77], s[76:77], s[78:79]
	s_and_b64 s[74:75], s[74:75], s[76:77]
	s_xor_b64 s[76:77], s[74:75], -1
                                        ; implicit-def: $vgpr60
	s_and_saveexec_b64 s[78:79], s[76:77]
	s_xor_b64 s[76:77], exec, s[78:79]
	s_cbranch_execz .LBB89_20
; %bb.19:                               ;   in Loop: Header=BB89_2 Depth=1
	ds_read_u8 v60, v59 offset:1
.LBB89_20:                              ;   in Loop: Header=BB89_2 Depth=1
	s_or_saveexec_b64 s[76:77], s[76:77]
	v_mov_b32_e32 v61, v57
	s_xor_b64 exec, exec, s[76:77]
	s_cbranch_execz .LBB89_22
; %bb.21:                               ;   in Loop: Header=BB89_2 Depth=1
	ds_read_u8 v61, v58 offset:1
	s_waitcnt lgkmcnt(1)
	v_mov_b32_e32 v60, v56
.LBB89_22:                              ;   in Loop: Header=BB89_2 Depth=1
	s_or_b64 exec, exec, s[76:77]
	v_add_u32_e32 v64, 1, v59
	v_add_u32_e32 v62, 1, v58
	v_cndmask_b32_e64 v64, v64, v59, s[74:75]
	v_cndmask_b32_e64 v63, v58, v62, s[74:75]
	v_cmp_ge_i32_e64 s[78:79], v64, v17
	s_waitcnt lgkmcnt(0)
	v_cmp_lt_u16_sdwa s[80:81], v61, v60 src0_sel:BYTE_0 src1_sel:BYTE_0
	v_cmp_lt_i32_e64 s[76:77], v63, v18
	s_or_b64 s[78:79], s[78:79], s[80:81]
	s_and_b64 s[76:77], s[76:77], s[78:79]
	s_xor_b64 s[78:79], s[76:77], -1
                                        ; implicit-def: $vgpr66
	s_and_saveexec_b64 s[80:81], s[78:79]
	s_xor_b64 s[78:79], exec, s[80:81]
	s_cbranch_execz .LBB89_24
; %bb.23:                               ;   in Loop: Header=BB89_2 Depth=1
	ds_read_u8 v66, v64 offset:1
.LBB89_24:                              ;   in Loop: Header=BB89_2 Depth=1
	s_or_saveexec_b64 s[78:79], s[78:79]
	v_mov_b32_e32 v67, v61
	s_xor_b64 exec, exec, s[78:79]
	s_cbranch_execz .LBB89_26
; %bb.25:                               ;   in Loop: Header=BB89_2 Depth=1
	ds_read_u8 v67, v63 offset:1
	s_waitcnt lgkmcnt(1)
	v_mov_b32_e32 v66, v60
.LBB89_26:                              ;   in Loop: Header=BB89_2 Depth=1
	s_or_b64 exec, exec, s[78:79]
	v_add_u32_e32 v65, 1, v64
	v_add_u32_e32 v62, 1, v63
	v_cndmask_b32_e64 v69, v65, v64, s[76:77]
	v_cndmask_b32_e64 v68, v63, v62, s[76:77]
	v_cmp_ge_i32_e64 s[80:81], v69, v17
	s_waitcnt lgkmcnt(0)
	v_cmp_lt_u16_sdwa s[82:83], v67, v66 src0_sel:BYTE_0 src1_sel:BYTE_0
	v_cmp_lt_i32_e64 s[78:79], v68, v18
	s_or_b64 s[80:81], s[80:81], s[82:83]
	s_and_b64 s[78:79], s[78:79], s[80:81]
	s_xor_b64 s[80:81], s[78:79], -1
                                        ; implicit-def: $vgpr70
	s_and_saveexec_b64 s[82:83], s[80:81]
	s_xor_b64 s[80:81], exec, s[82:83]
	s_cbranch_execz .LBB89_28
; %bb.27:                               ;   in Loop: Header=BB89_2 Depth=1
	ds_read_u8 v70, v69 offset:1
.LBB89_28:                              ;   in Loop: Header=BB89_2 Depth=1
	s_or_saveexec_b64 s[80:81], s[80:81]
	v_mov_b32_e32 v71, v67
	s_xor_b64 exec, exec, s[80:81]
	s_cbranch_execz .LBB89_30
; %bb.29:                               ;   in Loop: Header=BB89_2 Depth=1
	ds_read_u8 v71, v68 offset:1
	s_waitcnt lgkmcnt(1)
	v_mov_b32_e32 v70, v66
.LBB89_30:                              ;   in Loop: Header=BB89_2 Depth=1
	s_or_b64 exec, exec, s[80:81]
	v_add_u32_e32 v65, 1, v69
	v_add_u32_e32 v62, 1, v68
	v_cndmask_b32_e64 v73, v65, v69, s[78:79]
	v_cndmask_b32_e64 v72, v68, v62, s[78:79]
	v_cmp_ge_i32_e64 s[82:83], v73, v17
	s_waitcnt lgkmcnt(0)
	v_cmp_lt_u16_sdwa s[96:97], v71, v70 src0_sel:BYTE_0 src1_sel:BYTE_0
	v_cmp_lt_i32_e64 s[80:81], v72, v18
	s_or_b64 s[82:83], s[82:83], s[96:97]
	s_and_b64 s[80:81], s[80:81], s[82:83]
	s_xor_b64 s[82:83], s[80:81], -1
                                        ; implicit-def: $vgpr62
	s_and_saveexec_b64 s[96:97], s[82:83]
	s_xor_b64 s[82:83], exec, s[96:97]
	s_cbranch_execz .LBB89_32
; %bb.31:                               ;   in Loop: Header=BB89_2 Depth=1
	ds_read_u8 v62, v73 offset:1
.LBB89_32:                              ;   in Loop: Header=BB89_2 Depth=1
	s_or_saveexec_b64 s[82:83], s[82:83]
	v_mov_b32_e32 v65, v71
	s_xor_b64 exec, exec, s[82:83]
	s_cbranch_execz .LBB89_34
; %bb.33:                               ;   in Loop: Header=BB89_2 Depth=1
	ds_read_u8 v65, v72 offset:1
	s_waitcnt lgkmcnt(1)
	v_mov_b32_e32 v62, v70
.LBB89_34:                              ;   in Loop: Header=BB89_2 Depth=1
	s_or_b64 exec, exec, s[82:83]
	v_perm_b32 v74, 0, v42, s90
	v_and_or_b32 v74, v42, s94, v74
	v_cndmask_b32_e64 v42, v42, v74, s[10:11]
	v_cndmask_b32_e64 v44, v44, v45, s[68:69]
	v_lshrrev_b32_e32 v45, 16, v42
	v_perm_b32 v45, 0, v45, s90
	v_lshlrev_b32_e32 v45, 16, v45
	v_and_or_b32 v45, v42, s85, v45
	v_cndmask_b32_e64 v42, v42, v45, s[12:13]
	v_perm_b32 v45, v43, v43, s89
	v_cndmask_b32_e64 v43, v43, v45, s[14:15]
	v_perm_b32 v45, v43, v43, s91
	v_cndmask_b32_e64 v43, v43, v45, s[16:17]
	v_perm_b32 v45, v42, v42, s92
	v_cndmask_b32_e64 v42, v42, v45, s[18:19]
	v_cndmask_b32_e64 v52, v52, v53, s[72:73]
	;; [unrolled: 1-line block ×6, first 2 shown]
	v_and_b32_sdwa v46, v42, s88 dst_sel:DWORD dst_unused:UNUSED_PAD src0_sel:WORD_1 src1_sel:DWORD
	v_lshlrev_b16_e32 v47, 8, v43
	v_or_b32_sdwa v46, v46, v47 dst_sel:WORD_1 dst_unused:UNUSED_PAD src0_sel:DWORD src1_sel:DWORD
	v_perm_b32 v45, v42, v43, s93
	v_and_or_b32 v46, v42, s85, v46
	v_cndmask_b32_e64 v42, v42, v46, s[20:21]
	v_perm_b32 v46, 0, v42, s90
	v_cndmask_b32_e64 v43, v43, v45, s[20:21]
	v_and_or_b32 v46, v42, s94, v46
	v_perm_b32 v45, v43, v43, s92
	v_cndmask_b32_e64 v42, v42, v46, s[24:25]
	v_cndmask_b32_e64 v43, v43, v45, s[22:23]
	v_lshrrev_b32_e32 v45, 16, v42
	v_perm_b32 v45, 0, v45, s90
	v_lshlrev_b32_e32 v45, 16, v45
	v_and_or_b32 v45, v42, s85, v45
	v_cndmask_b32_e64 v42, v42, v45, s[26:27]
	v_perm_b32 v45, v43, v43, s89
	v_cndmask_b32_e64 v43, v43, v45, s[28:29]
	v_perm_b32 v45, v43, v43, s91
	;; [unrolled: 2-line block ×3, first 2 shown]
	v_cndmask_b32_e64 v42, v42, v45, s[34:35]
	v_and_b32_sdwa v46, v42, s88 dst_sel:DWORD dst_unused:UNUSED_PAD src0_sel:WORD_1 src1_sel:DWORD
	v_lshlrev_b16_e32 v47, 8, v43
	v_or_b32_sdwa v46, v46, v47 dst_sel:WORD_1 dst_unused:UNUSED_PAD src0_sel:DWORD src1_sel:DWORD
	v_perm_b32 v45, v42, v43, s93
	v_and_or_b32 v46, v42, s85, v46
	v_cndmask_b32_e64 v42, v42, v46, s[36:37]
	v_perm_b32 v46, 0, v42, s90
	v_cndmask_b32_e64 v43, v43, v45, s[36:37]
	v_and_or_b32 v46, v42, s94, v46
	v_perm_b32 v45, v43, v43, s92
	v_cndmask_b32_e64 v42, v42, v46, s[40:41]
	v_cndmask_b32_e64 v43, v43, v45, s[38:39]
	v_lshrrev_b32_e32 v45, 16, v42
	v_perm_b32 v45, 0, v45, s90
	v_lshlrev_b32_e32 v45, 16, v45
	v_and_or_b32 v45, v42, s85, v45
	v_cndmask_b32_e64 v42, v42, v45, s[42:43]
	v_perm_b32 v45, v43, v43, s89
	v_cndmask_b32_e64 v43, v43, v45, s[44:45]
	v_perm_b32 v45, v43, v43, s91
	;; [unrolled: 2-line block ×3, first 2 shown]
	v_cndmask_b32_e64 v42, v42, v45, s[48:49]
	v_and_b32_sdwa v46, v42, s88 dst_sel:DWORD dst_unused:UNUSED_PAD src0_sel:WORD_1 src1_sel:DWORD
	v_lshlrev_b16_e32 v47, 8, v43
	v_or_b32_sdwa v46, v46, v47 dst_sel:WORD_1 dst_unused:UNUSED_PAD src0_sel:DWORD src1_sel:DWORD
	v_perm_b32 v45, v42, v43, s93
	v_and_or_b32 v46, v42, s85, v46
	v_cndmask_b32_e64 v42, v42, v46, s[50:51]
	v_perm_b32 v46, 0, v42, s90
	v_cndmask_b32_e64 v43, v43, v45, s[50:51]
	v_and_or_b32 v46, v42, s94, v46
	v_perm_b32 v45, v43, v43, s92
	v_cndmask_b32_e64 v42, v42, v46, s[54:55]
	v_cndmask_b32_e64 v43, v43, v45, s[52:53]
	v_lshrrev_b32_e32 v45, 16, v42
	v_perm_b32 v45, 0, v45, s90
	v_lshlrev_b32_e32 v45, 16, v45
	v_and_or_b32 v45, v42, s85, v45
	v_cndmask_b32_e64 v42, v42, v45, s[56:57]
	v_perm_b32 v45, v43, v43, s89
	v_cndmask_b32_e64 v43, v43, v45, s[58:59]
	v_perm_b32 v45, v43, v43, s91
	v_add_u32_e32 v75, 1, v73
	v_cndmask_b32_e64 v43, v43, v45, s[60:61]
	v_perm_b32 v45, v42, v42, s92
	v_cndmask_b32_e64 v70, v70, v71, s[80:81]
	v_add_u32_e32 v71, 1, v72
	v_cndmask_b32_e64 v75, v75, v73, s[80:81]
	v_cndmask_b32_e64 v42, v42, v45, s[62:63]
	;; [unrolled: 1-line block ×3, first 2 shown]
	v_perm_b32 v45, v42, v43, s93
	v_and_b32_sdwa v46, v42, s88 dst_sel:DWORD dst_unused:UNUSED_PAD src0_sel:WORD_1 src1_sel:DWORD
	v_lshlrev_b16_e32 v47, 8, v43
	v_cmp_ge_i32_e64 s[12:13], v75, v17
	s_waitcnt lgkmcnt(0)
	v_cmp_lt_u16_sdwa s[14:15], v65, v62 src0_sel:BYTE_0 src1_sel:BYTE_0
	v_or_b32_sdwa v46, v46, v47 dst_sel:WORD_1 dst_unused:UNUSED_PAD src0_sel:DWORD src1_sel:DWORD
	v_cndmask_b32_e64 v43, v43, v45, s[64:65]
	v_cmp_lt_i32_e64 s[10:11], v71, v18
	s_or_b64 s[12:13], s[12:13], s[14:15]
	v_and_or_b32 v46, v42, s85, v46
	v_perm_b32 v45, v43, v43, s92
	s_and_b64 s[10:11], s[10:11], s[12:13]
	v_cndmask_b32_e64 v42, v42, v46, s[64:65]
	v_cndmask_b32_e64 v43, v43, v45, s[66:67]
	;; [unrolled: 1-line block ×10, first 2 shown]
	s_waitcnt lgkmcnt(0)
	; wave barrier
	ds_write_b64 v3, v[42:43]
	s_waitcnt lgkmcnt(0)
	; wave barrier
	s_waitcnt lgkmcnt(0)
	ds_read_u8 v46, v45
	ds_read_u8 v42, v44
	;; [unrolled: 1-line block ×8, first 2 shown]
	v_lshlrev_b16_e32 v53, 8, v54
	v_or_b32_sdwa v50, v50, v53 dst_sel:DWORD dst_unused:UNUSED_PAD src0_sel:BYTE_0 src1_sel:DWORD
	v_lshlrev_b16_e32 v53, 8, v56
	v_cndmask_b32_e64 v51, v62, v65, s[10:11]
	v_or_b32_sdwa v52, v52, v53 dst_sel:WORD_1 dst_unused:UNUSED_PAD src0_sel:BYTE_0 src1_sel:DWORD
	v_lshlrev_b16_e32 v51, 8, v51
	v_or_b32_sdwa v50, v50, v52 dst_sel:DWORD dst_unused:UNUSED_PAD src0_sel:WORD_0 src1_sel:DWORD
	v_lshlrev_b16_e32 v52, 8, v66
	v_or_b32_sdwa v52, v60, v52 dst_sel:DWORD dst_unused:UNUSED_PAD src0_sel:BYTE_0 src1_sel:DWORD
	v_or_b32_sdwa v51, v70, v51 dst_sel:WORD_1 dst_unused:UNUSED_PAD src0_sel:BYTE_0 src1_sel:DWORD
	s_waitcnt lgkmcnt(0)
	v_or_b32_sdwa v51, v52, v51 dst_sel:DWORD dst_unused:UNUSED_PAD src0_sel:WORD_0 src1_sel:DWORD
	; wave barrier
	ds_write_b64 v3, v[50:51]
	v_mov_b32_e32 v51, v38
	s_waitcnt lgkmcnt(0)
	; wave barrier
	s_waitcnt lgkmcnt(0)
	s_and_saveexec_b64 s[12:13], s[2:3]
	s_cbranch_execz .LBB89_38
; %bb.35:                               ;   in Loop: Header=BB89_2 Depth=1
	s_mov_b64 s[14:15], 0
	v_mov_b32_e32 v51, v38
	v_mov_b32_e32 v50, v33
.LBB89_36:                              ;   Parent Loop BB89_2 Depth=1
                                        ; =>  This Inner Loop Header: Depth=2
	v_sub_u32_e32 v52, v50, v51
	v_lshrrev_b32_e32 v53, 31, v52
	v_add_u32_e32 v52, v52, v53
	v_ashrrev_i32_e32 v52, 1, v52
	v_add_u32_e32 v52, v52, v51
	v_not_b32_e32 v54, v52
	v_add_u32_e32 v53, v6, v52
	v_add3_u32 v54, v7, v54, v19
	ds_read_u8 v53, v53
	ds_read_u8 v54, v54
	v_add_u32_e32 v55, 1, v52
	s_waitcnt lgkmcnt(0)
	v_cmp_lt_u16_e64 s[10:11], v54, v53
	s_nop 1
	v_cndmask_b32_e64 v50, v50, v52, s[10:11]
	v_cndmask_b32_e64 v51, v55, v51, s[10:11]
	v_cmp_ge_i32_e64 s[10:11], v51, v50
	s_or_b64 s[14:15], s[10:11], s[14:15]
	s_andn2_b64 exec, exec, s[14:15]
	s_cbranch_execnz .LBB89_36
; %bb.37:                               ;   in Loop: Header=BB89_2 Depth=1
	s_or_b64 exec, exec, s[14:15]
.LBB89_38:                              ;   in Loop: Header=BB89_2 Depth=1
	s_or_b64 exec, exec, s[12:13]
	v_add_u32_e32 v50, v51, v6
	v_sub_u32_e32 v51, v28, v51
	ds_read_u8 v52, v50
	ds_read_u8 v53, v51
	v_cmp_le_i32_e64 s[12:13], v19, v50
	v_cmp_gt_i32_e64 s[10:11], v20, v51
                                        ; implicit-def: $vgpr54
                                        ; implicit-def: $vgpr55
	s_waitcnt lgkmcnt(0)
	v_cmp_lt_u16_sdwa s[14:15], v53, v52 src0_sel:BYTE_0 src1_sel:BYTE_0
	s_or_b64 s[12:13], s[12:13], s[14:15]
	s_and_b64 s[10:11], s[10:11], s[12:13]
	s_xor_b64 s[12:13], s[10:11], -1
	s_and_saveexec_b64 s[14:15], s[12:13]
	s_xor_b64 s[12:13], exec, s[14:15]
	s_cbranch_execz .LBB89_40
; %bb.39:                               ;   in Loop: Header=BB89_2 Depth=1
	ds_read_u8 v55, v50 offset:1
	v_mov_b32_e32 v54, v53
.LBB89_40:                              ;   in Loop: Header=BB89_2 Depth=1
	s_andn2_saveexec_b64 s[12:13], s[12:13]
	s_cbranch_execz .LBB89_42
; %bb.41:                               ;   in Loop: Header=BB89_2 Depth=1
	ds_read_u8 v54, v51 offset:1
	s_waitcnt lgkmcnt(1)
	v_mov_b32_e32 v55, v52
.LBB89_42:                              ;   in Loop: Header=BB89_2 Depth=1
	s_or_b64 exec, exec, s[12:13]
	v_add_u32_e32 v57, 1, v50
	v_add_u32_e32 v56, 1, v51
	v_cndmask_b32_e64 v57, v57, v50, s[10:11]
	v_cndmask_b32_e64 v56, v51, v56, s[10:11]
	v_cmp_ge_i32_e64 s[14:15], v57, v19
	s_waitcnt lgkmcnt(0)
	v_cmp_lt_u16_sdwa s[16:17], v54, v55 src0_sel:BYTE_0 src1_sel:BYTE_0
	v_cmp_lt_i32_e64 s[12:13], v56, v20
	s_or_b64 s[14:15], s[14:15], s[16:17]
	s_and_b64 s[12:13], s[12:13], s[14:15]
	s_xor_b64 s[14:15], s[12:13], -1
                                        ; implicit-def: $vgpr58
	s_and_saveexec_b64 s[16:17], s[14:15]
	s_xor_b64 s[14:15], exec, s[16:17]
	s_cbranch_execz .LBB89_44
; %bb.43:                               ;   in Loop: Header=BB89_2 Depth=1
	ds_read_u8 v58, v57 offset:1
.LBB89_44:                              ;   in Loop: Header=BB89_2 Depth=1
	s_or_saveexec_b64 s[14:15], s[14:15]
	v_mov_b32_e32 v59, v54
	s_xor_b64 exec, exec, s[14:15]
	s_cbranch_execz .LBB89_46
; %bb.45:                               ;   in Loop: Header=BB89_2 Depth=1
	ds_read_u8 v59, v56 offset:1
	s_waitcnt lgkmcnt(1)
	v_mov_b32_e32 v58, v55
.LBB89_46:                              ;   in Loop: Header=BB89_2 Depth=1
	s_or_b64 exec, exec, s[14:15]
	v_add_u32_e32 v61, 1, v57
	v_add_u32_e32 v60, 1, v56
	v_cndmask_b32_e64 v61, v61, v57, s[12:13]
	v_cndmask_b32_e64 v60, v56, v60, s[12:13]
	v_cmp_ge_i32_e64 s[16:17], v61, v19
	s_waitcnt lgkmcnt(0)
	v_cmp_lt_u16_sdwa s[18:19], v59, v58 src0_sel:BYTE_0 src1_sel:BYTE_0
	v_cmp_lt_i32_e64 s[14:15], v60, v20
	s_or_b64 s[16:17], s[16:17], s[18:19]
	s_and_b64 s[14:15], s[14:15], s[16:17]
	s_xor_b64 s[16:17], s[14:15], -1
                                        ; implicit-def: $vgpr62
	s_and_saveexec_b64 s[18:19], s[16:17]
	s_xor_b64 s[16:17], exec, s[18:19]
	s_cbranch_execz .LBB89_48
; %bb.47:                               ;   in Loop: Header=BB89_2 Depth=1
	ds_read_u8 v62, v61 offset:1
.LBB89_48:                              ;   in Loop: Header=BB89_2 Depth=1
	s_or_saveexec_b64 s[16:17], s[16:17]
	v_mov_b32_e32 v63, v59
	s_xor_b64 exec, exec, s[16:17]
	s_cbranch_execz .LBB89_50
; %bb.49:                               ;   in Loop: Header=BB89_2 Depth=1
	ds_read_u8 v63, v60 offset:1
	s_waitcnt lgkmcnt(1)
	v_mov_b32_e32 v62, v58
.LBB89_50:                              ;   in Loop: Header=BB89_2 Depth=1
	s_or_b64 exec, exec, s[16:17]
	v_add_u32_e32 v65, 1, v61
	v_add_u32_e32 v64, 1, v60
	v_cndmask_b32_e64 v65, v65, v61, s[14:15]
	v_cndmask_b32_e64 v64, v60, v64, s[14:15]
	v_cmp_ge_i32_e64 s[18:19], v65, v19
	s_waitcnt lgkmcnt(0)
	v_cmp_lt_u16_sdwa s[20:21], v63, v62 src0_sel:BYTE_0 src1_sel:BYTE_0
	v_cmp_lt_i32_e64 s[16:17], v64, v20
	s_or_b64 s[18:19], s[18:19], s[20:21]
	s_and_b64 s[16:17], s[16:17], s[18:19]
	s_xor_b64 s[18:19], s[16:17], -1
                                        ; implicit-def: $vgpr66
	s_and_saveexec_b64 s[20:21], s[18:19]
	s_xor_b64 s[18:19], exec, s[20:21]
	s_cbranch_execz .LBB89_52
; %bb.51:                               ;   in Loop: Header=BB89_2 Depth=1
	ds_read_u8 v66, v65 offset:1
.LBB89_52:                              ;   in Loop: Header=BB89_2 Depth=1
	s_or_saveexec_b64 s[18:19], s[18:19]
	v_mov_b32_e32 v67, v63
	s_xor_b64 exec, exec, s[18:19]
	s_cbranch_execz .LBB89_54
; %bb.53:                               ;   in Loop: Header=BB89_2 Depth=1
	ds_read_u8 v67, v64 offset:1
	s_waitcnt lgkmcnt(1)
	v_mov_b32_e32 v66, v62
.LBB89_54:                              ;   in Loop: Header=BB89_2 Depth=1
	s_or_b64 exec, exec, s[18:19]
	v_add_u32_e32 v69, 1, v65
	v_add_u32_e32 v68, 1, v64
	v_cndmask_b32_e64 v69, v69, v65, s[16:17]
	v_cndmask_b32_e64 v68, v64, v68, s[16:17]
	v_cmp_ge_i32_e64 s[20:21], v69, v19
	s_waitcnt lgkmcnt(0)
	v_cmp_lt_u16_sdwa s[22:23], v67, v66 src0_sel:BYTE_0 src1_sel:BYTE_0
	v_cmp_lt_i32_e64 s[18:19], v68, v20
	s_or_b64 s[20:21], s[20:21], s[22:23]
	s_and_b64 s[18:19], s[18:19], s[20:21]
	s_xor_b64 s[20:21], s[18:19], -1
                                        ; implicit-def: $vgpr70
	s_and_saveexec_b64 s[22:23], s[20:21]
	s_xor_b64 s[20:21], exec, s[22:23]
	s_cbranch_execz .LBB89_56
; %bb.55:                               ;   in Loop: Header=BB89_2 Depth=1
	ds_read_u8 v70, v69 offset:1
.LBB89_56:                              ;   in Loop: Header=BB89_2 Depth=1
	s_or_saveexec_b64 s[20:21], s[20:21]
	v_mov_b32_e32 v71, v67
	s_xor_b64 exec, exec, s[20:21]
	s_cbranch_execz .LBB89_58
; %bb.57:                               ;   in Loop: Header=BB89_2 Depth=1
	ds_read_u8 v71, v68 offset:1
	s_waitcnt lgkmcnt(1)
	v_mov_b32_e32 v70, v66
.LBB89_58:                              ;   in Loop: Header=BB89_2 Depth=1
	s_or_b64 exec, exec, s[20:21]
	v_add_u32_e32 v73, 1, v69
	v_add_u32_e32 v72, 1, v68
	v_cndmask_b32_e64 v73, v73, v69, s[18:19]
	v_cndmask_b32_e64 v72, v68, v72, s[18:19]
	v_cmp_ge_i32_e64 s[22:23], v73, v19
	s_waitcnt lgkmcnt(0)
	v_cmp_lt_u16_sdwa s[24:25], v71, v70 src0_sel:BYTE_0 src1_sel:BYTE_0
	v_cmp_lt_i32_e64 s[20:21], v72, v20
	s_or_b64 s[22:23], s[22:23], s[24:25]
	s_and_b64 s[20:21], s[20:21], s[22:23]
	s_xor_b64 s[22:23], s[20:21], -1
                                        ; implicit-def: $vgpr74
	s_and_saveexec_b64 s[24:25], s[22:23]
	s_xor_b64 s[22:23], exec, s[24:25]
	s_cbranch_execz .LBB89_60
; %bb.59:                               ;   in Loop: Header=BB89_2 Depth=1
	ds_read_u8 v74, v73 offset:1
.LBB89_60:                              ;   in Loop: Header=BB89_2 Depth=1
	s_or_saveexec_b64 s[22:23], s[22:23]
	v_mov_b32_e32 v75, v71
	s_xor_b64 exec, exec, s[22:23]
	s_cbranch_execz .LBB89_62
; %bb.61:                               ;   in Loop: Header=BB89_2 Depth=1
	ds_read_u8 v75, v72 offset:1
	s_waitcnt lgkmcnt(1)
	v_mov_b32_e32 v74, v70
.LBB89_62:                              ;   in Loop: Header=BB89_2 Depth=1
	s_or_b64 exec, exec, s[22:23]
	v_add_u32_e32 v78, 1, v73
	v_add_u32_e32 v76, 1, v72
	v_cndmask_b32_e64 v78, v78, v73, s[20:21]
	v_cndmask_b32_e64 v77, v72, v76, s[20:21]
	v_cmp_ge_i32_e64 s[24:25], v78, v19
	s_waitcnt lgkmcnt(0)
	v_cmp_lt_u16_sdwa s[26:27], v75, v74 src0_sel:BYTE_0 src1_sel:BYTE_0
	v_cmp_lt_i32_e64 s[22:23], v77, v20
	s_or_b64 s[24:25], s[24:25], s[26:27]
	s_and_b64 s[22:23], s[22:23], s[24:25]
	s_xor_b64 s[24:25], s[22:23], -1
                                        ; implicit-def: $vgpr76
	s_and_saveexec_b64 s[26:27], s[24:25]
	s_xor_b64 s[24:25], exec, s[26:27]
	s_cbranch_execz .LBB89_64
; %bb.63:                               ;   in Loop: Header=BB89_2 Depth=1
	ds_read_u8 v76, v78 offset:1
.LBB89_64:                              ;   in Loop: Header=BB89_2 Depth=1
	s_or_saveexec_b64 s[24:25], s[24:25]
	v_mov_b32_e32 v79, v75
	s_xor_b64 exec, exec, s[24:25]
	s_cbranch_execz .LBB89_66
; %bb.65:                               ;   in Loop: Header=BB89_2 Depth=1
	ds_read_u8 v79, v77 offset:1
	s_waitcnt lgkmcnt(1)
	v_mov_b32_e32 v76, v74
.LBB89_66:                              ;   in Loop: Header=BB89_2 Depth=1
	s_or_b64 exec, exec, s[24:25]
	v_add_u32_e32 v80, 1, v78
	v_cndmask_b32_e64 v74, v74, v75, s[22:23]
	v_add_u32_e32 v75, 1, v77
	v_cndmask_b32_e64 v80, v80, v78, s[22:23]
	v_cndmask_b32_e64 v75, v77, v75, s[22:23]
	v_cndmask_b32_e64 v58, v58, v59, s[14:15]
	v_cndmask_b32_e64 v59, v61, v60, s[14:15]
	v_cndmask_b32_e64 v54, v55, v54, s[12:13]
	v_cndmask_b32_e64 v55, v57, v56, s[12:13]
	v_cmp_ge_i32_e64 s[12:13], v80, v19
	s_waitcnt lgkmcnt(0)
	v_cmp_lt_u16_sdwa s[14:15], v79, v76 src0_sel:BYTE_0 src1_sel:BYTE_0
	v_lshlrev_b16_e32 v44, 8, v44
	v_cndmask_b32_e64 v52, v52, v53, s[10:11]
	v_cndmask_b32_e64 v50, v50, v51, s[10:11]
	v_cmp_lt_i32_e64 s[10:11], v75, v20
	s_or_b64 s[12:13], s[12:13], s[14:15]
	v_lshlrev_b16_e32 v49, 8, v49
	v_lshlrev_b16_e32 v46, 8, v46
	v_or_b32_sdwa v42, v42, v44 dst_sel:DWORD dst_unused:UNUSED_PAD src0_sel:BYTE_0 src1_sel:DWORD
	v_lshlrev_b16_e32 v44, 8, v45
	s_and_b64 s[10:11], s[10:11], s[12:13]
	v_or_b32_sdwa v47, v47, v49 dst_sel:DWORD dst_unused:UNUSED_PAD src0_sel:BYTE_0 src1_sel:DWORD
	v_or_b32_sdwa v46, v48, v46 dst_sel:WORD_1 dst_unused:UNUSED_PAD src0_sel:BYTE_0 src1_sel:DWORD
	v_or_b32_sdwa v43, v43, v44 dst_sel:WORD_1 dst_unused:UNUSED_PAD src0_sel:BYTE_0 src1_sel:DWORD
	v_cndmask_b32_e64 v53, v80, v75, s[10:11]
	v_or_b32_sdwa v47, v47, v46 dst_sel:DWORD dst_unused:UNUSED_PAD src0_sel:WORD_0 src1_sel:DWORD
	v_or_b32_sdwa v46, v42, v43 dst_sel:DWORD dst_unused:UNUSED_PAD src0_sel:WORD_0 src1_sel:DWORD
	v_cndmask_b32_e64 v77, v78, v77, s[22:23]
	v_cndmask_b32_e64 v70, v70, v71, s[20:21]
	;; [unrolled: 1-line block ×7, first 2 shown]
	s_waitcnt lgkmcnt(0)
	; wave barrier
	ds_write_b64 v3, v[46:47]
	s_waitcnt lgkmcnt(0)
	; wave barrier
	s_waitcnt lgkmcnt(0)
	ds_read_u8 v46, v53
	ds_read_u8 v42, v50
	;; [unrolled: 1-line block ×8, first 2 shown]
	v_lshlrev_b16_e32 v50, 8, v54
	v_or_b32_sdwa v50, v52, v50 dst_sel:DWORD dst_unused:UNUSED_PAD src0_sel:BYTE_0 src1_sel:DWORD
	v_lshlrev_b16_e32 v52, 8, v62
	v_cndmask_b32_e64 v51, v76, v79, s[10:11]
	v_or_b32_sdwa v52, v58, v52 dst_sel:WORD_1 dst_unused:UNUSED_PAD src0_sel:BYTE_0 src1_sel:DWORD
	v_lshlrev_b16_e32 v51, 8, v51
	v_or_b32_sdwa v50, v50, v52 dst_sel:DWORD dst_unused:UNUSED_PAD src0_sel:WORD_0 src1_sel:DWORD
	v_lshlrev_b16_e32 v52, 8, v70
	v_or_b32_sdwa v52, v66, v52 dst_sel:DWORD dst_unused:UNUSED_PAD src0_sel:BYTE_0 src1_sel:DWORD
	v_or_b32_sdwa v51, v74, v51 dst_sel:WORD_1 dst_unused:UNUSED_PAD src0_sel:BYTE_0 src1_sel:DWORD
	s_waitcnt lgkmcnt(0)
	v_or_b32_sdwa v51, v52, v51 dst_sel:DWORD dst_unused:UNUSED_PAD src0_sel:WORD_0 src1_sel:DWORD
	; wave barrier
	ds_write_b64 v3, v[50:51]
	v_mov_b32_e32 v51, v39
	s_waitcnt lgkmcnt(0)
	; wave barrier
	s_waitcnt lgkmcnt(0)
	s_and_saveexec_b64 s[12:13], s[4:5]
	s_cbranch_execz .LBB89_70
; %bb.67:                               ;   in Loop: Header=BB89_2 Depth=1
	s_mov_b64 s[14:15], 0
	v_mov_b32_e32 v51, v39
	v_mov_b32_e32 v50, v34
.LBB89_68:                              ;   Parent Loop BB89_2 Depth=1
                                        ; =>  This Inner Loop Header: Depth=2
	v_sub_u32_e32 v52, v50, v51
	v_lshrrev_b32_e32 v53, 31, v52
	v_add_u32_e32 v52, v52, v53
	v_ashrrev_i32_e32 v52, 1, v52
	v_add_u32_e32 v52, v52, v51
	v_not_b32_e32 v54, v52
	v_add_u32_e32 v53, v8, v52
	v_add3_u32 v54, v9, v54, v21
	ds_read_u8 v53, v53
	ds_read_u8 v54, v54
	v_add_u32_e32 v55, 1, v52
	s_waitcnt lgkmcnt(0)
	v_cmp_lt_u16_e64 s[10:11], v54, v53
	s_nop 1
	v_cndmask_b32_e64 v50, v50, v52, s[10:11]
	v_cndmask_b32_e64 v51, v55, v51, s[10:11]
	v_cmp_ge_i32_e64 s[10:11], v51, v50
	s_or_b64 s[14:15], s[10:11], s[14:15]
	s_andn2_b64 exec, exec, s[14:15]
	s_cbranch_execnz .LBB89_68
; %bb.69:                               ;   in Loop: Header=BB89_2 Depth=1
	s_or_b64 exec, exec, s[14:15]
.LBB89_70:                              ;   in Loop: Header=BB89_2 Depth=1
	s_or_b64 exec, exec, s[12:13]
	v_add_u32_e32 v50, v51, v8
	v_sub_u32_e32 v51, v29, v51
	ds_read_u8 v52, v50
	ds_read_u8 v53, v51
	v_cmp_le_i32_e64 s[12:13], v21, v50
	v_cmp_gt_i32_e64 s[10:11], v22, v51
                                        ; implicit-def: $vgpr54
                                        ; implicit-def: $vgpr55
	s_waitcnt lgkmcnt(0)
	v_cmp_lt_u16_sdwa s[14:15], v53, v52 src0_sel:BYTE_0 src1_sel:BYTE_0
	s_or_b64 s[12:13], s[12:13], s[14:15]
	s_and_b64 s[10:11], s[10:11], s[12:13]
	s_xor_b64 s[12:13], s[10:11], -1
	s_and_saveexec_b64 s[14:15], s[12:13]
	s_xor_b64 s[12:13], exec, s[14:15]
	s_cbranch_execz .LBB89_72
; %bb.71:                               ;   in Loop: Header=BB89_2 Depth=1
	ds_read_u8 v55, v50 offset:1
	v_mov_b32_e32 v54, v53
.LBB89_72:                              ;   in Loop: Header=BB89_2 Depth=1
	s_andn2_saveexec_b64 s[12:13], s[12:13]
	s_cbranch_execz .LBB89_74
; %bb.73:                               ;   in Loop: Header=BB89_2 Depth=1
	ds_read_u8 v54, v51 offset:1
	s_waitcnt lgkmcnt(1)
	v_mov_b32_e32 v55, v52
.LBB89_74:                              ;   in Loop: Header=BB89_2 Depth=1
	s_or_b64 exec, exec, s[12:13]
	v_add_u32_e32 v57, 1, v50
	v_add_u32_e32 v56, 1, v51
	v_cndmask_b32_e64 v57, v57, v50, s[10:11]
	v_cndmask_b32_e64 v56, v51, v56, s[10:11]
	v_cmp_ge_i32_e64 s[14:15], v57, v21
	s_waitcnt lgkmcnt(0)
	v_cmp_lt_u16_sdwa s[16:17], v54, v55 src0_sel:BYTE_0 src1_sel:BYTE_0
	v_cmp_lt_i32_e64 s[12:13], v56, v22
	s_or_b64 s[14:15], s[14:15], s[16:17]
	s_and_b64 s[12:13], s[12:13], s[14:15]
	s_xor_b64 s[14:15], s[12:13], -1
                                        ; implicit-def: $vgpr58
	s_and_saveexec_b64 s[16:17], s[14:15]
	s_xor_b64 s[14:15], exec, s[16:17]
	s_cbranch_execz .LBB89_76
; %bb.75:                               ;   in Loop: Header=BB89_2 Depth=1
	ds_read_u8 v58, v57 offset:1
.LBB89_76:                              ;   in Loop: Header=BB89_2 Depth=1
	s_or_saveexec_b64 s[14:15], s[14:15]
	v_mov_b32_e32 v59, v54
	s_xor_b64 exec, exec, s[14:15]
	s_cbranch_execz .LBB89_78
; %bb.77:                               ;   in Loop: Header=BB89_2 Depth=1
	ds_read_u8 v59, v56 offset:1
	s_waitcnt lgkmcnt(1)
	v_mov_b32_e32 v58, v55
.LBB89_78:                              ;   in Loop: Header=BB89_2 Depth=1
	s_or_b64 exec, exec, s[14:15]
	v_add_u32_e32 v61, 1, v57
	v_add_u32_e32 v60, 1, v56
	v_cndmask_b32_e64 v61, v61, v57, s[12:13]
	v_cndmask_b32_e64 v60, v56, v60, s[12:13]
	v_cmp_ge_i32_e64 s[16:17], v61, v21
	s_waitcnt lgkmcnt(0)
	v_cmp_lt_u16_sdwa s[18:19], v59, v58 src0_sel:BYTE_0 src1_sel:BYTE_0
	v_cmp_lt_i32_e64 s[14:15], v60, v22
	s_or_b64 s[16:17], s[16:17], s[18:19]
	s_and_b64 s[14:15], s[14:15], s[16:17]
	s_xor_b64 s[16:17], s[14:15], -1
                                        ; implicit-def: $vgpr62
	s_and_saveexec_b64 s[18:19], s[16:17]
	s_xor_b64 s[16:17], exec, s[18:19]
	s_cbranch_execz .LBB89_80
; %bb.79:                               ;   in Loop: Header=BB89_2 Depth=1
	ds_read_u8 v62, v61 offset:1
.LBB89_80:                              ;   in Loop: Header=BB89_2 Depth=1
	s_or_saveexec_b64 s[16:17], s[16:17]
	v_mov_b32_e32 v63, v59
	s_xor_b64 exec, exec, s[16:17]
	s_cbranch_execz .LBB89_82
; %bb.81:                               ;   in Loop: Header=BB89_2 Depth=1
	ds_read_u8 v63, v60 offset:1
	s_waitcnt lgkmcnt(1)
	v_mov_b32_e32 v62, v58
.LBB89_82:                              ;   in Loop: Header=BB89_2 Depth=1
	s_or_b64 exec, exec, s[16:17]
	v_add_u32_e32 v65, 1, v61
	v_add_u32_e32 v64, 1, v60
	v_cndmask_b32_e64 v65, v65, v61, s[14:15]
	v_cndmask_b32_e64 v64, v60, v64, s[14:15]
	v_cmp_ge_i32_e64 s[18:19], v65, v21
	s_waitcnt lgkmcnt(0)
	v_cmp_lt_u16_sdwa s[20:21], v63, v62 src0_sel:BYTE_0 src1_sel:BYTE_0
	v_cmp_lt_i32_e64 s[16:17], v64, v22
	s_or_b64 s[18:19], s[18:19], s[20:21]
	s_and_b64 s[16:17], s[16:17], s[18:19]
	s_xor_b64 s[18:19], s[16:17], -1
                                        ; implicit-def: $vgpr66
	s_and_saveexec_b64 s[20:21], s[18:19]
	s_xor_b64 s[18:19], exec, s[20:21]
	s_cbranch_execz .LBB89_84
; %bb.83:                               ;   in Loop: Header=BB89_2 Depth=1
	ds_read_u8 v66, v65 offset:1
.LBB89_84:                              ;   in Loop: Header=BB89_2 Depth=1
	s_or_saveexec_b64 s[18:19], s[18:19]
	v_mov_b32_e32 v67, v63
	s_xor_b64 exec, exec, s[18:19]
	s_cbranch_execz .LBB89_86
; %bb.85:                               ;   in Loop: Header=BB89_2 Depth=1
	ds_read_u8 v67, v64 offset:1
	s_waitcnt lgkmcnt(1)
	v_mov_b32_e32 v66, v62
.LBB89_86:                              ;   in Loop: Header=BB89_2 Depth=1
	s_or_b64 exec, exec, s[18:19]
	v_add_u32_e32 v69, 1, v65
	v_add_u32_e32 v68, 1, v64
	v_cndmask_b32_e64 v69, v69, v65, s[16:17]
	v_cndmask_b32_e64 v68, v64, v68, s[16:17]
	v_cmp_ge_i32_e64 s[20:21], v69, v21
	s_waitcnt lgkmcnt(0)
	v_cmp_lt_u16_sdwa s[22:23], v67, v66 src0_sel:BYTE_0 src1_sel:BYTE_0
	v_cmp_lt_i32_e64 s[18:19], v68, v22
	s_or_b64 s[20:21], s[20:21], s[22:23]
	s_and_b64 s[18:19], s[18:19], s[20:21]
	s_xor_b64 s[20:21], s[18:19], -1
                                        ; implicit-def: $vgpr70
	s_and_saveexec_b64 s[22:23], s[20:21]
	s_xor_b64 s[20:21], exec, s[22:23]
	s_cbranch_execz .LBB89_88
; %bb.87:                               ;   in Loop: Header=BB89_2 Depth=1
	ds_read_u8 v70, v69 offset:1
.LBB89_88:                              ;   in Loop: Header=BB89_2 Depth=1
	s_or_saveexec_b64 s[20:21], s[20:21]
	v_mov_b32_e32 v71, v67
	s_xor_b64 exec, exec, s[20:21]
	s_cbranch_execz .LBB89_90
; %bb.89:                               ;   in Loop: Header=BB89_2 Depth=1
	ds_read_u8 v71, v68 offset:1
	s_waitcnt lgkmcnt(1)
	v_mov_b32_e32 v70, v66
.LBB89_90:                              ;   in Loop: Header=BB89_2 Depth=1
	s_or_b64 exec, exec, s[20:21]
	v_add_u32_e32 v73, 1, v69
	v_add_u32_e32 v72, 1, v68
	v_cndmask_b32_e64 v73, v73, v69, s[18:19]
	v_cndmask_b32_e64 v72, v68, v72, s[18:19]
	v_cmp_ge_i32_e64 s[22:23], v73, v21
	s_waitcnt lgkmcnt(0)
	v_cmp_lt_u16_sdwa s[24:25], v71, v70 src0_sel:BYTE_0 src1_sel:BYTE_0
	v_cmp_lt_i32_e64 s[20:21], v72, v22
	s_or_b64 s[22:23], s[22:23], s[24:25]
	s_and_b64 s[20:21], s[20:21], s[22:23]
	s_xor_b64 s[22:23], s[20:21], -1
                                        ; implicit-def: $vgpr74
	s_and_saveexec_b64 s[24:25], s[22:23]
	s_xor_b64 s[22:23], exec, s[24:25]
	s_cbranch_execz .LBB89_92
; %bb.91:                               ;   in Loop: Header=BB89_2 Depth=1
	ds_read_u8 v74, v73 offset:1
.LBB89_92:                              ;   in Loop: Header=BB89_2 Depth=1
	s_or_saveexec_b64 s[22:23], s[22:23]
	v_mov_b32_e32 v75, v71
	s_xor_b64 exec, exec, s[22:23]
	s_cbranch_execz .LBB89_94
; %bb.93:                               ;   in Loop: Header=BB89_2 Depth=1
	ds_read_u8 v75, v72 offset:1
	s_waitcnt lgkmcnt(1)
	v_mov_b32_e32 v74, v70
.LBB89_94:                              ;   in Loop: Header=BB89_2 Depth=1
	s_or_b64 exec, exec, s[22:23]
	v_add_u32_e32 v78, 1, v73
	v_add_u32_e32 v76, 1, v72
	v_cndmask_b32_e64 v78, v78, v73, s[20:21]
	v_cndmask_b32_e64 v77, v72, v76, s[20:21]
	v_cmp_ge_i32_e64 s[24:25], v78, v21
	s_waitcnt lgkmcnt(0)
	v_cmp_lt_u16_sdwa s[26:27], v75, v74 src0_sel:BYTE_0 src1_sel:BYTE_0
	v_cmp_lt_i32_e64 s[22:23], v77, v22
	s_or_b64 s[24:25], s[24:25], s[26:27]
	s_and_b64 s[22:23], s[22:23], s[24:25]
	s_xor_b64 s[24:25], s[22:23], -1
                                        ; implicit-def: $vgpr76
	s_and_saveexec_b64 s[26:27], s[24:25]
	s_xor_b64 s[24:25], exec, s[26:27]
	s_cbranch_execz .LBB89_96
; %bb.95:                               ;   in Loop: Header=BB89_2 Depth=1
	ds_read_u8 v76, v78 offset:1
.LBB89_96:                              ;   in Loop: Header=BB89_2 Depth=1
	s_or_saveexec_b64 s[24:25], s[24:25]
	v_mov_b32_e32 v79, v75
	s_xor_b64 exec, exec, s[24:25]
	s_cbranch_execz .LBB89_98
; %bb.97:                               ;   in Loop: Header=BB89_2 Depth=1
	ds_read_u8 v79, v77 offset:1
	s_waitcnt lgkmcnt(1)
	v_mov_b32_e32 v76, v74
.LBB89_98:                              ;   in Loop: Header=BB89_2 Depth=1
	s_or_b64 exec, exec, s[24:25]
	v_add_u32_e32 v80, 1, v78
	v_cndmask_b32_e64 v74, v74, v75, s[22:23]
	v_add_u32_e32 v75, 1, v77
	v_cndmask_b32_e64 v80, v80, v78, s[22:23]
	v_cndmask_b32_e64 v75, v77, v75, s[22:23]
	;; [unrolled: 1-line block ×6, first 2 shown]
	v_cmp_ge_i32_e64 s[12:13], v80, v21
	s_waitcnt lgkmcnt(0)
	v_cmp_lt_u16_sdwa s[14:15], v79, v76 src0_sel:BYTE_0 src1_sel:BYTE_0
	v_lshlrev_b16_e32 v44, 8, v44
	v_cndmask_b32_e64 v52, v52, v53, s[10:11]
	v_cndmask_b32_e64 v50, v50, v51, s[10:11]
	v_cmp_lt_i32_e64 s[10:11], v75, v22
	s_or_b64 s[12:13], s[12:13], s[14:15]
	v_lshlrev_b16_e32 v49, 8, v49
	v_lshlrev_b16_e32 v46, 8, v46
	v_or_b32_sdwa v42, v42, v44 dst_sel:DWORD dst_unused:UNUSED_PAD src0_sel:BYTE_0 src1_sel:DWORD
	v_lshlrev_b16_e32 v44, 8, v45
	s_and_b64 s[10:11], s[10:11], s[12:13]
	v_or_b32_sdwa v47, v47, v49 dst_sel:DWORD dst_unused:UNUSED_PAD src0_sel:BYTE_0 src1_sel:DWORD
	v_or_b32_sdwa v46, v48, v46 dst_sel:WORD_1 dst_unused:UNUSED_PAD src0_sel:BYTE_0 src1_sel:DWORD
	v_or_b32_sdwa v43, v43, v44 dst_sel:WORD_1 dst_unused:UNUSED_PAD src0_sel:BYTE_0 src1_sel:DWORD
	v_cndmask_b32_e64 v53, v80, v75, s[10:11]
	v_or_b32_sdwa v47, v47, v46 dst_sel:DWORD dst_unused:UNUSED_PAD src0_sel:WORD_0 src1_sel:DWORD
	v_or_b32_sdwa v46, v42, v43 dst_sel:DWORD dst_unused:UNUSED_PAD src0_sel:WORD_0 src1_sel:DWORD
	v_cndmask_b32_e64 v77, v78, v77, s[22:23]
	v_cndmask_b32_e64 v70, v70, v71, s[20:21]
	;; [unrolled: 1-line block ×7, first 2 shown]
	s_waitcnt lgkmcnt(0)
	; wave barrier
	ds_write_b64 v3, v[46:47]
	s_waitcnt lgkmcnt(0)
	; wave barrier
	s_waitcnt lgkmcnt(0)
	ds_read_u8 v46, v53
	ds_read_u8 v42, v50
	;; [unrolled: 1-line block ×8, first 2 shown]
	v_lshlrev_b16_e32 v50, 8, v54
	v_or_b32_sdwa v50, v52, v50 dst_sel:DWORD dst_unused:UNUSED_PAD src0_sel:BYTE_0 src1_sel:DWORD
	v_lshlrev_b16_e32 v52, 8, v62
	v_cndmask_b32_e64 v51, v76, v79, s[10:11]
	v_or_b32_sdwa v52, v58, v52 dst_sel:WORD_1 dst_unused:UNUSED_PAD src0_sel:BYTE_0 src1_sel:DWORD
	v_lshlrev_b16_e32 v51, 8, v51
	v_or_b32_sdwa v50, v50, v52 dst_sel:DWORD dst_unused:UNUSED_PAD src0_sel:WORD_0 src1_sel:DWORD
	v_lshlrev_b16_e32 v52, 8, v70
	v_or_b32_sdwa v52, v66, v52 dst_sel:DWORD dst_unused:UNUSED_PAD src0_sel:BYTE_0 src1_sel:DWORD
	v_or_b32_sdwa v51, v74, v51 dst_sel:WORD_1 dst_unused:UNUSED_PAD src0_sel:BYTE_0 src1_sel:DWORD
	s_waitcnt lgkmcnt(0)
	v_or_b32_sdwa v51, v52, v51 dst_sel:DWORD dst_unused:UNUSED_PAD src0_sel:WORD_0 src1_sel:DWORD
	; wave barrier
	ds_write_b64 v3, v[50:51]
	v_mov_b32_e32 v51, v40
	s_waitcnt lgkmcnt(0)
	; wave barrier
	s_waitcnt lgkmcnt(0)
	s_and_saveexec_b64 s[12:13], s[6:7]
	s_cbranch_execz .LBB89_102
; %bb.99:                               ;   in Loop: Header=BB89_2 Depth=1
	s_mov_b64 s[14:15], 0
	v_mov_b32_e32 v51, v40
	v_mov_b32_e32 v50, v35
.LBB89_100:                             ;   Parent Loop BB89_2 Depth=1
                                        ; =>  This Inner Loop Header: Depth=2
	v_sub_u32_e32 v52, v50, v51
	v_lshrrev_b32_e32 v53, 31, v52
	v_add_u32_e32 v52, v52, v53
	v_ashrrev_i32_e32 v52, 1, v52
	v_add_u32_e32 v52, v52, v51
	v_not_b32_e32 v54, v52
	v_add_u32_e32 v53, v10, v52
	v_add3_u32 v54, v11, v54, v23
	ds_read_u8 v53, v53
	ds_read_u8 v54, v54
	v_add_u32_e32 v55, 1, v52
	s_waitcnt lgkmcnt(0)
	v_cmp_lt_u16_e64 s[10:11], v54, v53
	s_nop 1
	v_cndmask_b32_e64 v50, v50, v52, s[10:11]
	v_cndmask_b32_e64 v51, v55, v51, s[10:11]
	v_cmp_ge_i32_e64 s[10:11], v51, v50
	s_or_b64 s[14:15], s[10:11], s[14:15]
	s_andn2_b64 exec, exec, s[14:15]
	s_cbranch_execnz .LBB89_100
; %bb.101:                              ;   in Loop: Header=BB89_2 Depth=1
	s_or_b64 exec, exec, s[14:15]
.LBB89_102:                             ;   in Loop: Header=BB89_2 Depth=1
	s_or_b64 exec, exec, s[12:13]
	v_add_u32_e32 v50, v51, v10
	v_sub_u32_e32 v51, v30, v51
	ds_read_u8 v52, v50
	ds_read_u8 v53, v51
	v_cmp_le_i32_e64 s[12:13], v23, v50
	v_cmp_gt_i32_e64 s[10:11], v24, v51
                                        ; implicit-def: $vgpr54
                                        ; implicit-def: $vgpr55
	s_waitcnt lgkmcnt(0)
	v_cmp_lt_u16_sdwa s[14:15], v53, v52 src0_sel:BYTE_0 src1_sel:BYTE_0
	s_or_b64 s[12:13], s[12:13], s[14:15]
	s_and_b64 s[10:11], s[10:11], s[12:13]
	s_xor_b64 s[12:13], s[10:11], -1
	s_and_saveexec_b64 s[14:15], s[12:13]
	s_xor_b64 s[12:13], exec, s[14:15]
	s_cbranch_execz .LBB89_104
; %bb.103:                              ;   in Loop: Header=BB89_2 Depth=1
	ds_read_u8 v55, v50 offset:1
	v_mov_b32_e32 v54, v53
.LBB89_104:                             ;   in Loop: Header=BB89_2 Depth=1
	s_andn2_saveexec_b64 s[12:13], s[12:13]
	s_cbranch_execz .LBB89_106
; %bb.105:                              ;   in Loop: Header=BB89_2 Depth=1
	ds_read_u8 v54, v51 offset:1
	s_waitcnt lgkmcnt(1)
	v_mov_b32_e32 v55, v52
.LBB89_106:                             ;   in Loop: Header=BB89_2 Depth=1
	s_or_b64 exec, exec, s[12:13]
	v_add_u32_e32 v57, 1, v50
	v_add_u32_e32 v56, 1, v51
	v_cndmask_b32_e64 v57, v57, v50, s[10:11]
	v_cndmask_b32_e64 v56, v51, v56, s[10:11]
	v_cmp_ge_i32_e64 s[14:15], v57, v23
	s_waitcnt lgkmcnt(0)
	v_cmp_lt_u16_sdwa s[16:17], v54, v55 src0_sel:BYTE_0 src1_sel:BYTE_0
	v_cmp_lt_i32_e64 s[12:13], v56, v24
	s_or_b64 s[14:15], s[14:15], s[16:17]
	s_and_b64 s[12:13], s[12:13], s[14:15]
	s_xor_b64 s[14:15], s[12:13], -1
                                        ; implicit-def: $vgpr58
	s_and_saveexec_b64 s[16:17], s[14:15]
	s_xor_b64 s[14:15], exec, s[16:17]
	s_cbranch_execz .LBB89_108
; %bb.107:                              ;   in Loop: Header=BB89_2 Depth=1
	ds_read_u8 v58, v57 offset:1
.LBB89_108:                             ;   in Loop: Header=BB89_2 Depth=1
	s_or_saveexec_b64 s[14:15], s[14:15]
	v_mov_b32_e32 v59, v54
	s_xor_b64 exec, exec, s[14:15]
	s_cbranch_execz .LBB89_110
; %bb.109:                              ;   in Loop: Header=BB89_2 Depth=1
	ds_read_u8 v59, v56 offset:1
	s_waitcnt lgkmcnt(1)
	v_mov_b32_e32 v58, v55
.LBB89_110:                             ;   in Loop: Header=BB89_2 Depth=1
	s_or_b64 exec, exec, s[14:15]
	v_add_u32_e32 v61, 1, v57
	v_add_u32_e32 v60, 1, v56
	v_cndmask_b32_e64 v61, v61, v57, s[12:13]
	v_cndmask_b32_e64 v60, v56, v60, s[12:13]
	v_cmp_ge_i32_e64 s[16:17], v61, v23
	s_waitcnt lgkmcnt(0)
	v_cmp_lt_u16_sdwa s[18:19], v59, v58 src0_sel:BYTE_0 src1_sel:BYTE_0
	v_cmp_lt_i32_e64 s[14:15], v60, v24
	s_or_b64 s[16:17], s[16:17], s[18:19]
	s_and_b64 s[14:15], s[14:15], s[16:17]
	s_xor_b64 s[16:17], s[14:15], -1
                                        ; implicit-def: $vgpr62
	s_and_saveexec_b64 s[18:19], s[16:17]
	s_xor_b64 s[16:17], exec, s[18:19]
	s_cbranch_execz .LBB89_112
; %bb.111:                              ;   in Loop: Header=BB89_2 Depth=1
	ds_read_u8 v62, v61 offset:1
.LBB89_112:                             ;   in Loop: Header=BB89_2 Depth=1
	s_or_saveexec_b64 s[16:17], s[16:17]
	v_mov_b32_e32 v63, v59
	s_xor_b64 exec, exec, s[16:17]
	s_cbranch_execz .LBB89_114
; %bb.113:                              ;   in Loop: Header=BB89_2 Depth=1
	ds_read_u8 v63, v60 offset:1
	s_waitcnt lgkmcnt(1)
	v_mov_b32_e32 v62, v58
.LBB89_114:                             ;   in Loop: Header=BB89_2 Depth=1
	s_or_b64 exec, exec, s[16:17]
	v_add_u32_e32 v65, 1, v61
	v_add_u32_e32 v64, 1, v60
	v_cndmask_b32_e64 v65, v65, v61, s[14:15]
	v_cndmask_b32_e64 v64, v60, v64, s[14:15]
	v_cmp_ge_i32_e64 s[18:19], v65, v23
	s_waitcnt lgkmcnt(0)
	v_cmp_lt_u16_sdwa s[20:21], v63, v62 src0_sel:BYTE_0 src1_sel:BYTE_0
	v_cmp_lt_i32_e64 s[16:17], v64, v24
	s_or_b64 s[18:19], s[18:19], s[20:21]
	s_and_b64 s[16:17], s[16:17], s[18:19]
	s_xor_b64 s[18:19], s[16:17], -1
                                        ; implicit-def: $vgpr66
	s_and_saveexec_b64 s[20:21], s[18:19]
	s_xor_b64 s[18:19], exec, s[20:21]
	s_cbranch_execz .LBB89_116
; %bb.115:                              ;   in Loop: Header=BB89_2 Depth=1
	ds_read_u8 v66, v65 offset:1
.LBB89_116:                             ;   in Loop: Header=BB89_2 Depth=1
	s_or_saveexec_b64 s[18:19], s[18:19]
	v_mov_b32_e32 v67, v63
	s_xor_b64 exec, exec, s[18:19]
	s_cbranch_execz .LBB89_118
; %bb.117:                              ;   in Loop: Header=BB89_2 Depth=1
	ds_read_u8 v67, v64 offset:1
	s_waitcnt lgkmcnt(1)
	v_mov_b32_e32 v66, v62
.LBB89_118:                             ;   in Loop: Header=BB89_2 Depth=1
	s_or_b64 exec, exec, s[18:19]
	v_add_u32_e32 v69, 1, v65
	v_add_u32_e32 v68, 1, v64
	v_cndmask_b32_e64 v69, v69, v65, s[16:17]
	v_cndmask_b32_e64 v68, v64, v68, s[16:17]
	v_cmp_ge_i32_e64 s[20:21], v69, v23
	s_waitcnt lgkmcnt(0)
	v_cmp_lt_u16_sdwa s[22:23], v67, v66 src0_sel:BYTE_0 src1_sel:BYTE_0
	v_cmp_lt_i32_e64 s[18:19], v68, v24
	s_or_b64 s[20:21], s[20:21], s[22:23]
	s_and_b64 s[18:19], s[18:19], s[20:21]
	s_xor_b64 s[20:21], s[18:19], -1
                                        ; implicit-def: $vgpr70
	s_and_saveexec_b64 s[22:23], s[20:21]
	s_xor_b64 s[20:21], exec, s[22:23]
	s_cbranch_execz .LBB89_120
; %bb.119:                              ;   in Loop: Header=BB89_2 Depth=1
	ds_read_u8 v70, v69 offset:1
.LBB89_120:                             ;   in Loop: Header=BB89_2 Depth=1
	s_or_saveexec_b64 s[20:21], s[20:21]
	v_mov_b32_e32 v71, v67
	s_xor_b64 exec, exec, s[20:21]
	s_cbranch_execz .LBB89_122
; %bb.121:                              ;   in Loop: Header=BB89_2 Depth=1
	ds_read_u8 v71, v68 offset:1
	s_waitcnt lgkmcnt(1)
	v_mov_b32_e32 v70, v66
.LBB89_122:                             ;   in Loop: Header=BB89_2 Depth=1
	s_or_b64 exec, exec, s[20:21]
	v_add_u32_e32 v73, 1, v69
	v_add_u32_e32 v72, 1, v68
	v_cndmask_b32_e64 v73, v73, v69, s[18:19]
	v_cndmask_b32_e64 v72, v68, v72, s[18:19]
	v_cmp_ge_i32_e64 s[22:23], v73, v23
	s_waitcnt lgkmcnt(0)
	v_cmp_lt_u16_sdwa s[24:25], v71, v70 src0_sel:BYTE_0 src1_sel:BYTE_0
	v_cmp_lt_i32_e64 s[20:21], v72, v24
	s_or_b64 s[22:23], s[22:23], s[24:25]
	s_and_b64 s[20:21], s[20:21], s[22:23]
	s_xor_b64 s[22:23], s[20:21], -1
                                        ; implicit-def: $vgpr74
	s_and_saveexec_b64 s[24:25], s[22:23]
	s_xor_b64 s[22:23], exec, s[24:25]
	s_cbranch_execz .LBB89_124
; %bb.123:                              ;   in Loop: Header=BB89_2 Depth=1
	ds_read_u8 v74, v73 offset:1
.LBB89_124:                             ;   in Loop: Header=BB89_2 Depth=1
	s_or_saveexec_b64 s[22:23], s[22:23]
	v_mov_b32_e32 v75, v71
	s_xor_b64 exec, exec, s[22:23]
	s_cbranch_execz .LBB89_126
; %bb.125:                              ;   in Loop: Header=BB89_2 Depth=1
	ds_read_u8 v75, v72 offset:1
	s_waitcnt lgkmcnt(1)
	v_mov_b32_e32 v74, v70
.LBB89_126:                             ;   in Loop: Header=BB89_2 Depth=1
	s_or_b64 exec, exec, s[22:23]
	v_add_u32_e32 v78, 1, v73
	v_add_u32_e32 v76, 1, v72
	v_cndmask_b32_e64 v78, v78, v73, s[20:21]
	v_cndmask_b32_e64 v77, v72, v76, s[20:21]
	v_cmp_ge_i32_e64 s[24:25], v78, v23
	s_waitcnt lgkmcnt(0)
	v_cmp_lt_u16_sdwa s[26:27], v75, v74 src0_sel:BYTE_0 src1_sel:BYTE_0
	v_cmp_lt_i32_e64 s[22:23], v77, v24
	s_or_b64 s[24:25], s[24:25], s[26:27]
	s_and_b64 s[22:23], s[22:23], s[24:25]
	s_xor_b64 s[24:25], s[22:23], -1
                                        ; implicit-def: $vgpr76
	s_and_saveexec_b64 s[26:27], s[24:25]
	s_xor_b64 s[24:25], exec, s[26:27]
	s_cbranch_execz .LBB89_128
; %bb.127:                              ;   in Loop: Header=BB89_2 Depth=1
	ds_read_u8 v76, v78 offset:1
.LBB89_128:                             ;   in Loop: Header=BB89_2 Depth=1
	s_or_saveexec_b64 s[24:25], s[24:25]
	v_mov_b32_e32 v79, v75
	s_xor_b64 exec, exec, s[24:25]
	s_cbranch_execz .LBB89_130
; %bb.129:                              ;   in Loop: Header=BB89_2 Depth=1
	ds_read_u8 v79, v77 offset:1
	s_waitcnt lgkmcnt(1)
	v_mov_b32_e32 v76, v74
.LBB89_130:                             ;   in Loop: Header=BB89_2 Depth=1
	s_or_b64 exec, exec, s[24:25]
	v_add_u32_e32 v80, 1, v78
	v_cndmask_b32_e64 v74, v74, v75, s[22:23]
	v_add_u32_e32 v75, 1, v77
	v_cndmask_b32_e64 v80, v80, v78, s[22:23]
	v_cndmask_b32_e64 v75, v77, v75, s[22:23]
	;; [unrolled: 1-line block ×6, first 2 shown]
	v_cmp_ge_i32_e64 s[12:13], v80, v23
	s_waitcnt lgkmcnt(0)
	v_cmp_lt_u16_sdwa s[14:15], v79, v76 src0_sel:BYTE_0 src1_sel:BYTE_0
	v_lshlrev_b16_e32 v44, 8, v44
	v_cndmask_b32_e64 v52, v52, v53, s[10:11]
	v_cndmask_b32_e64 v50, v50, v51, s[10:11]
	v_cmp_lt_i32_e64 s[10:11], v75, v24
	s_or_b64 s[12:13], s[12:13], s[14:15]
	v_lshlrev_b16_e32 v49, 8, v49
	v_lshlrev_b16_e32 v46, 8, v46
	v_or_b32_sdwa v42, v42, v44 dst_sel:DWORD dst_unused:UNUSED_PAD src0_sel:BYTE_0 src1_sel:DWORD
	v_lshlrev_b16_e32 v44, 8, v45
	s_and_b64 s[10:11], s[10:11], s[12:13]
	v_or_b32_sdwa v47, v47, v49 dst_sel:DWORD dst_unused:UNUSED_PAD src0_sel:BYTE_0 src1_sel:DWORD
	v_or_b32_sdwa v46, v48, v46 dst_sel:WORD_1 dst_unused:UNUSED_PAD src0_sel:BYTE_0 src1_sel:DWORD
	v_or_b32_sdwa v43, v43, v44 dst_sel:WORD_1 dst_unused:UNUSED_PAD src0_sel:BYTE_0 src1_sel:DWORD
	v_cndmask_b32_e64 v53, v80, v75, s[10:11]
	v_or_b32_sdwa v47, v47, v46 dst_sel:DWORD dst_unused:UNUSED_PAD src0_sel:WORD_0 src1_sel:DWORD
	v_or_b32_sdwa v46, v42, v43 dst_sel:DWORD dst_unused:UNUSED_PAD src0_sel:WORD_0 src1_sel:DWORD
	v_cndmask_b32_e64 v77, v78, v77, s[22:23]
	v_cndmask_b32_e64 v70, v70, v71, s[20:21]
	;; [unrolled: 1-line block ×7, first 2 shown]
	s_waitcnt lgkmcnt(0)
	; wave barrier
	ds_write_b64 v3, v[46:47]
	s_waitcnt lgkmcnt(0)
	; wave barrier
	s_waitcnt lgkmcnt(0)
	ds_read_u8 v46, v53
	ds_read_u8 v42, v50
	;; [unrolled: 1-line block ×8, first 2 shown]
	v_lshlrev_b16_e32 v50, 8, v54
	v_or_b32_sdwa v50, v52, v50 dst_sel:DWORD dst_unused:UNUSED_PAD src0_sel:BYTE_0 src1_sel:DWORD
	v_lshlrev_b16_e32 v52, 8, v62
	v_cndmask_b32_e64 v51, v76, v79, s[10:11]
	v_or_b32_sdwa v52, v58, v52 dst_sel:WORD_1 dst_unused:UNUSED_PAD src0_sel:BYTE_0 src1_sel:DWORD
	v_lshlrev_b16_e32 v51, 8, v51
	v_or_b32_sdwa v50, v50, v52 dst_sel:DWORD dst_unused:UNUSED_PAD src0_sel:WORD_0 src1_sel:DWORD
	v_lshlrev_b16_e32 v52, 8, v70
	v_or_b32_sdwa v52, v66, v52 dst_sel:DWORD dst_unused:UNUSED_PAD src0_sel:BYTE_0 src1_sel:DWORD
	v_or_b32_sdwa v51, v74, v51 dst_sel:WORD_1 dst_unused:UNUSED_PAD src0_sel:BYTE_0 src1_sel:DWORD
	s_waitcnt lgkmcnt(0)
	v_or_b32_sdwa v51, v52, v51 dst_sel:DWORD dst_unused:UNUSED_PAD src0_sel:WORD_0 src1_sel:DWORD
	; wave barrier
	ds_write_b64 v3, v[50:51]
	v_mov_b32_e32 v51, v41
	s_waitcnt lgkmcnt(0)
	; wave barrier
	s_waitcnt lgkmcnt(0)
	s_and_saveexec_b64 s[12:13], s[8:9]
	s_cbranch_execz .LBB89_134
; %bb.131:                              ;   in Loop: Header=BB89_2 Depth=1
	s_mov_b64 s[14:15], 0
	v_mov_b32_e32 v51, v41
	v_mov_b32_e32 v50, v36
.LBB89_132:                             ;   Parent Loop BB89_2 Depth=1
                                        ; =>  This Inner Loop Header: Depth=2
	v_sub_u32_e32 v52, v50, v51
	v_lshrrev_b32_e32 v53, 31, v52
	v_add_u32_e32 v52, v52, v53
	v_ashrrev_i32_e32 v52, 1, v52
	v_add_u32_e32 v52, v52, v51
	v_not_b32_e32 v54, v52
	v_add_u32_e32 v53, v12, v52
	v_add3_u32 v54, v13, v54, v25
	ds_read_u8 v53, v53
	ds_read_u8 v54, v54
	v_add_u32_e32 v55, 1, v52
	s_waitcnt lgkmcnt(0)
	v_cmp_lt_u16_e64 s[10:11], v54, v53
	s_nop 1
	v_cndmask_b32_e64 v50, v50, v52, s[10:11]
	v_cndmask_b32_e64 v51, v55, v51, s[10:11]
	v_cmp_ge_i32_e64 s[10:11], v51, v50
	s_or_b64 s[14:15], s[10:11], s[14:15]
	s_andn2_b64 exec, exec, s[14:15]
	s_cbranch_execnz .LBB89_132
; %bb.133:                              ;   in Loop: Header=BB89_2 Depth=1
	s_or_b64 exec, exec, s[14:15]
.LBB89_134:                             ;   in Loop: Header=BB89_2 Depth=1
	s_or_b64 exec, exec, s[12:13]
	v_add_u32_e32 v50, v51, v12
	v_sub_u32_e32 v51, v31, v51
	ds_read_u8 v52, v50
	ds_read_u8 v53, v51
	v_cmp_le_i32_e64 s[12:13], v25, v50
	v_cmp_gt_i32_e64 s[10:11], v26, v51
                                        ; implicit-def: $vgpr54
                                        ; implicit-def: $vgpr55
	s_waitcnt lgkmcnt(0)
	v_cmp_lt_u16_sdwa s[14:15], v53, v52 src0_sel:BYTE_0 src1_sel:BYTE_0
	s_or_b64 s[12:13], s[12:13], s[14:15]
	s_and_b64 s[10:11], s[10:11], s[12:13]
	s_xor_b64 s[12:13], s[10:11], -1
	s_and_saveexec_b64 s[14:15], s[12:13]
	s_xor_b64 s[12:13], exec, s[14:15]
	s_cbranch_execz .LBB89_136
; %bb.135:                              ;   in Loop: Header=BB89_2 Depth=1
	ds_read_u8 v55, v50 offset:1
	v_mov_b32_e32 v54, v53
.LBB89_136:                             ;   in Loop: Header=BB89_2 Depth=1
	s_andn2_saveexec_b64 s[12:13], s[12:13]
	s_cbranch_execz .LBB89_138
; %bb.137:                              ;   in Loop: Header=BB89_2 Depth=1
	ds_read_u8 v54, v51 offset:1
	s_waitcnt lgkmcnt(1)
	v_mov_b32_e32 v55, v52
.LBB89_138:                             ;   in Loop: Header=BB89_2 Depth=1
	s_or_b64 exec, exec, s[12:13]
	v_add_u32_e32 v57, 1, v50
	v_add_u32_e32 v56, 1, v51
	v_cndmask_b32_e64 v57, v57, v50, s[10:11]
	v_cndmask_b32_e64 v56, v51, v56, s[10:11]
	v_cmp_ge_i32_e64 s[14:15], v57, v25
	s_waitcnt lgkmcnt(0)
	v_cmp_lt_u16_sdwa s[16:17], v54, v55 src0_sel:BYTE_0 src1_sel:BYTE_0
	v_cmp_lt_i32_e64 s[12:13], v56, v26
	s_or_b64 s[14:15], s[14:15], s[16:17]
	s_and_b64 s[12:13], s[12:13], s[14:15]
	s_xor_b64 s[14:15], s[12:13], -1
                                        ; implicit-def: $vgpr58
	s_and_saveexec_b64 s[16:17], s[14:15]
	s_xor_b64 s[14:15], exec, s[16:17]
	s_cbranch_execz .LBB89_140
; %bb.139:                              ;   in Loop: Header=BB89_2 Depth=1
	ds_read_u8 v58, v57 offset:1
.LBB89_140:                             ;   in Loop: Header=BB89_2 Depth=1
	s_or_saveexec_b64 s[14:15], s[14:15]
	v_mov_b32_e32 v59, v54
	s_xor_b64 exec, exec, s[14:15]
	s_cbranch_execz .LBB89_142
; %bb.141:                              ;   in Loop: Header=BB89_2 Depth=1
	ds_read_u8 v59, v56 offset:1
	s_waitcnt lgkmcnt(1)
	v_mov_b32_e32 v58, v55
.LBB89_142:                             ;   in Loop: Header=BB89_2 Depth=1
	s_or_b64 exec, exec, s[14:15]
	v_add_u32_e32 v61, 1, v57
	v_add_u32_e32 v60, 1, v56
	v_cndmask_b32_e64 v61, v61, v57, s[12:13]
	v_cndmask_b32_e64 v60, v56, v60, s[12:13]
	v_cmp_ge_i32_e64 s[16:17], v61, v25
	s_waitcnt lgkmcnt(0)
	v_cmp_lt_u16_sdwa s[18:19], v59, v58 src0_sel:BYTE_0 src1_sel:BYTE_0
	v_cmp_lt_i32_e64 s[14:15], v60, v26
	s_or_b64 s[16:17], s[16:17], s[18:19]
	s_and_b64 s[14:15], s[14:15], s[16:17]
	s_xor_b64 s[16:17], s[14:15], -1
                                        ; implicit-def: $vgpr62
	s_and_saveexec_b64 s[18:19], s[16:17]
	s_xor_b64 s[16:17], exec, s[18:19]
	s_cbranch_execz .LBB89_144
; %bb.143:                              ;   in Loop: Header=BB89_2 Depth=1
	ds_read_u8 v62, v61 offset:1
.LBB89_144:                             ;   in Loop: Header=BB89_2 Depth=1
	s_or_saveexec_b64 s[16:17], s[16:17]
	v_mov_b32_e32 v63, v59
	s_xor_b64 exec, exec, s[16:17]
	s_cbranch_execz .LBB89_146
; %bb.145:                              ;   in Loop: Header=BB89_2 Depth=1
	ds_read_u8 v63, v60 offset:1
	s_waitcnt lgkmcnt(1)
	v_mov_b32_e32 v62, v58
.LBB89_146:                             ;   in Loop: Header=BB89_2 Depth=1
	s_or_b64 exec, exec, s[16:17]
	v_add_u32_e32 v65, 1, v61
	v_add_u32_e32 v64, 1, v60
	v_cndmask_b32_e64 v65, v65, v61, s[14:15]
	v_cndmask_b32_e64 v64, v60, v64, s[14:15]
	v_cmp_ge_i32_e64 s[18:19], v65, v25
	s_waitcnt lgkmcnt(0)
	v_cmp_lt_u16_sdwa s[20:21], v63, v62 src0_sel:BYTE_0 src1_sel:BYTE_0
	v_cmp_lt_i32_e64 s[16:17], v64, v26
	s_or_b64 s[18:19], s[18:19], s[20:21]
	s_and_b64 s[16:17], s[16:17], s[18:19]
	s_xor_b64 s[18:19], s[16:17], -1
                                        ; implicit-def: $vgpr66
	s_and_saveexec_b64 s[20:21], s[18:19]
	s_xor_b64 s[18:19], exec, s[20:21]
	s_cbranch_execz .LBB89_148
; %bb.147:                              ;   in Loop: Header=BB89_2 Depth=1
	ds_read_u8 v66, v65 offset:1
.LBB89_148:                             ;   in Loop: Header=BB89_2 Depth=1
	s_or_saveexec_b64 s[18:19], s[18:19]
	v_mov_b32_e32 v67, v63
	s_xor_b64 exec, exec, s[18:19]
	s_cbranch_execz .LBB89_150
; %bb.149:                              ;   in Loop: Header=BB89_2 Depth=1
	ds_read_u8 v67, v64 offset:1
	s_waitcnt lgkmcnt(1)
	v_mov_b32_e32 v66, v62
.LBB89_150:                             ;   in Loop: Header=BB89_2 Depth=1
	s_or_b64 exec, exec, s[18:19]
	v_add_u32_e32 v69, 1, v65
	v_add_u32_e32 v68, 1, v64
	v_cndmask_b32_e64 v69, v69, v65, s[16:17]
	v_cndmask_b32_e64 v68, v64, v68, s[16:17]
	v_cmp_ge_i32_e64 s[20:21], v69, v25
	s_waitcnt lgkmcnt(0)
	v_cmp_lt_u16_sdwa s[22:23], v67, v66 src0_sel:BYTE_0 src1_sel:BYTE_0
	v_cmp_lt_i32_e64 s[18:19], v68, v26
	s_or_b64 s[20:21], s[20:21], s[22:23]
	s_and_b64 s[18:19], s[18:19], s[20:21]
	s_xor_b64 s[20:21], s[18:19], -1
                                        ; implicit-def: $vgpr70
	s_and_saveexec_b64 s[22:23], s[20:21]
	s_xor_b64 s[20:21], exec, s[22:23]
	s_cbranch_execz .LBB89_152
; %bb.151:                              ;   in Loop: Header=BB89_2 Depth=1
	ds_read_u8 v70, v69 offset:1
.LBB89_152:                             ;   in Loop: Header=BB89_2 Depth=1
	s_or_saveexec_b64 s[20:21], s[20:21]
	v_mov_b32_e32 v71, v67
	s_xor_b64 exec, exec, s[20:21]
	s_cbranch_execz .LBB89_154
; %bb.153:                              ;   in Loop: Header=BB89_2 Depth=1
	ds_read_u8 v71, v68 offset:1
	s_waitcnt lgkmcnt(1)
	v_mov_b32_e32 v70, v66
.LBB89_154:                             ;   in Loop: Header=BB89_2 Depth=1
	s_or_b64 exec, exec, s[20:21]
	v_add_u32_e32 v73, 1, v69
	v_add_u32_e32 v72, 1, v68
	v_cndmask_b32_e64 v73, v73, v69, s[18:19]
	v_cndmask_b32_e64 v72, v68, v72, s[18:19]
	v_cmp_ge_i32_e64 s[22:23], v73, v25
	s_waitcnt lgkmcnt(0)
	v_cmp_lt_u16_sdwa s[24:25], v71, v70 src0_sel:BYTE_0 src1_sel:BYTE_0
	v_cmp_lt_i32_e64 s[20:21], v72, v26
	s_or_b64 s[22:23], s[22:23], s[24:25]
	s_and_b64 s[20:21], s[20:21], s[22:23]
	s_xor_b64 s[22:23], s[20:21], -1
                                        ; implicit-def: $vgpr74
	s_and_saveexec_b64 s[24:25], s[22:23]
	s_xor_b64 s[22:23], exec, s[24:25]
	s_cbranch_execz .LBB89_156
; %bb.155:                              ;   in Loop: Header=BB89_2 Depth=1
	ds_read_u8 v74, v73 offset:1
.LBB89_156:                             ;   in Loop: Header=BB89_2 Depth=1
	s_or_saveexec_b64 s[22:23], s[22:23]
	v_mov_b32_e32 v75, v71
	s_xor_b64 exec, exec, s[22:23]
	s_cbranch_execz .LBB89_158
; %bb.157:                              ;   in Loop: Header=BB89_2 Depth=1
	ds_read_u8 v75, v72 offset:1
	s_waitcnt lgkmcnt(1)
	v_mov_b32_e32 v74, v70
.LBB89_158:                             ;   in Loop: Header=BB89_2 Depth=1
	s_or_b64 exec, exec, s[22:23]
	v_add_u32_e32 v78, 1, v73
	v_add_u32_e32 v76, 1, v72
	v_cndmask_b32_e64 v78, v78, v73, s[20:21]
	v_cndmask_b32_e64 v77, v72, v76, s[20:21]
	v_cmp_ge_i32_e64 s[24:25], v78, v25
	s_waitcnt lgkmcnt(0)
	v_cmp_lt_u16_sdwa s[26:27], v75, v74 src0_sel:BYTE_0 src1_sel:BYTE_0
	v_cmp_lt_i32_e64 s[22:23], v77, v26
	s_or_b64 s[24:25], s[24:25], s[26:27]
	s_and_b64 s[22:23], s[22:23], s[24:25]
	s_xor_b64 s[24:25], s[22:23], -1
                                        ; implicit-def: $vgpr76
	s_and_saveexec_b64 s[26:27], s[24:25]
	s_xor_b64 s[24:25], exec, s[26:27]
	s_cbranch_execz .LBB89_160
; %bb.159:                              ;   in Loop: Header=BB89_2 Depth=1
	ds_read_u8 v76, v78 offset:1
.LBB89_160:                             ;   in Loop: Header=BB89_2 Depth=1
	s_or_saveexec_b64 s[24:25], s[24:25]
	v_mov_b32_e32 v79, v75
	s_xor_b64 exec, exec, s[24:25]
	s_cbranch_execz .LBB89_162
; %bb.161:                              ;   in Loop: Header=BB89_2 Depth=1
	ds_read_u8 v79, v77 offset:1
	s_waitcnt lgkmcnt(1)
	v_mov_b32_e32 v76, v74
.LBB89_162:                             ;   in Loop: Header=BB89_2 Depth=1
	s_or_b64 exec, exec, s[24:25]
	v_add_u32_e32 v80, 1, v78
	v_cndmask_b32_e64 v74, v74, v75, s[22:23]
	v_add_u32_e32 v75, 1, v77
	v_cndmask_b32_e64 v80, v80, v78, s[22:23]
	v_cndmask_b32_e64 v75, v77, v75, s[22:23]
	;; [unrolled: 1-line block ×6, first 2 shown]
	v_cmp_ge_i32_e64 s[12:13], v80, v25
	s_waitcnt lgkmcnt(0)
	v_cmp_lt_u16_sdwa s[14:15], v79, v76 src0_sel:BYTE_0 src1_sel:BYTE_0
	v_lshlrev_b16_e32 v44, 8, v44
	v_cndmask_b32_e64 v52, v52, v53, s[10:11]
	v_cndmask_b32_e64 v50, v50, v51, s[10:11]
	v_cmp_lt_i32_e64 s[10:11], v75, v26
	s_or_b64 s[12:13], s[12:13], s[14:15]
	v_lshlrev_b16_e32 v49, 8, v49
	v_lshlrev_b16_e32 v46, 8, v46
	v_or_b32_sdwa v42, v42, v44 dst_sel:DWORD dst_unused:UNUSED_PAD src0_sel:BYTE_0 src1_sel:DWORD
	v_lshlrev_b16_e32 v44, 8, v45
	s_and_b64 s[10:11], s[10:11], s[12:13]
	v_or_b32_sdwa v47, v47, v49 dst_sel:DWORD dst_unused:UNUSED_PAD src0_sel:BYTE_0 src1_sel:DWORD
	v_or_b32_sdwa v46, v48, v46 dst_sel:WORD_1 dst_unused:UNUSED_PAD src0_sel:BYTE_0 src1_sel:DWORD
	v_or_b32_sdwa v43, v43, v44 dst_sel:WORD_1 dst_unused:UNUSED_PAD src0_sel:BYTE_0 src1_sel:DWORD
	v_cndmask_b32_e64 v53, v80, v75, s[10:11]
	v_or_b32_sdwa v47, v47, v46 dst_sel:DWORD dst_unused:UNUSED_PAD src0_sel:WORD_0 src1_sel:DWORD
	v_or_b32_sdwa v46, v42, v43 dst_sel:DWORD dst_unused:UNUSED_PAD src0_sel:WORD_0 src1_sel:DWORD
	v_cndmask_b32_e64 v77, v78, v77, s[22:23]
	v_cndmask_b32_e64 v70, v70, v71, s[20:21]
	;; [unrolled: 1-line block ×7, first 2 shown]
	s_waitcnt lgkmcnt(0)
	; wave barrier
	ds_write_b64 v3, v[46:47]
	s_waitcnt lgkmcnt(0)
	; wave barrier
	s_waitcnt lgkmcnt(0)
	ds_read_u8 v46, v53
	ds_read_u8 v42, v50
	;; [unrolled: 1-line block ×8, first 2 shown]
	v_lshlrev_b16_e32 v50, 8, v54
	v_or_b32_sdwa v50, v52, v50 dst_sel:DWORD dst_unused:UNUSED_PAD src0_sel:BYTE_0 src1_sel:DWORD
	v_lshlrev_b16_e32 v52, 8, v62
	v_cndmask_b32_e64 v51, v76, v79, s[10:11]
	v_or_b32_sdwa v52, v58, v52 dst_sel:WORD_1 dst_unused:UNUSED_PAD src0_sel:BYTE_0 src1_sel:DWORD
	v_lshlrev_b16_e32 v51, 8, v51
	v_or_b32_sdwa v50, v50, v52 dst_sel:DWORD dst_unused:UNUSED_PAD src0_sel:WORD_0 src1_sel:DWORD
	v_lshlrev_b16_e32 v52, 8, v70
	v_or_b32_sdwa v52, v66, v52 dst_sel:DWORD dst_unused:UNUSED_PAD src0_sel:BYTE_0 src1_sel:DWORD
	v_or_b32_sdwa v51, v74, v51 dst_sel:WORD_1 dst_unused:UNUSED_PAD src0_sel:BYTE_0 src1_sel:DWORD
	s_waitcnt lgkmcnt(0)
	v_or_b32_sdwa v51, v52, v51 dst_sel:DWORD dst_unused:UNUSED_PAD src0_sel:WORD_0 src1_sel:DWORD
	; wave barrier
	ds_write_b64 v3, v[50:51]
	v_mov_b32_e32 v50, v14
	s_waitcnt lgkmcnt(0)
	; wave barrier
	s_waitcnt lgkmcnt(0)
	s_and_saveexec_b64 s[12:13], vcc
	s_cbranch_execz .LBB89_166
; %bb.163:                              ;   in Loop: Header=BB89_2 Depth=1
	s_mov_b64 s[14:15], 0
	v_mov_b32_e32 v50, v14
	v_mov_b32_e32 v51, v15
.LBB89_164:                             ;   Parent Loop BB89_2 Depth=1
                                        ; =>  This Inner Loop Header: Depth=2
	v_sub_u32_e32 v52, v51, v50
	v_lshrrev_b32_e32 v53, 31, v52
	v_add_u32_e32 v52, v52, v53
	v_ashrrev_i32_e32 v52, 1, v52
	v_add_u32_e32 v52, v52, v50
	v_not_b32_e32 v53, v52
	v_add3_u32 v53, v3, v53, v2
	ds_read_u8 v54, v52
	ds_read_u8 v53, v53
	v_add_u32_e32 v55, 1, v52
	s_waitcnt lgkmcnt(0)
	v_cmp_lt_u16_e64 s[10:11], v53, v54
	s_nop 1
	v_cndmask_b32_e64 v51, v51, v52, s[10:11]
	v_cndmask_b32_e64 v50, v55, v50, s[10:11]
	v_cmp_ge_i32_e64 s[10:11], v50, v51
	s_or_b64 s[14:15], s[10:11], s[14:15]
	s_andn2_b64 exec, exec, s[14:15]
	s_cbranch_execnz .LBB89_164
; %bb.165:                              ;   in Loop: Header=BB89_2 Depth=1
	s_or_b64 exec, exec, s[14:15]
.LBB89_166:                             ;   in Loop: Header=BB89_2 Depth=1
	s_or_b64 exec, exec, s[12:13]
	v_sub_u32_e32 v51, v16, v50
	ds_read_u8 v52, v50
	ds_read_u8 v53, v51
	v_cmp_le_i32_e64 s[12:13], v2, v50
	v_cmp_gt_i32_e64 s[10:11], s95, v51
                                        ; implicit-def: $vgpr54
                                        ; implicit-def: $vgpr55
	s_waitcnt lgkmcnt(0)
	v_cmp_lt_u16_sdwa s[14:15], v53, v52 src0_sel:BYTE_0 src1_sel:BYTE_0
	s_or_b64 s[12:13], s[12:13], s[14:15]
	s_and_b64 s[10:11], s[10:11], s[12:13]
	s_xor_b64 s[12:13], s[10:11], -1
	s_and_saveexec_b64 s[14:15], s[12:13]
	s_xor_b64 s[12:13], exec, s[14:15]
	s_cbranch_execz .LBB89_168
; %bb.167:                              ;   in Loop: Header=BB89_2 Depth=1
	ds_read_u8 v55, v50 offset:1
	v_mov_b32_e32 v54, v53
.LBB89_168:                             ;   in Loop: Header=BB89_2 Depth=1
	s_andn2_saveexec_b64 s[12:13], s[12:13]
	s_cbranch_execz .LBB89_170
; %bb.169:                              ;   in Loop: Header=BB89_2 Depth=1
	ds_read_u8 v54, v51 offset:1
	s_waitcnt lgkmcnt(1)
	v_mov_b32_e32 v55, v52
.LBB89_170:                             ;   in Loop: Header=BB89_2 Depth=1
	s_or_b64 exec, exec, s[12:13]
	v_add_u32_e32 v57, 1, v50
	v_add_u32_e32 v56, 1, v51
	v_cndmask_b32_e64 v57, v57, v50, s[10:11]
	v_cndmask_b32_e64 v56, v51, v56, s[10:11]
	v_cmp_ge_i32_e64 s[14:15], v57, v2
	s_waitcnt lgkmcnt(0)
	v_cmp_lt_u16_sdwa s[16:17], v54, v55 src0_sel:BYTE_0 src1_sel:BYTE_0
	v_cmp_gt_i32_e64 s[12:13], s95, v56
	s_or_b64 s[14:15], s[14:15], s[16:17]
	s_and_b64 s[12:13], s[12:13], s[14:15]
	s_xor_b64 s[14:15], s[12:13], -1
                                        ; implicit-def: $vgpr58
	s_and_saveexec_b64 s[16:17], s[14:15]
	s_xor_b64 s[14:15], exec, s[16:17]
	s_cbranch_execz .LBB89_172
; %bb.171:                              ;   in Loop: Header=BB89_2 Depth=1
	ds_read_u8 v58, v57 offset:1
.LBB89_172:                             ;   in Loop: Header=BB89_2 Depth=1
	s_or_saveexec_b64 s[14:15], s[14:15]
	v_mov_b32_e32 v59, v54
	s_xor_b64 exec, exec, s[14:15]
	s_cbranch_execz .LBB89_174
; %bb.173:                              ;   in Loop: Header=BB89_2 Depth=1
	ds_read_u8 v59, v56 offset:1
	s_waitcnt lgkmcnt(1)
	v_mov_b32_e32 v58, v55
.LBB89_174:                             ;   in Loop: Header=BB89_2 Depth=1
	s_or_b64 exec, exec, s[14:15]
	v_add_u32_e32 v61, 1, v57
	v_add_u32_e32 v60, 1, v56
	v_cndmask_b32_e64 v61, v61, v57, s[12:13]
	v_cndmask_b32_e64 v60, v56, v60, s[12:13]
	v_cmp_ge_i32_e64 s[16:17], v61, v2
	s_waitcnt lgkmcnt(0)
	v_cmp_lt_u16_sdwa s[18:19], v59, v58 src0_sel:BYTE_0 src1_sel:BYTE_0
	v_cmp_gt_i32_e64 s[14:15], s95, v60
	s_or_b64 s[16:17], s[16:17], s[18:19]
	s_and_b64 s[14:15], s[14:15], s[16:17]
	s_xor_b64 s[16:17], s[14:15], -1
                                        ; implicit-def: $vgpr62
	s_and_saveexec_b64 s[18:19], s[16:17]
	s_xor_b64 s[16:17], exec, s[18:19]
	s_cbranch_execz .LBB89_176
; %bb.175:                              ;   in Loop: Header=BB89_2 Depth=1
	ds_read_u8 v62, v61 offset:1
.LBB89_176:                             ;   in Loop: Header=BB89_2 Depth=1
	s_or_saveexec_b64 s[16:17], s[16:17]
	v_mov_b32_e32 v63, v59
	s_xor_b64 exec, exec, s[16:17]
	s_cbranch_execz .LBB89_178
; %bb.177:                              ;   in Loop: Header=BB89_2 Depth=1
	ds_read_u8 v63, v60 offset:1
	s_waitcnt lgkmcnt(1)
	v_mov_b32_e32 v62, v58
.LBB89_178:                             ;   in Loop: Header=BB89_2 Depth=1
	s_or_b64 exec, exec, s[16:17]
	v_add_u32_e32 v65, 1, v61
	v_add_u32_e32 v64, 1, v60
	v_cndmask_b32_e64 v65, v65, v61, s[14:15]
	v_cndmask_b32_e64 v64, v60, v64, s[14:15]
	v_cmp_ge_i32_e64 s[18:19], v65, v2
	s_waitcnt lgkmcnt(0)
	v_cmp_lt_u16_sdwa s[20:21], v63, v62 src0_sel:BYTE_0 src1_sel:BYTE_0
	v_cmp_gt_i32_e64 s[16:17], s95, v64
	s_or_b64 s[18:19], s[18:19], s[20:21]
	s_and_b64 s[16:17], s[16:17], s[18:19]
	s_xor_b64 s[18:19], s[16:17], -1
                                        ; implicit-def: $vgpr66
	s_and_saveexec_b64 s[20:21], s[18:19]
	s_xor_b64 s[18:19], exec, s[20:21]
	s_cbranch_execz .LBB89_180
; %bb.179:                              ;   in Loop: Header=BB89_2 Depth=1
	ds_read_u8 v66, v65 offset:1
.LBB89_180:                             ;   in Loop: Header=BB89_2 Depth=1
	s_or_saveexec_b64 s[18:19], s[18:19]
	v_mov_b32_e32 v67, v63
	s_xor_b64 exec, exec, s[18:19]
	s_cbranch_execz .LBB89_182
; %bb.181:                              ;   in Loop: Header=BB89_2 Depth=1
	ds_read_u8 v67, v64 offset:1
	s_waitcnt lgkmcnt(1)
	v_mov_b32_e32 v66, v62
.LBB89_182:                             ;   in Loop: Header=BB89_2 Depth=1
	s_or_b64 exec, exec, s[18:19]
	v_add_u32_e32 v69, 1, v65
	v_add_u32_e32 v68, 1, v64
	v_cndmask_b32_e64 v69, v69, v65, s[16:17]
	v_cndmask_b32_e64 v68, v64, v68, s[16:17]
	v_cmp_ge_i32_e64 s[20:21], v69, v2
	s_waitcnt lgkmcnt(0)
	v_cmp_lt_u16_sdwa s[22:23], v67, v66 src0_sel:BYTE_0 src1_sel:BYTE_0
	v_cmp_gt_i32_e64 s[18:19], s95, v68
	s_or_b64 s[20:21], s[20:21], s[22:23]
	s_and_b64 s[18:19], s[18:19], s[20:21]
	s_xor_b64 s[20:21], s[18:19], -1
                                        ; implicit-def: $vgpr70
	s_and_saveexec_b64 s[22:23], s[20:21]
	s_xor_b64 s[20:21], exec, s[22:23]
	s_cbranch_execz .LBB89_184
; %bb.183:                              ;   in Loop: Header=BB89_2 Depth=1
	ds_read_u8 v70, v69 offset:1
.LBB89_184:                             ;   in Loop: Header=BB89_2 Depth=1
	s_or_saveexec_b64 s[20:21], s[20:21]
	v_mov_b32_e32 v71, v67
	s_xor_b64 exec, exec, s[20:21]
	s_cbranch_execz .LBB89_186
; %bb.185:                              ;   in Loop: Header=BB89_2 Depth=1
	ds_read_u8 v71, v68 offset:1
	s_waitcnt lgkmcnt(1)
	v_mov_b32_e32 v70, v66
.LBB89_186:                             ;   in Loop: Header=BB89_2 Depth=1
	s_or_b64 exec, exec, s[20:21]
	v_add_u32_e32 v73, 1, v69
	v_add_u32_e32 v72, 1, v68
	v_cndmask_b32_e64 v73, v73, v69, s[18:19]
	v_cndmask_b32_e64 v72, v68, v72, s[18:19]
	v_cmp_ge_i32_e64 s[22:23], v73, v2
	s_waitcnt lgkmcnt(0)
	v_cmp_lt_u16_sdwa s[24:25], v71, v70 src0_sel:BYTE_0 src1_sel:BYTE_0
	v_cmp_gt_i32_e64 s[20:21], s95, v72
	s_or_b64 s[22:23], s[22:23], s[24:25]
	s_and_b64 s[20:21], s[20:21], s[22:23]
	s_xor_b64 s[22:23], s[20:21], -1
                                        ; implicit-def: $vgpr74
	s_and_saveexec_b64 s[24:25], s[22:23]
	s_xor_b64 s[22:23], exec, s[24:25]
	s_cbranch_execz .LBB89_188
; %bb.187:                              ;   in Loop: Header=BB89_2 Depth=1
	ds_read_u8 v74, v73 offset:1
.LBB89_188:                             ;   in Loop: Header=BB89_2 Depth=1
	s_or_saveexec_b64 s[22:23], s[22:23]
	v_mov_b32_e32 v75, v71
	s_xor_b64 exec, exec, s[22:23]
	s_cbranch_execz .LBB89_190
; %bb.189:                              ;   in Loop: Header=BB89_2 Depth=1
	ds_read_u8 v75, v72 offset:1
	s_waitcnt lgkmcnt(1)
	v_mov_b32_e32 v74, v70
.LBB89_190:                             ;   in Loop: Header=BB89_2 Depth=1
	s_or_b64 exec, exec, s[22:23]
	v_add_u32_e32 v77, 1, v73
	v_add_u32_e32 v76, 1, v72
	v_cndmask_b32_e64 v80, v77, v73, s[20:21]
	v_cndmask_b32_e64 v76, v72, v76, s[20:21]
	v_cmp_ge_i32_e64 s[24:25], v80, v2
	s_waitcnt lgkmcnt(0)
	v_cmp_lt_u16_sdwa s[26:27], v75, v74 src0_sel:BYTE_0 src1_sel:BYTE_0
	v_cmp_gt_i32_e64 s[22:23], s95, v76
	s_or_b64 s[24:25], s[24:25], s[26:27]
	s_and_b64 s[22:23], s[22:23], s[24:25]
	s_xor_b64 s[24:25], s[22:23], -1
                                        ; implicit-def: $vgpr79
                                        ; implicit-def: $vgpr78
	s_and_saveexec_b64 s[26:27], s[24:25]
	s_xor_b64 s[24:25], exec, s[26:27]
	s_cbranch_execz .LBB89_192
; %bb.191:                              ;   in Loop: Header=BB89_2 Depth=1
	ds_read_u8 v79, v80 offset:1
	v_add_u32_e32 v78, 1, v80
.LBB89_192:                             ;   in Loop: Header=BB89_2 Depth=1
	s_or_saveexec_b64 s[24:25], s[24:25]
	v_mov_b32_e32 v77, v80
	v_mov_b32_e32 v81, v75
	s_xor_b64 exec, exec, s[24:25]
	s_cbranch_execz .LBB89_1
; %bb.193:                              ;   in Loop: Header=BB89_2 Depth=1
	ds_read_u8 v81, v76 offset:1
	s_waitcnt lgkmcnt(1)
	v_add_u32_e32 v79, 1, v76
	v_mov_b32_e32 v77, v76
	v_mov_b32_e32 v78, v80
	;; [unrolled: 1-line block ×4, first 2 shown]
	s_branch .LBB89_1
.LBB89_194:
	s_add_u32 s0, s86, s33
	s_addc_u32 s1, s87, 0
	v_add_u16_e32 v2, v52, v48
	v_lshl_add_u64 v[0:1], s[0:1], 0, v[0:1]
	v_add_u16_e32 v3, v53, v49
	v_add_u16_e32 v4, v54, v51
	v_add_u16_e32 v5, v55, v56
	v_add_u16_e32 v6, v58, v57
	v_add_u16_e32 v7, v59, v60
	v_add_u16_e32 v8, v62, v46
	v_add_u16_e32 v9, v50, v47
	global_store_byte v[0:1], v2, off
	global_store_byte v[0:1], v3, off offset:64
	global_store_byte v[0:1], v4, off offset:128
	;; [unrolled: 1-line block ×7, first 2 shown]
	s_endpgm
	.section	.rodata,"a",@progbits
	.p2align	6, 0x0
	.amdhsa_kernel _Z17sort_pairs_kernelIhLj64ELj8EN10test_utils4lessELj10EEvPKT_PS2_T2_
		.amdhsa_group_segment_fixed_size 513
		.amdhsa_private_segment_fixed_size 0
		.amdhsa_kernarg_size 20
		.amdhsa_user_sgpr_count 2
		.amdhsa_user_sgpr_dispatch_ptr 0
		.amdhsa_user_sgpr_queue_ptr 0
		.amdhsa_user_sgpr_kernarg_segment_ptr 1
		.amdhsa_user_sgpr_dispatch_id 0
		.amdhsa_user_sgpr_kernarg_preload_length 0
		.amdhsa_user_sgpr_kernarg_preload_offset 0
		.amdhsa_user_sgpr_private_segment_size 0
		.amdhsa_uses_dynamic_stack 0
		.amdhsa_enable_private_segment 0
		.amdhsa_system_sgpr_workgroup_id_x 1
		.amdhsa_system_sgpr_workgroup_id_y 0
		.amdhsa_system_sgpr_workgroup_id_z 0
		.amdhsa_system_sgpr_workgroup_info 0
		.amdhsa_system_vgpr_workitem_id 0
		.amdhsa_next_free_vgpr 82
		.amdhsa_next_free_sgpr 98
		.amdhsa_accum_offset 84
		.amdhsa_reserve_vcc 1
		.amdhsa_float_round_mode_32 0
		.amdhsa_float_round_mode_16_64 0
		.amdhsa_float_denorm_mode_32 3
		.amdhsa_float_denorm_mode_16_64 3
		.amdhsa_dx10_clamp 1
		.amdhsa_ieee_mode 1
		.amdhsa_fp16_overflow 0
		.amdhsa_tg_split 0
		.amdhsa_exception_fp_ieee_invalid_op 0
		.amdhsa_exception_fp_denorm_src 0
		.amdhsa_exception_fp_ieee_div_zero 0
		.amdhsa_exception_fp_ieee_overflow 0
		.amdhsa_exception_fp_ieee_underflow 0
		.amdhsa_exception_fp_ieee_inexact 0
		.amdhsa_exception_int_div_zero 0
	.end_amdhsa_kernel
	.section	.text._Z17sort_pairs_kernelIhLj64ELj8EN10test_utils4lessELj10EEvPKT_PS2_T2_,"axG",@progbits,_Z17sort_pairs_kernelIhLj64ELj8EN10test_utils4lessELj10EEvPKT_PS2_T2_,comdat
.Lfunc_end89:
	.size	_Z17sort_pairs_kernelIhLj64ELj8EN10test_utils4lessELj10EEvPKT_PS2_T2_, .Lfunc_end89-_Z17sort_pairs_kernelIhLj64ELj8EN10test_utils4lessELj10EEvPKT_PS2_T2_
                                        ; -- End function
	.section	.AMDGPU.csdata,"",@progbits
; Kernel info:
; codeLenInByte = 11064
; NumSgprs: 104
; NumVgprs: 82
; NumAgprs: 0
; TotalNumVgprs: 82
; ScratchSize: 0
; MemoryBound: 0
; FloatMode: 240
; IeeeMode: 1
; LDSByteSize: 513 bytes/workgroup (compile time only)
; SGPRBlocks: 12
; VGPRBlocks: 10
; NumSGPRsForWavesPerEU: 104
; NumVGPRsForWavesPerEU: 82
; AccumOffset: 84
; Occupancy: 5
; WaveLimiterHint : 0
; COMPUTE_PGM_RSRC2:SCRATCH_EN: 0
; COMPUTE_PGM_RSRC2:USER_SGPR: 2
; COMPUTE_PGM_RSRC2:TRAP_HANDLER: 0
; COMPUTE_PGM_RSRC2:TGID_X_EN: 1
; COMPUTE_PGM_RSRC2:TGID_Y_EN: 0
; COMPUTE_PGM_RSRC2:TGID_Z_EN: 0
; COMPUTE_PGM_RSRC2:TIDIG_COMP_CNT: 0
; COMPUTE_PGM_RSRC3_GFX90A:ACCUM_OFFSET: 20
; COMPUTE_PGM_RSRC3_GFX90A:TG_SPLIT: 0
	.section	.text._Z16sort_keys_kernelIhLj128ELj1EN10test_utils4lessELj10EEvPKT_PS2_T2_,"axG",@progbits,_Z16sort_keys_kernelIhLj128ELj1EN10test_utils4lessELj10EEvPKT_PS2_T2_,comdat
	.protected	_Z16sort_keys_kernelIhLj128ELj1EN10test_utils4lessELj10EEvPKT_PS2_T2_ ; -- Begin function _Z16sort_keys_kernelIhLj128ELj1EN10test_utils4lessELj10EEvPKT_PS2_T2_
	.globl	_Z16sort_keys_kernelIhLj128ELj1EN10test_utils4lessELj10EEvPKT_PS2_T2_
	.p2align	8
	.type	_Z16sort_keys_kernelIhLj128ELj1EN10test_utils4lessELj10EEvPKT_PS2_T2_,@function
_Z16sort_keys_kernelIhLj128ELj1EN10test_utils4lessELj10EEvPKT_PS2_T2_: ; @_Z16sort_keys_kernelIhLj128ELj1EN10test_utils4lessELj10EEvPKT_PS2_T2_
; %bb.0:
	s_load_dwordx4 s[16:19], s[0:1], 0x0
	s_lshl_b32 s20, s2, 7
	v_and_b32_e32 v9, 0x7c, v0
	v_and_b32_e32 v17, 0x78, v0
	;; [unrolled: 1-line block ×3, first 2 shown]
	s_waitcnt lgkmcnt(0)
	s_add_u32 s0, s16, s20
	s_addc_u32 s1, s17, 0
	global_load_ubyte v52, v0, s[0:1]
	v_and_b32_e32 v33, 0x60, v0
	v_and_b32_e32 v41, 64, v0
	;; [unrolled: 1-line block ×3, first 2 shown]
	v_or_b32_e32 v11, 2, v9
	v_add_u32_e32 v12, 4, v9
	v_or_b32_e32 v19, 4, v17
	v_add_u32_e32 v20, 8, v17
	;; [unrolled: 2-line block ×5, first 2 shown]
	v_and_b32_e32 v3, 1, v0
	v_or_b32_e32 v4, 1, v2
	v_and_b32_e32 v10, 3, v0
	v_sub_u32_e32 v14, v12, v11
	v_and_b32_e32 v18, 7, v0
	v_sub_u32_e32 v22, v20, v19
	;; [unrolled: 2-line block ×5, first 2 shown]
	v_sub_u32_e32 v5, v4, v2
	v_add_u32_e32 v6, -1, v3
	v_cmp_lt_i32_e32 vcc, 0, v3
	v_sub_u32_e32 v13, v11, v9
	v_sub_u32_e32 v15, v10, v14
	v_cmp_ge_i32_e64 s[0:1], v10, v14
	v_sub_u32_e32 v21, v19, v17
	v_sub_u32_e32 v23, v18, v22
	v_cmp_ge_i32_e64 s[2:3], v18, v22
	;; [unrolled: 3-line block ×5, first 2 shown]
	v_cndmask_b32_e32 v6, 0, v6, vcc
	v_min_i32_e32 v7, v3, v5
	v_cndmask_b32_e64 v14, 0, v15, s[0:1]
	v_min_i32_e32 v15, v10, v13
	v_cndmask_b32_e64 v22, 0, v23, s[2:3]
	;; [unrolled: 2-line block ×5, first 2 shown]
	v_min_i32_e32 v47, v42, v45
	v_sub_u32_e64 v49, v0, 64 clamp
	v_min_i32_e32 v50, 64, v0
	s_mov_b32 s21, 0
	v_mov_b32_e32 v1, 0
	v_cmp_lt_i32_e32 vcc, v6, v7
	v_add_u32_e32 v8, v4, v3
	v_cmp_lt_i32_e64 s[0:1], v14, v15
	v_add_u32_e32 v16, v11, v10
	v_cmp_lt_i32_e64 s[2:3], v22, v23
	;; [unrolled: 2-line block ×6, first 2 shown]
	v_add_u32_e32 v51, 64, v0
	s_movk_i32 s22, 0x80
	s_branch .LBB90_2
.LBB90_1:                               ;   in Loop: Header=BB90_2 Depth=1
	s_or_b64 exec, exec, s[14:15]
	v_sub_u32_e32 v53, v51, v52
	ds_read_u8 v54, v52
	ds_read_u8 v55, v53
	v_cmp_le_i32_e64 s[12:13], 64, v52
	v_cmp_gt_i32_e64 s[14:15], s22, v53
	s_add_i32 s21, s21, 1
	s_waitcnt lgkmcnt(0)
	v_cmp_lt_u16_sdwa s[16:17], v55, v54 src0_sel:BYTE_0 src1_sel:BYTE_0
	s_or_b64 s[12:13], s[12:13], s[16:17]
	s_and_b64 s[12:13], s[14:15], s[12:13]
	s_cmp_eq_u32 s21, 10
	v_cndmask_b32_e64 v52, v54, v55, s[12:13]
	s_cbranch_scc1 .LBB90_30
.LBB90_2:                               ; =>This Loop Header: Depth=1
                                        ;     Child Loop BB90_4 Depth 2
                                        ;     Child Loop BB90_8 Depth 2
	;; [unrolled: 1-line block ×7, first 2 shown]
	s_barrier
	s_waitcnt vmcnt(0)
	ds_write_b8 v0, v52
	v_mov_b32_e32 v52, v6
	s_waitcnt lgkmcnt(0)
	s_barrier
	s_and_saveexec_b64 s[14:15], vcc
	s_cbranch_execz .LBB90_6
; %bb.3:                                ;   in Loop: Header=BB90_2 Depth=1
	s_mov_b64 s[16:17], 0
	v_mov_b32_e32 v52, v6
	v_mov_b32_e32 v53, v7
.LBB90_4:                               ;   Parent Loop BB90_2 Depth=1
                                        ; =>  This Inner Loop Header: Depth=2
	v_sub_u32_e32 v54, v53, v52
	v_lshrrev_b32_e32 v55, 31, v54
	v_add_u32_e32 v54, v54, v55
	v_ashrrev_i32_e32 v54, 1, v54
	v_add_u32_e32 v54, v54, v52
	v_not_b32_e32 v56, v54
	v_add_u32_e32 v55, v2, v54
	v_add3_u32 v56, v3, v56, v4
	ds_read_u8 v55, v55
	ds_read_u8 v56, v56
	v_add_u32_e32 v57, 1, v54
	s_waitcnt lgkmcnt(0)
	v_cmp_lt_u16_e64 s[12:13], v56, v55
	s_nop 1
	v_cndmask_b32_e64 v53, v53, v54, s[12:13]
	v_cndmask_b32_e64 v52, v57, v52, s[12:13]
	v_cmp_ge_i32_e64 s[12:13], v52, v53
	s_or_b64 s[16:17], s[12:13], s[16:17]
	s_andn2_b64 exec, exec, s[16:17]
	s_cbranch_execnz .LBB90_4
; %bb.5:                                ;   in Loop: Header=BB90_2 Depth=1
	s_or_b64 exec, exec, s[16:17]
.LBB90_6:                               ;   in Loop: Header=BB90_2 Depth=1
	s_or_b64 exec, exec, s[14:15]
	v_add_u32_e32 v54, v2, v52
	v_sub_u32_e32 v53, v8, v52
	ds_read_u8 v54, v54
	ds_read_u8 v55, v53
	v_cmp_ge_i32_e64 s[12:13], v52, v5
	v_cmp_ge_i32_e64 s[14:15], v4, v53
	s_waitcnt lgkmcnt(0)
	s_barrier
	v_cmp_lt_u16_sdwa s[16:17], v55, v54 src0_sel:BYTE_0 src1_sel:BYTE_0
	s_or_b64 s[12:13], s[12:13], s[16:17]
	s_and_b64 s[12:13], s[14:15], s[12:13]
	v_cndmask_b32_e64 v52, v54, v55, s[12:13]
	ds_write_b8 v0, v52
	v_mov_b32_e32 v52, v14
	s_waitcnt lgkmcnt(0)
	s_barrier
	s_and_saveexec_b64 s[14:15], s[0:1]
	s_cbranch_execz .LBB90_10
; %bb.7:                                ;   in Loop: Header=BB90_2 Depth=1
	s_mov_b64 s[16:17], 0
	v_mov_b32_e32 v52, v14
	v_mov_b32_e32 v53, v15
.LBB90_8:                               ;   Parent Loop BB90_2 Depth=1
                                        ; =>  This Inner Loop Header: Depth=2
	v_sub_u32_e32 v54, v53, v52
	v_lshrrev_b32_e32 v55, 31, v54
	v_add_u32_e32 v54, v54, v55
	v_ashrrev_i32_e32 v54, 1, v54
	v_add_u32_e32 v54, v54, v52
	v_not_b32_e32 v56, v54
	v_add_u32_e32 v55, v9, v54
	v_add3_u32 v56, v10, v56, v11
	ds_read_u8 v55, v55
	ds_read_u8 v56, v56
	v_add_u32_e32 v57, 1, v54
	s_waitcnt lgkmcnt(0)
	v_cmp_lt_u16_e64 s[12:13], v56, v55
	s_nop 1
	v_cndmask_b32_e64 v53, v53, v54, s[12:13]
	v_cndmask_b32_e64 v52, v57, v52, s[12:13]
	v_cmp_ge_i32_e64 s[12:13], v52, v53
	s_or_b64 s[16:17], s[12:13], s[16:17]
	s_andn2_b64 exec, exec, s[16:17]
	s_cbranch_execnz .LBB90_8
; %bb.9:                                ;   in Loop: Header=BB90_2 Depth=1
	s_or_b64 exec, exec, s[16:17]
.LBB90_10:                              ;   in Loop: Header=BB90_2 Depth=1
	s_or_b64 exec, exec, s[14:15]
	v_add_u32_e32 v54, v9, v52
	v_sub_u32_e32 v53, v16, v52
	ds_read_u8 v54, v54
	ds_read_u8 v55, v53
	v_cmp_ge_i32_e64 s[12:13], v52, v13
	v_cmp_gt_i32_e64 s[14:15], v12, v53
	s_waitcnt lgkmcnt(0)
	s_barrier
	v_cmp_lt_u16_sdwa s[16:17], v55, v54 src0_sel:BYTE_0 src1_sel:BYTE_0
	s_or_b64 s[12:13], s[12:13], s[16:17]
	s_and_b64 s[12:13], s[14:15], s[12:13]
	v_cndmask_b32_e64 v52, v54, v55, s[12:13]
	ds_write_b8 v0, v52
	v_mov_b32_e32 v52, v22
	s_waitcnt lgkmcnt(0)
	s_barrier
	s_and_saveexec_b64 s[14:15], s[2:3]
	s_cbranch_execz .LBB90_14
; %bb.11:                               ;   in Loop: Header=BB90_2 Depth=1
	s_mov_b64 s[16:17], 0
	v_mov_b32_e32 v52, v22
	v_mov_b32_e32 v53, v23
.LBB90_12:                              ;   Parent Loop BB90_2 Depth=1
                                        ; =>  This Inner Loop Header: Depth=2
	v_sub_u32_e32 v54, v53, v52
	v_lshrrev_b32_e32 v55, 31, v54
	v_add_u32_e32 v54, v54, v55
	v_ashrrev_i32_e32 v54, 1, v54
	v_add_u32_e32 v54, v54, v52
	v_not_b32_e32 v56, v54
	v_add_u32_e32 v55, v17, v54
	v_add3_u32 v56, v18, v56, v19
	ds_read_u8 v55, v55
	ds_read_u8 v56, v56
	v_add_u32_e32 v57, 1, v54
	s_waitcnt lgkmcnt(0)
	v_cmp_lt_u16_e64 s[12:13], v56, v55
	s_nop 1
	v_cndmask_b32_e64 v53, v53, v54, s[12:13]
	v_cndmask_b32_e64 v52, v57, v52, s[12:13]
	v_cmp_ge_i32_e64 s[12:13], v52, v53
	s_or_b64 s[16:17], s[12:13], s[16:17]
	s_andn2_b64 exec, exec, s[16:17]
	s_cbranch_execnz .LBB90_12
; %bb.13:                               ;   in Loop: Header=BB90_2 Depth=1
	s_or_b64 exec, exec, s[16:17]
.LBB90_14:                              ;   in Loop: Header=BB90_2 Depth=1
	s_or_b64 exec, exec, s[14:15]
	v_add_u32_e32 v54, v17, v52
	v_sub_u32_e32 v53, v24, v52
	ds_read_u8 v54, v54
	ds_read_u8 v55, v53
	v_cmp_ge_i32_e64 s[12:13], v52, v21
	v_cmp_gt_i32_e64 s[14:15], v20, v53
	s_waitcnt lgkmcnt(0)
	s_barrier
	v_cmp_lt_u16_sdwa s[16:17], v55, v54 src0_sel:BYTE_0 src1_sel:BYTE_0
	s_or_b64 s[12:13], s[12:13], s[16:17]
	s_and_b64 s[12:13], s[14:15], s[12:13]
	v_cndmask_b32_e64 v52, v54, v55, s[12:13]
	ds_write_b8 v0, v52
	v_mov_b32_e32 v52, v30
	s_waitcnt lgkmcnt(0)
	s_barrier
	s_and_saveexec_b64 s[14:15], s[4:5]
	s_cbranch_execz .LBB90_18
; %bb.15:                               ;   in Loop: Header=BB90_2 Depth=1
	s_mov_b64 s[16:17], 0
	v_mov_b32_e32 v52, v30
	v_mov_b32_e32 v53, v31
.LBB90_16:                              ;   Parent Loop BB90_2 Depth=1
                                        ; =>  This Inner Loop Header: Depth=2
	v_sub_u32_e32 v54, v53, v52
	v_lshrrev_b32_e32 v55, 31, v54
	v_add_u32_e32 v54, v54, v55
	v_ashrrev_i32_e32 v54, 1, v54
	v_add_u32_e32 v54, v54, v52
	v_not_b32_e32 v56, v54
	v_add_u32_e32 v55, v25, v54
	v_add3_u32 v56, v26, v56, v27
	ds_read_u8 v55, v55
	ds_read_u8 v56, v56
	v_add_u32_e32 v57, 1, v54
	s_waitcnt lgkmcnt(0)
	v_cmp_lt_u16_e64 s[12:13], v56, v55
	s_nop 1
	v_cndmask_b32_e64 v53, v53, v54, s[12:13]
	v_cndmask_b32_e64 v52, v57, v52, s[12:13]
	v_cmp_ge_i32_e64 s[12:13], v52, v53
	s_or_b64 s[16:17], s[12:13], s[16:17]
	s_andn2_b64 exec, exec, s[16:17]
	s_cbranch_execnz .LBB90_16
; %bb.17:                               ;   in Loop: Header=BB90_2 Depth=1
	s_or_b64 exec, exec, s[16:17]
.LBB90_18:                              ;   in Loop: Header=BB90_2 Depth=1
	;; [unrolled: 48-line block ×4, first 2 shown]
	s_or_b64 exec, exec, s[14:15]
	v_add_u32_e32 v54, v41, v52
	v_sub_u32_e32 v53, v48, v52
	ds_read_u8 v54, v54
	ds_read_u8 v55, v53
	v_cmp_ge_i32_e64 s[12:13], v52, v45
	v_cmp_gt_i32_e64 s[14:15], v44, v53
	s_waitcnt lgkmcnt(0)
	s_barrier
	v_cmp_lt_u16_sdwa s[16:17], v55, v54 src0_sel:BYTE_0 src1_sel:BYTE_0
	s_or_b64 s[12:13], s[12:13], s[16:17]
	s_and_b64 s[12:13], s[14:15], s[12:13]
	v_cndmask_b32_e64 v52, v54, v55, s[12:13]
	ds_write_b8 v0, v52
	v_mov_b32_e32 v52, v49
	s_waitcnt lgkmcnt(0)
	s_barrier
	s_and_saveexec_b64 s[14:15], s[10:11]
	s_cbranch_execz .LBB90_1
; %bb.27:                               ;   in Loop: Header=BB90_2 Depth=1
	s_mov_b64 s[16:17], 0
	v_mov_b32_e32 v52, v49
	v_mov_b32_e32 v53, v50
.LBB90_28:                              ;   Parent Loop BB90_2 Depth=1
                                        ; =>  This Inner Loop Header: Depth=2
	v_sub_u32_e32 v54, v53, v52
	v_lshrrev_b32_e32 v55, 31, v54
	v_add_u32_e32 v54, v54, v55
	v_ashrrev_i32_e32 v54, 1, v54
	v_add_u32_e32 v54, v54, v52
	v_not_b32_e32 v55, v54
	v_add3_u32 v55, v0, v55, 64
	ds_read_u8 v56, v54
	ds_read_u8 v55, v55
	v_add_u32_e32 v57, 1, v54
	s_waitcnt lgkmcnt(0)
	v_cmp_lt_u16_e64 s[12:13], v55, v56
	s_nop 1
	v_cndmask_b32_e64 v53, v53, v54, s[12:13]
	v_cndmask_b32_e64 v52, v57, v52, s[12:13]
	v_cmp_ge_i32_e64 s[12:13], v52, v53
	s_or_b64 s[16:17], s[12:13], s[16:17]
	s_andn2_b64 exec, exec, s[16:17]
	s_cbranch_execnz .LBB90_28
; %bb.29:                               ;   in Loop: Header=BB90_2 Depth=1
	s_or_b64 exec, exec, s[16:17]
	s_branch .LBB90_1
.LBB90_30:
	s_add_u32 s0, s18, s20
	s_addc_u32 s1, s19, 0
	v_lshl_add_u64 v[0:1], s[0:1], 0, v[0:1]
	global_store_byte v[0:1], v52, off
	s_endpgm
	.section	.rodata,"a",@progbits
	.p2align	6, 0x0
	.amdhsa_kernel _Z16sort_keys_kernelIhLj128ELj1EN10test_utils4lessELj10EEvPKT_PS2_T2_
		.amdhsa_group_segment_fixed_size 129
		.amdhsa_private_segment_fixed_size 0
		.amdhsa_kernarg_size 20
		.amdhsa_user_sgpr_count 2
		.amdhsa_user_sgpr_dispatch_ptr 0
		.amdhsa_user_sgpr_queue_ptr 0
		.amdhsa_user_sgpr_kernarg_segment_ptr 1
		.amdhsa_user_sgpr_dispatch_id 0
		.amdhsa_user_sgpr_kernarg_preload_length 0
		.amdhsa_user_sgpr_kernarg_preload_offset 0
		.amdhsa_user_sgpr_private_segment_size 0
		.amdhsa_uses_dynamic_stack 0
		.amdhsa_enable_private_segment 0
		.amdhsa_system_sgpr_workgroup_id_x 1
		.amdhsa_system_sgpr_workgroup_id_y 0
		.amdhsa_system_sgpr_workgroup_id_z 0
		.amdhsa_system_sgpr_workgroup_info 0
		.amdhsa_system_vgpr_workitem_id 0
		.amdhsa_next_free_vgpr 58
		.amdhsa_next_free_sgpr 23
		.amdhsa_accum_offset 60
		.amdhsa_reserve_vcc 1
		.amdhsa_float_round_mode_32 0
		.amdhsa_float_round_mode_16_64 0
		.amdhsa_float_denorm_mode_32 3
		.amdhsa_float_denorm_mode_16_64 3
		.amdhsa_dx10_clamp 1
		.amdhsa_ieee_mode 1
		.amdhsa_fp16_overflow 0
		.amdhsa_tg_split 0
		.amdhsa_exception_fp_ieee_invalid_op 0
		.amdhsa_exception_fp_denorm_src 0
		.amdhsa_exception_fp_ieee_div_zero 0
		.amdhsa_exception_fp_ieee_overflow 0
		.amdhsa_exception_fp_ieee_underflow 0
		.amdhsa_exception_fp_ieee_inexact 0
		.amdhsa_exception_int_div_zero 0
	.end_amdhsa_kernel
	.section	.text._Z16sort_keys_kernelIhLj128ELj1EN10test_utils4lessELj10EEvPKT_PS2_T2_,"axG",@progbits,_Z16sort_keys_kernelIhLj128ELj1EN10test_utils4lessELj10EEvPKT_PS2_T2_,comdat
.Lfunc_end90:
	.size	_Z16sort_keys_kernelIhLj128ELj1EN10test_utils4lessELj10EEvPKT_PS2_T2_, .Lfunc_end90-_Z16sort_keys_kernelIhLj128ELj1EN10test_utils4lessELj10EEvPKT_PS2_T2_
                                        ; -- End function
	.section	.AMDGPU.csdata,"",@progbits
; Kernel info:
; codeLenInByte = 2068
; NumSgprs: 29
; NumVgprs: 58
; NumAgprs: 0
; TotalNumVgprs: 58
; ScratchSize: 0
; MemoryBound: 0
; FloatMode: 240
; IeeeMode: 1
; LDSByteSize: 129 bytes/workgroup (compile time only)
; SGPRBlocks: 3
; VGPRBlocks: 7
; NumSGPRsForWavesPerEU: 29
; NumVGPRsForWavesPerEU: 58
; AccumOffset: 60
; Occupancy: 8
; WaveLimiterHint : 0
; COMPUTE_PGM_RSRC2:SCRATCH_EN: 0
; COMPUTE_PGM_RSRC2:USER_SGPR: 2
; COMPUTE_PGM_RSRC2:TRAP_HANDLER: 0
; COMPUTE_PGM_RSRC2:TGID_X_EN: 1
; COMPUTE_PGM_RSRC2:TGID_Y_EN: 0
; COMPUTE_PGM_RSRC2:TGID_Z_EN: 0
; COMPUTE_PGM_RSRC2:TIDIG_COMP_CNT: 0
; COMPUTE_PGM_RSRC3_GFX90A:ACCUM_OFFSET: 14
; COMPUTE_PGM_RSRC3_GFX90A:TG_SPLIT: 0
	.section	.text._Z17sort_pairs_kernelIhLj128ELj1EN10test_utils4lessELj10EEvPKT_PS2_T2_,"axG",@progbits,_Z17sort_pairs_kernelIhLj128ELj1EN10test_utils4lessELj10EEvPKT_PS2_T2_,comdat
	.protected	_Z17sort_pairs_kernelIhLj128ELj1EN10test_utils4lessELj10EEvPKT_PS2_T2_ ; -- Begin function _Z17sort_pairs_kernelIhLj128ELj1EN10test_utils4lessELj10EEvPKT_PS2_T2_
	.globl	_Z17sort_pairs_kernelIhLj128ELj1EN10test_utils4lessELj10EEvPKT_PS2_T2_
	.p2align	8
	.type	_Z17sort_pairs_kernelIhLj128ELj1EN10test_utils4lessELj10EEvPKT_PS2_T2_,@function
_Z17sort_pairs_kernelIhLj128ELj1EN10test_utils4lessELj10EEvPKT_PS2_T2_: ; @_Z17sort_pairs_kernelIhLj128ELj1EN10test_utils4lessELj10EEvPKT_PS2_T2_
; %bb.0:
	s_load_dwordx4 s[16:19], s[0:1], 0x0
	s_lshl_b32 s20, s2, 7
	v_and_b32_e32 v4, 0x7c, v0
	v_and_b32_e32 v6, 0x78, v0
	v_or_b32_e32 v18, 2, v4
	s_waitcnt lgkmcnt(0)
	s_add_u32 s0, s16, s20
	s_addc_u32 s1, s17, 0
	global_load_ubyte v46, v0, s[0:1]
	v_add_u32_e32 v19, 4, v4
	v_and_b32_e32 v5, 3, v0
	v_and_b32_e32 v8, 0x70, v0
	v_or_b32_e32 v20, 4, v6
	v_add_u32_e32 v21, 8, v6
	v_sub_u32_e32 v41, v19, v18
	v_and_b32_e32 v7, 7, v0
	v_and_b32_e32 v10, 0x60, v0
	v_or_b32_e32 v22, 8, v8
	v_add_u32_e32 v23, 16, v8
	v_sub_u32_e32 v42, v21, v20
	v_sub_u32_e32 v47, v5, v41
	v_cmp_ge_i32_e64 s[2:3], v5, v41
	v_and_b32_e32 v9, 15, v0
	v_and_b32_e32 v12, 64, v0
	v_or_b32_e32 v24, 16, v10
	v_add_u32_e32 v25, 32, v10
	v_sub_u32_e32 v43, v23, v22
	v_sub_u32_e32 v48, v7, v42
	v_cndmask_b32_e64 v41, 0, v47, s[2:3]
	v_cmp_ge_i32_e64 s[2:3], v7, v42
	v_and_b32_e32 v2, 0x7e, v0
	v_and_b32_e32 v11, 31, v0
	v_or_b32_e32 v26, 32, v12
	v_add_u32_e32 v27, 64, v12
	v_sub_u32_e32 v44, v25, v24
	v_sub_u32_e32 v49, v9, v43
	v_cndmask_b32_e64 v42, 0, v48, s[2:3]
	v_cmp_ge_i32_e64 s[2:3], v9, v43
	v_and_b32_e32 v3, 1, v0
	v_and_b32_e32 v13, 63, v0
	v_or_b32_e32 v17, 1, v2
	v_sub_u32_e32 v45, v27, v26
	v_sub_u32_e32 v50, v11, v44
	v_cndmask_b32_e64 v43, 0, v49, s[2:3]
	v_cmp_ge_i32_e64 s[2:3], v11, v44
	v_add_u32_e32 v28, -1, v3
	v_sub_u32_e32 v35, v17, v2
	v_cmp_lt_i32_e64 s[0:1], 0, v3
	v_sub_u32_e32 v36, v18, v4
	v_sub_u32_e32 v37, v20, v6
	;; [unrolled: 1-line block ×6, first 2 shown]
	v_cndmask_b32_e64 v44, 0, v50, s[2:3]
	v_cmp_ge_i32_e64 s[2:3], v13, v45
	v_sub_u32_e64 v14, v0, 64 clamp
	v_min_i32_e32 v15, 64, v0
	v_cndmask_b32_e64 v28, 0, v28, s[0:1]
	v_min_i32_e32 v35, v3, v35
	v_min_i32_e32 v36, v5, v36
	;; [unrolled: 1-line block ×6, first 2 shown]
	v_cndmask_b32_e64 v45, 0, v51, s[2:3]
	s_mov_b32 s21, 0
	v_mov_b32_e32 v1, 0
	v_add_u32_e32 v16, 64, v0
	v_cmp_lt_i32_e32 vcc, v14, v15
	v_add_u32_e32 v29, v17, v3
	v_add_u32_e32 v30, v18, v5
	;; [unrolled: 1-line block ×6, first 2 shown]
	v_cmp_lt_i32_e64 s[0:1], v28, v35
	v_cmp_lt_i32_e64 s[2:3], v41, v36
	;; [unrolled: 1-line block ×6, first 2 shown]
	s_movk_i32 s22, 0x80
	s_waitcnt vmcnt(0)
	v_add_u16_e32 v47, 1, v46
	s_branch .LBB91_2
.LBB91_1:                               ;   in Loop: Header=BB91_2 Depth=1
	s_or_b64 exec, exec, s[14:15]
	v_sub_u32_e32 v49, v16, v48
	ds_read_u8 v46, v48
	ds_read_u8 v50, v49
	v_cmp_le_i32_e64 s[12:13], 64, v48
	v_cmp_gt_i32_e64 s[14:15], s22, v49
	s_waitcnt lgkmcnt(0)
	s_barrier
	v_cmp_lt_u16_sdwa s[16:17], v50, v46 src0_sel:BYTE_0 src1_sel:BYTE_0
	s_or_b64 s[12:13], s[12:13], s[16:17]
	s_and_b64 s[12:13], s[14:15], s[12:13]
	v_cndmask_b32_e64 v48, v48, v49, s[12:13]
	ds_write_b8 v0, v47
	s_waitcnt lgkmcnt(0)
	s_barrier
	ds_read_u8 v47, v48
	s_add_i32 s21, s21, 1
	v_cndmask_b32_e64 v46, v46, v50, s[12:13]
	s_cmp_lg_u32 s21, 10
	s_cbranch_scc0 .LBB91_30
.LBB91_2:                               ; =>This Loop Header: Depth=1
                                        ;     Child Loop BB91_4 Depth 2
                                        ;     Child Loop BB91_8 Depth 2
	;; [unrolled: 1-line block ×7, first 2 shown]
	s_barrier
	ds_write_b8 v0, v46
	v_mov_b32_e32 v46, v28
	s_waitcnt lgkmcnt(0)
	s_barrier
	s_and_saveexec_b64 s[14:15], s[0:1]
	s_cbranch_execz .LBB91_6
; %bb.3:                                ;   in Loop: Header=BB91_2 Depth=1
	s_mov_b64 s[16:17], 0
	v_mov_b32_e32 v46, v28
	v_mov_b32_e32 v48, v35
.LBB91_4:                               ;   Parent Loop BB91_2 Depth=1
                                        ; =>  This Inner Loop Header: Depth=2
	v_sub_u32_e32 v49, v48, v46
	v_lshrrev_b32_e32 v50, 31, v49
	v_add_u32_e32 v49, v49, v50
	v_ashrrev_i32_e32 v49, 1, v49
	v_add_u32_e32 v49, v49, v46
	v_not_b32_e32 v51, v49
	v_add_u32_e32 v50, v2, v49
	v_add3_u32 v51, v3, v51, v17
	ds_read_u8 v50, v50
	ds_read_u8 v51, v51
	v_add_u32_e32 v52, 1, v49
	s_waitcnt lgkmcnt(0)
	v_cmp_lt_u16_e64 s[12:13], v51, v50
	s_nop 1
	v_cndmask_b32_e64 v48, v48, v49, s[12:13]
	v_cndmask_b32_e64 v46, v52, v46, s[12:13]
	v_cmp_ge_i32_e64 s[12:13], v46, v48
	s_or_b64 s[16:17], s[12:13], s[16:17]
	s_andn2_b64 exec, exec, s[16:17]
	s_cbranch_execnz .LBB91_4
; %bb.5:                                ;   in Loop: Header=BB91_2 Depth=1
	s_or_b64 exec, exec, s[16:17]
.LBB91_6:                               ;   in Loop: Header=BB91_2 Depth=1
	s_or_b64 exec, exec, s[14:15]
	v_add_u32_e32 v48, v46, v2
	v_sub_u32_e32 v46, v29, v46
	ds_read_u8 v49, v48
	ds_read_u8 v50, v46
	v_cmp_le_i32_e64 s[14:15], v17, v48
	v_cmp_ge_i32_e64 s[12:13], v17, v46
	s_waitcnt lgkmcnt(0)
	s_barrier
	v_cmp_lt_u16_sdwa s[16:17], v50, v49 src0_sel:BYTE_0 src1_sel:BYTE_0
	s_or_b64 s[14:15], s[14:15], s[16:17]
	s_and_b64 s[12:13], s[12:13], s[14:15]
	v_cndmask_b32_e64 v46, v48, v46, s[12:13]
	ds_write_b8 v0, v47
	s_waitcnt lgkmcnt(0)
	s_barrier
	ds_read_u8 v46, v46
	v_cndmask_b32_e64 v49, v49, v50, s[12:13]
	v_mov_b32_e32 v47, v41
	s_waitcnt lgkmcnt(0)
	s_barrier
	ds_write_b8 v0, v49
	s_waitcnt lgkmcnt(0)
	s_barrier
	s_and_saveexec_b64 s[14:15], s[2:3]
	s_cbranch_execz .LBB91_10
; %bb.7:                                ;   in Loop: Header=BB91_2 Depth=1
	s_mov_b64 s[16:17], 0
	v_mov_b32_e32 v47, v41
	v_mov_b32_e32 v48, v36
.LBB91_8:                               ;   Parent Loop BB91_2 Depth=1
                                        ; =>  This Inner Loop Header: Depth=2
	v_sub_u32_e32 v49, v48, v47
	v_lshrrev_b32_e32 v50, 31, v49
	v_add_u32_e32 v49, v49, v50
	v_ashrrev_i32_e32 v49, 1, v49
	v_add_u32_e32 v49, v49, v47
	v_not_b32_e32 v51, v49
	v_add_u32_e32 v50, v4, v49
	v_add3_u32 v51, v5, v51, v18
	ds_read_u8 v50, v50
	ds_read_u8 v51, v51
	v_add_u32_e32 v52, 1, v49
	s_waitcnt lgkmcnt(0)
	v_cmp_lt_u16_e64 s[12:13], v51, v50
	s_nop 1
	v_cndmask_b32_e64 v48, v48, v49, s[12:13]
	v_cndmask_b32_e64 v47, v52, v47, s[12:13]
	v_cmp_ge_i32_e64 s[12:13], v47, v48
	s_or_b64 s[16:17], s[12:13], s[16:17]
	s_andn2_b64 exec, exec, s[16:17]
	s_cbranch_execnz .LBB91_8
; %bb.9:                                ;   in Loop: Header=BB91_2 Depth=1
	s_or_b64 exec, exec, s[16:17]
.LBB91_10:                              ;   in Loop: Header=BB91_2 Depth=1
	s_or_b64 exec, exec, s[14:15]
	v_add_u32_e32 v48, v47, v4
	v_sub_u32_e32 v47, v30, v47
	ds_read_u8 v49, v48
	ds_read_u8 v50, v47
	v_cmp_le_i32_e64 s[14:15], v18, v48
	v_cmp_gt_i32_e64 s[12:13], v19, v47
	s_waitcnt lgkmcnt(0)
	s_barrier
	v_cmp_lt_u16_sdwa s[16:17], v50, v49 src0_sel:BYTE_0 src1_sel:BYTE_0
	s_or_b64 s[14:15], s[14:15], s[16:17]
	s_and_b64 s[12:13], s[12:13], s[14:15]
	v_cndmask_b32_e64 v47, v48, v47, s[12:13]
	ds_write_b8 v0, v46
	s_waitcnt lgkmcnt(0)
	s_barrier
	ds_read_u8 v46, v47
	v_cndmask_b32_e64 v49, v49, v50, s[12:13]
	v_mov_b32_e32 v47, v42
	s_waitcnt lgkmcnt(0)
	s_barrier
	ds_write_b8 v0, v49
	s_waitcnt lgkmcnt(0)
	s_barrier
	s_and_saveexec_b64 s[14:15], s[4:5]
	s_cbranch_execz .LBB91_14
; %bb.11:                               ;   in Loop: Header=BB91_2 Depth=1
	s_mov_b64 s[16:17], 0
	v_mov_b32_e32 v47, v42
	v_mov_b32_e32 v48, v37
.LBB91_12:                              ;   Parent Loop BB91_2 Depth=1
                                        ; =>  This Inner Loop Header: Depth=2
	v_sub_u32_e32 v49, v48, v47
	v_lshrrev_b32_e32 v50, 31, v49
	v_add_u32_e32 v49, v49, v50
	v_ashrrev_i32_e32 v49, 1, v49
	v_add_u32_e32 v49, v49, v47
	v_not_b32_e32 v51, v49
	v_add_u32_e32 v50, v6, v49
	v_add3_u32 v51, v7, v51, v20
	ds_read_u8 v50, v50
	ds_read_u8 v51, v51
	v_add_u32_e32 v52, 1, v49
	s_waitcnt lgkmcnt(0)
	v_cmp_lt_u16_e64 s[12:13], v51, v50
	s_nop 1
	v_cndmask_b32_e64 v48, v48, v49, s[12:13]
	v_cndmask_b32_e64 v47, v52, v47, s[12:13]
	v_cmp_ge_i32_e64 s[12:13], v47, v48
	s_or_b64 s[16:17], s[12:13], s[16:17]
	s_andn2_b64 exec, exec, s[16:17]
	s_cbranch_execnz .LBB91_12
; %bb.13:                               ;   in Loop: Header=BB91_2 Depth=1
	s_or_b64 exec, exec, s[16:17]
.LBB91_14:                              ;   in Loop: Header=BB91_2 Depth=1
	s_or_b64 exec, exec, s[14:15]
	v_add_u32_e32 v48, v47, v6
	v_sub_u32_e32 v47, v31, v47
	ds_read_u8 v49, v48
	ds_read_u8 v50, v47
	v_cmp_le_i32_e64 s[14:15], v20, v48
	v_cmp_gt_i32_e64 s[12:13], v21, v47
	s_waitcnt lgkmcnt(0)
	s_barrier
	v_cmp_lt_u16_sdwa s[16:17], v50, v49 src0_sel:BYTE_0 src1_sel:BYTE_0
	s_or_b64 s[14:15], s[14:15], s[16:17]
	s_and_b64 s[12:13], s[12:13], s[14:15]
	v_cndmask_b32_e64 v47, v48, v47, s[12:13]
	ds_write_b8 v0, v46
	s_waitcnt lgkmcnt(0)
	s_barrier
	ds_read_u8 v46, v47
	v_cndmask_b32_e64 v49, v49, v50, s[12:13]
	v_mov_b32_e32 v47, v43
	s_waitcnt lgkmcnt(0)
	s_barrier
	ds_write_b8 v0, v49
	s_waitcnt lgkmcnt(0)
	s_barrier
	s_and_saveexec_b64 s[14:15], s[6:7]
	s_cbranch_execz .LBB91_18
; %bb.15:                               ;   in Loop: Header=BB91_2 Depth=1
	s_mov_b64 s[16:17], 0
	v_mov_b32_e32 v47, v43
	v_mov_b32_e32 v48, v38
.LBB91_16:                              ;   Parent Loop BB91_2 Depth=1
                                        ; =>  This Inner Loop Header: Depth=2
	v_sub_u32_e32 v49, v48, v47
	v_lshrrev_b32_e32 v50, 31, v49
	v_add_u32_e32 v49, v49, v50
	v_ashrrev_i32_e32 v49, 1, v49
	v_add_u32_e32 v49, v49, v47
	v_not_b32_e32 v51, v49
	v_add_u32_e32 v50, v8, v49
	v_add3_u32 v51, v9, v51, v22
	ds_read_u8 v50, v50
	ds_read_u8 v51, v51
	v_add_u32_e32 v52, 1, v49
	s_waitcnt lgkmcnt(0)
	v_cmp_lt_u16_e64 s[12:13], v51, v50
	s_nop 1
	v_cndmask_b32_e64 v48, v48, v49, s[12:13]
	v_cndmask_b32_e64 v47, v52, v47, s[12:13]
	v_cmp_ge_i32_e64 s[12:13], v47, v48
	s_or_b64 s[16:17], s[12:13], s[16:17]
	s_andn2_b64 exec, exec, s[16:17]
	s_cbranch_execnz .LBB91_16
; %bb.17:                               ;   in Loop: Header=BB91_2 Depth=1
	s_or_b64 exec, exec, s[16:17]
.LBB91_18:                              ;   in Loop: Header=BB91_2 Depth=1
	;; [unrolled: 55-line block ×4, first 2 shown]
	s_or_b64 exec, exec, s[14:15]
	v_add_u32_e32 v48, v47, v12
	v_sub_u32_e32 v47, v34, v47
	ds_read_u8 v49, v48
	ds_read_u8 v50, v47
	v_cmp_le_i32_e64 s[14:15], v26, v48
	v_cmp_gt_i32_e64 s[12:13], v27, v47
	s_waitcnt lgkmcnt(0)
	s_barrier
	v_cmp_lt_u16_sdwa s[16:17], v50, v49 src0_sel:BYTE_0 src1_sel:BYTE_0
	s_or_b64 s[14:15], s[14:15], s[16:17]
	s_and_b64 s[12:13], s[12:13], s[14:15]
	v_cndmask_b32_e64 v47, v48, v47, s[12:13]
	ds_write_b8 v0, v46
	s_waitcnt lgkmcnt(0)
	s_barrier
	ds_read_u8 v47, v47
	v_cndmask_b32_e64 v49, v49, v50, s[12:13]
	v_mov_b32_e32 v48, v14
	s_waitcnt lgkmcnt(0)
	s_barrier
	ds_write_b8 v0, v49
	s_waitcnt lgkmcnt(0)
	s_barrier
	s_and_saveexec_b64 s[14:15], vcc
	s_cbranch_execz .LBB91_1
; %bb.27:                               ;   in Loop: Header=BB91_2 Depth=1
	s_mov_b64 s[16:17], 0
	v_mov_b32_e32 v48, v14
	v_mov_b32_e32 v46, v15
.LBB91_28:                              ;   Parent Loop BB91_2 Depth=1
                                        ; =>  This Inner Loop Header: Depth=2
	v_sub_u32_e32 v49, v46, v48
	v_lshrrev_b32_e32 v50, 31, v49
	v_add_u32_e32 v49, v49, v50
	v_ashrrev_i32_e32 v49, 1, v49
	v_add_u32_e32 v49, v49, v48
	v_not_b32_e32 v50, v49
	v_add3_u32 v50, v0, v50, 64
	ds_read_u8 v51, v49
	ds_read_u8 v50, v50
	v_add_u32_e32 v52, 1, v49
	s_waitcnt lgkmcnt(0)
	v_cmp_lt_u16_e64 s[12:13], v50, v51
	s_nop 1
	v_cndmask_b32_e64 v46, v46, v49, s[12:13]
	v_cndmask_b32_e64 v48, v52, v48, s[12:13]
	v_cmp_ge_i32_e64 s[12:13], v48, v46
	s_or_b64 s[16:17], s[12:13], s[16:17]
	s_andn2_b64 exec, exec, s[16:17]
	s_cbranch_execnz .LBB91_28
; %bb.29:                               ;   in Loop: Header=BB91_2 Depth=1
	s_or_b64 exec, exec, s[16:17]
	s_branch .LBB91_1
.LBB91_30:
	s_add_u32 s0, s18, s20
	s_addc_u32 s1, s19, 0
	s_waitcnt lgkmcnt(0)
	v_add_u16_e32 v2, v46, v47
	v_lshl_add_u64 v[0:1], s[0:1], 0, v[0:1]
	global_store_byte v[0:1], v2, off
	s_endpgm
	.section	.rodata,"a",@progbits
	.p2align	6, 0x0
	.amdhsa_kernel _Z17sort_pairs_kernelIhLj128ELj1EN10test_utils4lessELj10EEvPKT_PS2_T2_
		.amdhsa_group_segment_fixed_size 129
		.amdhsa_private_segment_fixed_size 0
		.amdhsa_kernarg_size 20
		.amdhsa_user_sgpr_count 2
		.amdhsa_user_sgpr_dispatch_ptr 0
		.amdhsa_user_sgpr_queue_ptr 0
		.amdhsa_user_sgpr_kernarg_segment_ptr 1
		.amdhsa_user_sgpr_dispatch_id 0
		.amdhsa_user_sgpr_kernarg_preload_length 0
		.amdhsa_user_sgpr_kernarg_preload_offset 0
		.amdhsa_user_sgpr_private_segment_size 0
		.amdhsa_uses_dynamic_stack 0
		.amdhsa_enable_private_segment 0
		.amdhsa_system_sgpr_workgroup_id_x 1
		.amdhsa_system_sgpr_workgroup_id_y 0
		.amdhsa_system_sgpr_workgroup_id_z 0
		.amdhsa_system_sgpr_workgroup_info 0
		.amdhsa_system_vgpr_workitem_id 0
		.amdhsa_next_free_vgpr 53
		.amdhsa_next_free_sgpr 23
		.amdhsa_accum_offset 56
		.amdhsa_reserve_vcc 1
		.amdhsa_float_round_mode_32 0
		.amdhsa_float_round_mode_16_64 0
		.amdhsa_float_denorm_mode_32 3
		.amdhsa_float_denorm_mode_16_64 3
		.amdhsa_dx10_clamp 1
		.amdhsa_ieee_mode 1
		.amdhsa_fp16_overflow 0
		.amdhsa_tg_split 0
		.amdhsa_exception_fp_ieee_invalid_op 0
		.amdhsa_exception_fp_denorm_src 0
		.amdhsa_exception_fp_ieee_div_zero 0
		.amdhsa_exception_fp_ieee_overflow 0
		.amdhsa_exception_fp_ieee_underflow 0
		.amdhsa_exception_fp_ieee_inexact 0
		.amdhsa_exception_int_div_zero 0
	.end_amdhsa_kernel
	.section	.text._Z17sort_pairs_kernelIhLj128ELj1EN10test_utils4lessELj10EEvPKT_PS2_T2_,"axG",@progbits,_Z17sort_pairs_kernelIhLj128ELj1EN10test_utils4lessELj10EEvPKT_PS2_T2_,comdat
.Lfunc_end91:
	.size	_Z17sort_pairs_kernelIhLj128ELj1EN10test_utils4lessELj10EEvPKT_PS2_T2_, .Lfunc_end91-_Z17sort_pairs_kernelIhLj128ELj1EN10test_utils4lessELj10EEvPKT_PS2_T2_
                                        ; -- End function
	.section	.AMDGPU.csdata,"",@progbits
; Kernel info:
; codeLenInByte = 2364
; NumSgprs: 29
; NumVgprs: 53
; NumAgprs: 0
; TotalNumVgprs: 53
; ScratchSize: 0
; MemoryBound: 0
; FloatMode: 240
; IeeeMode: 1
; LDSByteSize: 129 bytes/workgroup (compile time only)
; SGPRBlocks: 3
; VGPRBlocks: 6
; NumSGPRsForWavesPerEU: 29
; NumVGPRsForWavesPerEU: 53
; AccumOffset: 56
; Occupancy: 8
; WaveLimiterHint : 0
; COMPUTE_PGM_RSRC2:SCRATCH_EN: 0
; COMPUTE_PGM_RSRC2:USER_SGPR: 2
; COMPUTE_PGM_RSRC2:TRAP_HANDLER: 0
; COMPUTE_PGM_RSRC2:TGID_X_EN: 1
; COMPUTE_PGM_RSRC2:TGID_Y_EN: 0
; COMPUTE_PGM_RSRC2:TGID_Z_EN: 0
; COMPUTE_PGM_RSRC2:TIDIG_COMP_CNT: 0
; COMPUTE_PGM_RSRC3_GFX90A:ACCUM_OFFSET: 13
; COMPUTE_PGM_RSRC3_GFX90A:TG_SPLIT: 0
	.section	.text._Z16sort_keys_kernelIhLj128ELj2EN10test_utils4lessELj10EEvPKT_PS2_T2_,"axG",@progbits,_Z16sort_keys_kernelIhLj128ELj2EN10test_utils4lessELj10EEvPKT_PS2_T2_,comdat
	.protected	_Z16sort_keys_kernelIhLj128ELj2EN10test_utils4lessELj10EEvPKT_PS2_T2_ ; -- Begin function _Z16sort_keys_kernelIhLj128ELj2EN10test_utils4lessELj10EEvPKT_PS2_T2_
	.globl	_Z16sort_keys_kernelIhLj128ELj2EN10test_utils4lessELj10EEvPKT_PS2_T2_
	.p2align	8
	.type	_Z16sort_keys_kernelIhLj128ELj2EN10test_utils4lessELj10EEvPKT_PS2_T2_,@function
_Z16sort_keys_kernelIhLj128ELj2EN10test_utils4lessELj10EEvPKT_PS2_T2_: ; @_Z16sort_keys_kernelIhLj128ELj2EN10test_utils4lessELj10EEvPKT_PS2_T2_
; %bb.0:
	s_load_dwordx4 s[16:19], s[0:1], 0x0
	s_lshl_b32 s20, s2, 8
	v_lshlrev_b32_e32 v3, 1, v0
	v_and_b32_e32 v4, 0xfc, v3
	v_and_b32_e32 v6, 0xf8, v3
	s_waitcnt lgkmcnt(0)
	s_add_u32 s0, s16, s20
	s_addc_u32 s1, s17, 0
	global_load_ubyte v48, v0, s[0:1]
	global_load_ubyte v49, v0, s[0:1] offset:128
	v_or_b32_e32 v18, 2, v4
	v_add_u32_e32 v19, 4, v4
	v_and_b32_e32 v5, 2, v3
	v_and_b32_e32 v8, 0xf0, v3
	v_or_b32_e32 v20, 4, v6
	v_add_u32_e32 v21, 8, v6
	v_sub_u32_e32 v42, v19, v18
	v_and_b32_e32 v7, 6, v3
	v_and_b32_e32 v10, 0xe0, v3
	v_or_b32_e32 v22, 8, v8
	v_add_u32_e32 v23, 16, v8
	v_sub_u32_e32 v43, v21, v20
	v_sub_u32_e32 v50, v5, v42
	v_cmp_ge_i32_e64 s[0:1], v5, v42
	v_and_b32_e32 v9, 14, v3
	v_and_b32_e32 v12, 0xc0, v3
	v_or_b32_e32 v24, 16, v10
	v_add_u32_e32 v25, 32, v10
	v_sub_u32_e32 v44, v23, v22
	v_sub_u32_e32 v51, v7, v43
	v_cndmask_b32_e64 v42, 0, v50, s[0:1]
	v_cmp_ge_i32_e64 s[0:1], v7, v43
	v_and_b32_e32 v11, 30, v3
	v_and_b32_e32 v14, 0x80, v3
	v_or_b32_e32 v26, 32, v12
	v_add_u32_e32 v27, 64, v12
	v_sub_u32_e32 v45, v25, v24
	v_sub_u32_e32 v52, v9, v44
	v_cndmask_b32_e64 v43, 0, v51, s[0:1]
	v_cmp_ge_i32_e64 s[0:1], v9, v44
	v_and_b32_e32 v13, 62, v3
	v_or_b32_e32 v28, 64, v14
	v_add_u32_e32 v29, 0x80, v14
	v_sub_u32_e32 v46, v27, v26
	v_sub_u32_e32 v53, v11, v45
	v_cndmask_b32_e64 v44, 0, v52, s[0:1]
	v_cmp_ge_i32_e64 s[0:1], v11, v45
	v_and_b32_e32 v15, 0x7e, v3
	v_sub_u32_e32 v47, v29, v28
	v_sub_u32_e32 v54, v13, v46
	v_cndmask_b32_e64 v45, 0, v53, s[0:1]
	v_cmp_ge_i32_e64 s[0:1], v13, v46
	v_mov_b32_e32 v2, 0x80
	v_sub_u32_e32 v36, v18, v4
	v_sub_u32_e32 v37, v20, v6
	;; [unrolled: 1-line block ×7, first 2 shown]
	v_cndmask_b32_e64 v46, 0, v54, s[0:1]
	v_cmp_ge_i32_e64 s[0:1], v15, v47
	v_sub_u32_e64 v16, v3, v2 clamp
	v_min_i32_e32 v17, 0x80, v3
	v_min_i32_e32 v36, v5, v36
	;; [unrolled: 1-line block ×7, first 2 shown]
	v_cndmask_b32_e64 v47, 0, v55, s[0:1]
	s_mov_b32 s21, 0
	v_mov_b32_e32 v1, 0
	v_cmp_lt_i32_e32 vcc, v16, v17
	v_add_u32_e32 v30, v18, v5
	v_add_u32_e32 v31, v20, v7
	;; [unrolled: 1-line block ×6, first 2 shown]
	v_cmp_lt_i32_e64 s[0:1], v42, v36
	v_cmp_lt_i32_e64 s[2:3], v43, v37
	;; [unrolled: 1-line block ×6, first 2 shown]
	s_mov_b32 s22, 0xc0c0001
	s_movk_i32 s23, 0x100
	s_waitcnt vmcnt(0)
	v_lshlrev_b16_e32 v49, 8, v49
	v_or_b32_e32 v48, v48, v49
	v_and_b32_e32 v51, 0xffff, v48
	v_add_u32_e32 v48, 0x80, v3
	s_branch .LBB92_2
.LBB92_1:                               ;   in Loop: Header=BB92_2 Depth=1
	s_or_b64 exec, exec, s[14:15]
	v_cmp_ge_i32_e64 s[14:15], v55, v2
	s_waitcnt lgkmcnt(0)
	v_cmp_lt_u16_sdwa s[16:17], v53, v54 src0_sel:BYTE_0 src1_sel:BYTE_0
	v_cndmask_b32_e64 v49, v50, v52, s[12:13]
	v_cmp_gt_i32_e64 s[12:13], s23, v51
	s_or_b64 s[14:15], s[14:15], s[16:17]
	s_and_b64 s[12:13], s[12:13], s[14:15]
	v_cndmask_b32_e64 v50, v54, v53, s[12:13]
	v_lshlrev_b16_e32 v51, 8, v50
	v_or_b32_sdwa v51, v49, v51 dst_sel:DWORD dst_unused:UNUSED_PAD src0_sel:BYTE_0 src1_sel:DWORD
	s_add_i32 s21, s21, 1
	s_cmp_eq_u32 s21, 10
	v_and_b32_e32 v51, 0xffff, v51
	s_cbranch_scc1 .LBB92_58
.LBB92_2:                               ; =>This Loop Header: Depth=1
                                        ;     Child Loop BB92_4 Depth 2
                                        ;     Child Loop BB92_12 Depth 2
	;; [unrolled: 1-line block ×7, first 2 shown]
	v_perm_b32 v49, 0, v51, s22
	v_cmp_lt_u16_sdwa s[12:13], v51, v51 src0_sel:BYTE_1 src1_sel:BYTE_0
	s_barrier
	s_nop 0
	v_cndmask_b32_e64 v49, v51, v49, s[12:13]
	ds_write_b8 v3, v49
	v_lshrrev_b16_e32 v49, 8, v49
	v_mov_b32_e32 v50, v42
	ds_write_b8 v3, v49 offset:1
	s_waitcnt lgkmcnt(0)
	s_barrier
	s_and_saveexec_b64 s[14:15], s[0:1]
	s_cbranch_execz .LBB92_6
; %bb.3:                                ;   in Loop: Header=BB92_2 Depth=1
	s_mov_b64 s[16:17], 0
	v_mov_b32_e32 v50, v42
	v_mov_b32_e32 v49, v36
.LBB92_4:                               ;   Parent Loop BB92_2 Depth=1
                                        ; =>  This Inner Loop Header: Depth=2
	v_sub_u32_e32 v51, v49, v50
	v_lshrrev_b32_e32 v52, 31, v51
	v_add_u32_e32 v51, v51, v52
	v_ashrrev_i32_e32 v51, 1, v51
	v_add_u32_e32 v51, v51, v50
	v_not_b32_e32 v53, v51
	v_add_u32_e32 v52, v4, v51
	v_add3_u32 v53, v5, v53, v18
	ds_read_u8 v52, v52
	ds_read_u8 v53, v53
	v_add_u32_e32 v54, 1, v51
	s_waitcnt lgkmcnt(0)
	v_cmp_lt_u16_e64 s[12:13], v53, v52
	s_nop 1
	v_cndmask_b32_e64 v49, v49, v51, s[12:13]
	v_cndmask_b32_e64 v50, v54, v50, s[12:13]
	v_cmp_ge_i32_e64 s[12:13], v50, v49
	s_or_b64 s[16:17], s[12:13], s[16:17]
	s_andn2_b64 exec, exec, s[16:17]
	s_cbranch_execnz .LBB92_4
; %bb.5:                                ;   in Loop: Header=BB92_2 Depth=1
	s_or_b64 exec, exec, s[16:17]
.LBB92_6:                               ;   in Loop: Header=BB92_2 Depth=1
	s_or_b64 exec, exec, s[14:15]
	v_add_u32_e32 v49, v50, v4
	v_sub_u32_e32 v50, v30, v50
	ds_read_u8 v51, v49
	ds_read_u8 v52, v50
	v_cmp_le_i32_e64 s[14:15], v18, v49
	v_cmp_gt_i32_e64 s[12:13], v19, v50
                                        ; implicit-def: $vgpr53
                                        ; implicit-def: $vgpr54
	s_waitcnt lgkmcnt(0)
	v_cmp_lt_u16_sdwa s[16:17], v52, v51 src0_sel:BYTE_0 src1_sel:BYTE_0
	s_or_b64 s[14:15], s[14:15], s[16:17]
	s_and_b64 s[12:13], s[12:13], s[14:15]
	s_xor_b64 s[14:15], s[12:13], -1
	s_and_saveexec_b64 s[16:17], s[14:15]
	s_xor_b64 s[14:15], exec, s[16:17]
	s_cbranch_execz .LBB92_8
; %bb.7:                                ;   in Loop: Header=BB92_2 Depth=1
	ds_read_u8 v54, v49 offset:1
	v_mov_b32_e32 v53, v52
.LBB92_8:                               ;   in Loop: Header=BB92_2 Depth=1
	s_andn2_saveexec_b64 s[14:15], s[14:15]
	s_cbranch_execz .LBB92_10
; %bb.9:                                ;   in Loop: Header=BB92_2 Depth=1
	ds_read_u8 v53, v50 offset:1
	s_waitcnt lgkmcnt(1)
	v_mov_b32_e32 v54, v51
.LBB92_10:                              ;   in Loop: Header=BB92_2 Depth=1
	s_or_b64 exec, exec, s[14:15]
	v_add_u32_e32 v55, 1, v49
	v_cndmask_b32_e64 v51, v51, v52, s[12:13]
	v_add_u32_e32 v52, 1, v50
	v_cndmask_b32_e64 v49, v55, v49, s[12:13]
	v_cndmask_b32_e64 v50, v50, v52, s[12:13]
	v_cmp_ge_i32_e64 s[14:15], v49, v18
	s_waitcnt lgkmcnt(0)
	v_cmp_lt_u16_sdwa s[16:17], v53, v54 src0_sel:BYTE_0 src1_sel:BYTE_0
	v_cmp_lt_i32_e64 s[12:13], v50, v19
	s_or_b64 s[14:15], s[14:15], s[16:17]
	s_and_b64 s[12:13], s[12:13], s[14:15]
	v_cndmask_b32_e64 v49, v54, v53, s[12:13]
	s_barrier
	ds_write_b8 v3, v51
	ds_write_b8 v3, v49 offset:1
	v_mov_b32_e32 v49, v43
	s_waitcnt lgkmcnt(0)
	s_barrier
	s_and_saveexec_b64 s[14:15], s[2:3]
	s_cbranch_execz .LBB92_14
; %bb.11:                               ;   in Loop: Header=BB92_2 Depth=1
	s_mov_b64 s[16:17], 0
	v_mov_b32_e32 v49, v43
	v_mov_b32_e32 v50, v37
.LBB92_12:                              ;   Parent Loop BB92_2 Depth=1
                                        ; =>  This Inner Loop Header: Depth=2
	v_sub_u32_e32 v51, v50, v49
	v_lshrrev_b32_e32 v52, 31, v51
	v_add_u32_e32 v51, v51, v52
	v_ashrrev_i32_e32 v51, 1, v51
	v_add_u32_e32 v51, v51, v49
	v_not_b32_e32 v53, v51
	v_add_u32_e32 v52, v6, v51
	v_add3_u32 v53, v7, v53, v20
	ds_read_u8 v52, v52
	ds_read_u8 v53, v53
	v_add_u32_e32 v54, 1, v51
	s_waitcnt lgkmcnt(0)
	v_cmp_lt_u16_e64 s[12:13], v53, v52
	s_nop 1
	v_cndmask_b32_e64 v50, v50, v51, s[12:13]
	v_cndmask_b32_e64 v49, v54, v49, s[12:13]
	v_cmp_ge_i32_e64 s[12:13], v49, v50
	s_or_b64 s[16:17], s[12:13], s[16:17]
	s_andn2_b64 exec, exec, s[16:17]
	s_cbranch_execnz .LBB92_12
; %bb.13:                               ;   in Loop: Header=BB92_2 Depth=1
	s_or_b64 exec, exec, s[16:17]
.LBB92_14:                              ;   in Loop: Header=BB92_2 Depth=1
	s_or_b64 exec, exec, s[14:15]
	v_add_u32_e32 v50, v49, v6
	v_sub_u32_e32 v49, v31, v49
	ds_read_u8 v51, v50
	ds_read_u8 v52, v49
	v_cmp_le_i32_e64 s[14:15], v20, v50
	v_cmp_gt_i32_e64 s[12:13], v21, v49
                                        ; implicit-def: $vgpr53
                                        ; implicit-def: $vgpr54
	s_waitcnt lgkmcnt(0)
	v_cmp_lt_u16_sdwa s[16:17], v52, v51 src0_sel:BYTE_0 src1_sel:BYTE_0
	s_or_b64 s[14:15], s[14:15], s[16:17]
	s_and_b64 s[12:13], s[12:13], s[14:15]
	s_xor_b64 s[14:15], s[12:13], -1
	s_and_saveexec_b64 s[16:17], s[14:15]
	s_xor_b64 s[14:15], exec, s[16:17]
	s_cbranch_execz .LBB92_16
; %bb.15:                               ;   in Loop: Header=BB92_2 Depth=1
	ds_read_u8 v54, v50 offset:1
	v_mov_b32_e32 v53, v52
.LBB92_16:                              ;   in Loop: Header=BB92_2 Depth=1
	s_andn2_saveexec_b64 s[14:15], s[14:15]
	s_cbranch_execz .LBB92_18
; %bb.17:                               ;   in Loop: Header=BB92_2 Depth=1
	ds_read_u8 v53, v49 offset:1
	s_waitcnt lgkmcnt(1)
	v_mov_b32_e32 v54, v51
.LBB92_18:                              ;   in Loop: Header=BB92_2 Depth=1
	s_or_b64 exec, exec, s[14:15]
	v_add_u32_e32 v55, 1, v50
	v_cndmask_b32_e64 v51, v51, v52, s[12:13]
	v_add_u32_e32 v52, 1, v49
	v_cndmask_b32_e64 v50, v55, v50, s[12:13]
	v_cndmask_b32_e64 v49, v49, v52, s[12:13]
	v_cmp_ge_i32_e64 s[14:15], v50, v20
	s_waitcnt lgkmcnt(0)
	v_cmp_lt_u16_sdwa s[16:17], v53, v54 src0_sel:BYTE_0 src1_sel:BYTE_0
	v_cmp_lt_i32_e64 s[12:13], v49, v21
	s_or_b64 s[14:15], s[14:15], s[16:17]
	s_and_b64 s[12:13], s[12:13], s[14:15]
	v_cndmask_b32_e64 v49, v54, v53, s[12:13]
	s_barrier
	ds_write_b8 v3, v51
	ds_write_b8 v3, v49 offset:1
	v_mov_b32_e32 v49, v44
	s_waitcnt lgkmcnt(0)
	s_barrier
	s_and_saveexec_b64 s[14:15], s[4:5]
	s_cbranch_execz .LBB92_22
; %bb.19:                               ;   in Loop: Header=BB92_2 Depth=1
	s_mov_b64 s[16:17], 0
	v_mov_b32_e32 v49, v44
	v_mov_b32_e32 v50, v38
.LBB92_20:                              ;   Parent Loop BB92_2 Depth=1
                                        ; =>  This Inner Loop Header: Depth=2
	v_sub_u32_e32 v51, v50, v49
	v_lshrrev_b32_e32 v52, 31, v51
	v_add_u32_e32 v51, v51, v52
	v_ashrrev_i32_e32 v51, 1, v51
	v_add_u32_e32 v51, v51, v49
	v_not_b32_e32 v53, v51
	v_add_u32_e32 v52, v8, v51
	v_add3_u32 v53, v9, v53, v22
	ds_read_u8 v52, v52
	ds_read_u8 v53, v53
	v_add_u32_e32 v54, 1, v51
	s_waitcnt lgkmcnt(0)
	v_cmp_lt_u16_e64 s[12:13], v53, v52
	s_nop 1
	v_cndmask_b32_e64 v50, v50, v51, s[12:13]
	v_cndmask_b32_e64 v49, v54, v49, s[12:13]
	v_cmp_ge_i32_e64 s[12:13], v49, v50
	s_or_b64 s[16:17], s[12:13], s[16:17]
	s_andn2_b64 exec, exec, s[16:17]
	s_cbranch_execnz .LBB92_20
; %bb.21:                               ;   in Loop: Header=BB92_2 Depth=1
	s_or_b64 exec, exec, s[16:17]
.LBB92_22:                              ;   in Loop: Header=BB92_2 Depth=1
	s_or_b64 exec, exec, s[14:15]
	v_add_u32_e32 v50, v49, v8
	v_sub_u32_e32 v49, v32, v49
	ds_read_u8 v51, v50
	ds_read_u8 v52, v49
	v_cmp_le_i32_e64 s[14:15], v22, v50
	v_cmp_gt_i32_e64 s[12:13], v23, v49
                                        ; implicit-def: $vgpr53
                                        ; implicit-def: $vgpr54
	s_waitcnt lgkmcnt(0)
	v_cmp_lt_u16_sdwa s[16:17], v52, v51 src0_sel:BYTE_0 src1_sel:BYTE_0
	s_or_b64 s[14:15], s[14:15], s[16:17]
	s_and_b64 s[12:13], s[12:13], s[14:15]
	s_xor_b64 s[14:15], s[12:13], -1
	s_and_saveexec_b64 s[16:17], s[14:15]
	s_xor_b64 s[14:15], exec, s[16:17]
	s_cbranch_execz .LBB92_24
; %bb.23:                               ;   in Loop: Header=BB92_2 Depth=1
	ds_read_u8 v54, v50 offset:1
	v_mov_b32_e32 v53, v52
.LBB92_24:                              ;   in Loop: Header=BB92_2 Depth=1
	s_andn2_saveexec_b64 s[14:15], s[14:15]
	s_cbranch_execz .LBB92_26
; %bb.25:                               ;   in Loop: Header=BB92_2 Depth=1
	ds_read_u8 v53, v49 offset:1
	s_waitcnt lgkmcnt(1)
	v_mov_b32_e32 v54, v51
.LBB92_26:                              ;   in Loop: Header=BB92_2 Depth=1
	s_or_b64 exec, exec, s[14:15]
	v_add_u32_e32 v55, 1, v50
	v_cndmask_b32_e64 v51, v51, v52, s[12:13]
	v_add_u32_e32 v52, 1, v49
	v_cndmask_b32_e64 v50, v55, v50, s[12:13]
	v_cndmask_b32_e64 v49, v49, v52, s[12:13]
	v_cmp_ge_i32_e64 s[14:15], v50, v22
	s_waitcnt lgkmcnt(0)
	v_cmp_lt_u16_sdwa s[16:17], v53, v54 src0_sel:BYTE_0 src1_sel:BYTE_0
	v_cmp_lt_i32_e64 s[12:13], v49, v23
	s_or_b64 s[14:15], s[14:15], s[16:17]
	s_and_b64 s[12:13], s[12:13], s[14:15]
	v_cndmask_b32_e64 v49, v54, v53, s[12:13]
	s_barrier
	ds_write_b8 v3, v51
	ds_write_b8 v3, v49 offset:1
	v_mov_b32_e32 v49, v45
	s_waitcnt lgkmcnt(0)
	s_barrier
	s_and_saveexec_b64 s[14:15], s[6:7]
	s_cbranch_execz .LBB92_30
; %bb.27:                               ;   in Loop: Header=BB92_2 Depth=1
	s_mov_b64 s[16:17], 0
	v_mov_b32_e32 v49, v45
	v_mov_b32_e32 v50, v39
.LBB92_28:                              ;   Parent Loop BB92_2 Depth=1
                                        ; =>  This Inner Loop Header: Depth=2
	v_sub_u32_e32 v51, v50, v49
	v_lshrrev_b32_e32 v52, 31, v51
	v_add_u32_e32 v51, v51, v52
	v_ashrrev_i32_e32 v51, 1, v51
	v_add_u32_e32 v51, v51, v49
	v_not_b32_e32 v53, v51
	v_add_u32_e32 v52, v10, v51
	v_add3_u32 v53, v11, v53, v24
	ds_read_u8 v52, v52
	ds_read_u8 v53, v53
	v_add_u32_e32 v54, 1, v51
	s_waitcnt lgkmcnt(0)
	v_cmp_lt_u16_e64 s[12:13], v53, v52
	s_nop 1
	v_cndmask_b32_e64 v50, v50, v51, s[12:13]
	v_cndmask_b32_e64 v49, v54, v49, s[12:13]
	v_cmp_ge_i32_e64 s[12:13], v49, v50
	s_or_b64 s[16:17], s[12:13], s[16:17]
	s_andn2_b64 exec, exec, s[16:17]
	s_cbranch_execnz .LBB92_28
; %bb.29:                               ;   in Loop: Header=BB92_2 Depth=1
	s_or_b64 exec, exec, s[16:17]
.LBB92_30:                              ;   in Loop: Header=BB92_2 Depth=1
	s_or_b64 exec, exec, s[14:15]
	v_add_u32_e32 v50, v49, v10
	v_sub_u32_e32 v49, v33, v49
	ds_read_u8 v51, v50
	ds_read_u8 v52, v49
	v_cmp_le_i32_e64 s[14:15], v24, v50
	v_cmp_gt_i32_e64 s[12:13], v25, v49
                                        ; implicit-def: $vgpr53
                                        ; implicit-def: $vgpr54
	s_waitcnt lgkmcnt(0)
	v_cmp_lt_u16_sdwa s[16:17], v52, v51 src0_sel:BYTE_0 src1_sel:BYTE_0
	s_or_b64 s[14:15], s[14:15], s[16:17]
	s_and_b64 s[12:13], s[12:13], s[14:15]
	s_xor_b64 s[14:15], s[12:13], -1
	s_and_saveexec_b64 s[16:17], s[14:15]
	s_xor_b64 s[14:15], exec, s[16:17]
	s_cbranch_execz .LBB92_32
; %bb.31:                               ;   in Loop: Header=BB92_2 Depth=1
	ds_read_u8 v54, v50 offset:1
	v_mov_b32_e32 v53, v52
.LBB92_32:                              ;   in Loop: Header=BB92_2 Depth=1
	s_andn2_saveexec_b64 s[14:15], s[14:15]
	s_cbranch_execz .LBB92_34
; %bb.33:                               ;   in Loop: Header=BB92_2 Depth=1
	ds_read_u8 v53, v49 offset:1
	s_waitcnt lgkmcnt(1)
	v_mov_b32_e32 v54, v51
.LBB92_34:                              ;   in Loop: Header=BB92_2 Depth=1
	s_or_b64 exec, exec, s[14:15]
	v_add_u32_e32 v55, 1, v50
	v_cndmask_b32_e64 v51, v51, v52, s[12:13]
	v_add_u32_e32 v52, 1, v49
	v_cndmask_b32_e64 v50, v55, v50, s[12:13]
	v_cndmask_b32_e64 v49, v49, v52, s[12:13]
	v_cmp_ge_i32_e64 s[14:15], v50, v24
	s_waitcnt lgkmcnt(0)
	v_cmp_lt_u16_sdwa s[16:17], v53, v54 src0_sel:BYTE_0 src1_sel:BYTE_0
	v_cmp_lt_i32_e64 s[12:13], v49, v25
	s_or_b64 s[14:15], s[14:15], s[16:17]
	s_and_b64 s[12:13], s[12:13], s[14:15]
	v_cndmask_b32_e64 v49, v54, v53, s[12:13]
	s_barrier
	ds_write_b8 v3, v51
	ds_write_b8 v3, v49 offset:1
	v_mov_b32_e32 v49, v46
	s_waitcnt lgkmcnt(0)
	s_barrier
	s_and_saveexec_b64 s[14:15], s[8:9]
	s_cbranch_execz .LBB92_38
; %bb.35:                               ;   in Loop: Header=BB92_2 Depth=1
	s_mov_b64 s[16:17], 0
	v_mov_b32_e32 v49, v46
	v_mov_b32_e32 v50, v40
.LBB92_36:                              ;   Parent Loop BB92_2 Depth=1
                                        ; =>  This Inner Loop Header: Depth=2
	v_sub_u32_e32 v51, v50, v49
	v_lshrrev_b32_e32 v52, 31, v51
	v_add_u32_e32 v51, v51, v52
	v_ashrrev_i32_e32 v51, 1, v51
	v_add_u32_e32 v51, v51, v49
	v_not_b32_e32 v53, v51
	v_add_u32_e32 v52, v12, v51
	v_add3_u32 v53, v13, v53, v26
	ds_read_u8 v52, v52
	ds_read_u8 v53, v53
	v_add_u32_e32 v54, 1, v51
	s_waitcnt lgkmcnt(0)
	v_cmp_lt_u16_e64 s[12:13], v53, v52
	s_nop 1
	v_cndmask_b32_e64 v50, v50, v51, s[12:13]
	v_cndmask_b32_e64 v49, v54, v49, s[12:13]
	v_cmp_ge_i32_e64 s[12:13], v49, v50
	s_or_b64 s[16:17], s[12:13], s[16:17]
	s_andn2_b64 exec, exec, s[16:17]
	s_cbranch_execnz .LBB92_36
; %bb.37:                               ;   in Loop: Header=BB92_2 Depth=1
	s_or_b64 exec, exec, s[16:17]
.LBB92_38:                              ;   in Loop: Header=BB92_2 Depth=1
	s_or_b64 exec, exec, s[14:15]
	v_add_u32_e32 v50, v49, v12
	v_sub_u32_e32 v49, v34, v49
	ds_read_u8 v51, v50
	ds_read_u8 v52, v49
	v_cmp_le_i32_e64 s[14:15], v26, v50
	v_cmp_gt_i32_e64 s[12:13], v27, v49
                                        ; implicit-def: $vgpr53
                                        ; implicit-def: $vgpr54
	s_waitcnt lgkmcnt(0)
	v_cmp_lt_u16_sdwa s[16:17], v52, v51 src0_sel:BYTE_0 src1_sel:BYTE_0
	s_or_b64 s[14:15], s[14:15], s[16:17]
	s_and_b64 s[12:13], s[12:13], s[14:15]
	s_xor_b64 s[14:15], s[12:13], -1
	s_and_saveexec_b64 s[16:17], s[14:15]
	s_xor_b64 s[14:15], exec, s[16:17]
	s_cbranch_execz .LBB92_40
; %bb.39:                               ;   in Loop: Header=BB92_2 Depth=1
	ds_read_u8 v54, v50 offset:1
	v_mov_b32_e32 v53, v52
.LBB92_40:                              ;   in Loop: Header=BB92_2 Depth=1
	s_andn2_saveexec_b64 s[14:15], s[14:15]
	s_cbranch_execz .LBB92_42
; %bb.41:                               ;   in Loop: Header=BB92_2 Depth=1
	ds_read_u8 v53, v49 offset:1
	s_waitcnt lgkmcnt(1)
	v_mov_b32_e32 v54, v51
.LBB92_42:                              ;   in Loop: Header=BB92_2 Depth=1
	s_or_b64 exec, exec, s[14:15]
	v_add_u32_e32 v55, 1, v50
	v_cndmask_b32_e64 v51, v51, v52, s[12:13]
	v_add_u32_e32 v52, 1, v49
	v_cndmask_b32_e64 v50, v55, v50, s[12:13]
	v_cndmask_b32_e64 v49, v49, v52, s[12:13]
	v_cmp_ge_i32_e64 s[14:15], v50, v26
	s_waitcnt lgkmcnt(0)
	v_cmp_lt_u16_sdwa s[16:17], v53, v54 src0_sel:BYTE_0 src1_sel:BYTE_0
	v_cmp_lt_i32_e64 s[12:13], v49, v27
	s_or_b64 s[14:15], s[14:15], s[16:17]
	s_and_b64 s[12:13], s[12:13], s[14:15]
	v_cndmask_b32_e64 v49, v54, v53, s[12:13]
	s_barrier
	ds_write_b8 v3, v51
	ds_write_b8 v3, v49 offset:1
	v_mov_b32_e32 v49, v47
	s_waitcnt lgkmcnt(0)
	s_barrier
	s_and_saveexec_b64 s[14:15], s[10:11]
	s_cbranch_execz .LBB92_46
; %bb.43:                               ;   in Loop: Header=BB92_2 Depth=1
	s_mov_b64 s[16:17], 0
	v_mov_b32_e32 v49, v47
	v_mov_b32_e32 v50, v41
.LBB92_44:                              ;   Parent Loop BB92_2 Depth=1
                                        ; =>  This Inner Loop Header: Depth=2
	v_sub_u32_e32 v51, v50, v49
	v_lshrrev_b32_e32 v52, 31, v51
	v_add_u32_e32 v51, v51, v52
	v_ashrrev_i32_e32 v51, 1, v51
	v_add_u32_e32 v51, v51, v49
	v_not_b32_e32 v53, v51
	v_add_u32_e32 v52, v14, v51
	v_add3_u32 v53, v15, v53, v28
	ds_read_u8 v52, v52
	ds_read_u8 v53, v53
	v_add_u32_e32 v54, 1, v51
	s_waitcnt lgkmcnt(0)
	v_cmp_lt_u16_e64 s[12:13], v53, v52
	s_nop 1
	v_cndmask_b32_e64 v50, v50, v51, s[12:13]
	v_cndmask_b32_e64 v49, v54, v49, s[12:13]
	v_cmp_ge_i32_e64 s[12:13], v49, v50
	s_or_b64 s[16:17], s[12:13], s[16:17]
	s_andn2_b64 exec, exec, s[16:17]
	s_cbranch_execnz .LBB92_44
; %bb.45:                               ;   in Loop: Header=BB92_2 Depth=1
	s_or_b64 exec, exec, s[16:17]
.LBB92_46:                              ;   in Loop: Header=BB92_2 Depth=1
	s_or_b64 exec, exec, s[14:15]
	v_add_u32_e32 v50, v49, v14
	v_sub_u32_e32 v49, v35, v49
	ds_read_u8 v51, v50
	ds_read_u8 v52, v49
	v_cmp_le_i32_e64 s[14:15], v28, v50
	v_cmp_gt_i32_e64 s[12:13], v29, v49
                                        ; implicit-def: $vgpr53
                                        ; implicit-def: $vgpr54
	s_waitcnt lgkmcnt(0)
	v_cmp_lt_u16_sdwa s[16:17], v52, v51 src0_sel:BYTE_0 src1_sel:BYTE_0
	s_or_b64 s[14:15], s[14:15], s[16:17]
	s_and_b64 s[12:13], s[12:13], s[14:15]
	s_xor_b64 s[14:15], s[12:13], -1
	s_and_saveexec_b64 s[16:17], s[14:15]
	s_xor_b64 s[14:15], exec, s[16:17]
	s_cbranch_execz .LBB92_48
; %bb.47:                               ;   in Loop: Header=BB92_2 Depth=1
	ds_read_u8 v54, v50 offset:1
	v_mov_b32_e32 v53, v52
.LBB92_48:                              ;   in Loop: Header=BB92_2 Depth=1
	s_andn2_saveexec_b64 s[14:15], s[14:15]
	s_cbranch_execz .LBB92_50
; %bb.49:                               ;   in Loop: Header=BB92_2 Depth=1
	ds_read_u8 v53, v49 offset:1
	s_waitcnt lgkmcnt(1)
	v_mov_b32_e32 v54, v51
.LBB92_50:                              ;   in Loop: Header=BB92_2 Depth=1
	s_or_b64 exec, exec, s[14:15]
	v_add_u32_e32 v55, 1, v50
	v_cndmask_b32_e64 v51, v51, v52, s[12:13]
	v_add_u32_e32 v52, 1, v49
	v_cndmask_b32_e64 v50, v55, v50, s[12:13]
	v_cndmask_b32_e64 v49, v49, v52, s[12:13]
	v_cmp_ge_i32_e64 s[14:15], v50, v28
	s_waitcnt lgkmcnt(0)
	v_cmp_lt_u16_sdwa s[16:17], v53, v54 src0_sel:BYTE_0 src1_sel:BYTE_0
	v_cmp_lt_i32_e64 s[12:13], v49, v29
	s_or_b64 s[14:15], s[14:15], s[16:17]
	s_and_b64 s[12:13], s[12:13], s[14:15]
	v_cndmask_b32_e64 v49, v54, v53, s[12:13]
	s_barrier
	ds_write_b8 v3, v51
	ds_write_b8 v3, v49 offset:1
	v_mov_b32_e32 v49, v16
	s_waitcnt lgkmcnt(0)
	s_barrier
	s_and_saveexec_b64 s[14:15], vcc
	s_cbranch_execz .LBB92_54
; %bb.51:                               ;   in Loop: Header=BB92_2 Depth=1
	s_mov_b64 s[16:17], 0
	v_mov_b32_e32 v49, v16
	v_mov_b32_e32 v50, v17
.LBB92_52:                              ;   Parent Loop BB92_2 Depth=1
                                        ; =>  This Inner Loop Header: Depth=2
	v_sub_u32_e32 v51, v50, v49
	v_lshrrev_b32_e32 v52, 31, v51
	v_add_u32_e32 v51, v51, v52
	v_ashrrev_i32_e32 v51, 1, v51
	v_add_u32_e32 v51, v51, v49
	v_not_b32_e32 v52, v51
	v_add3_u32 v52, v3, v52, v2
	ds_read_u8 v53, v51
	ds_read_u8 v52, v52
	v_add_u32_e32 v54, 1, v51
	s_waitcnt lgkmcnt(0)
	v_cmp_lt_u16_e64 s[12:13], v52, v53
	s_nop 1
	v_cndmask_b32_e64 v50, v50, v51, s[12:13]
	v_cndmask_b32_e64 v49, v54, v49, s[12:13]
	v_cmp_ge_i32_e64 s[12:13], v49, v50
	s_or_b64 s[16:17], s[12:13], s[16:17]
	s_andn2_b64 exec, exec, s[16:17]
	s_cbranch_execnz .LBB92_52
; %bb.53:                               ;   in Loop: Header=BB92_2 Depth=1
	s_or_b64 exec, exec, s[16:17]
.LBB92_54:                              ;   in Loop: Header=BB92_2 Depth=1
	s_or_b64 exec, exec, s[14:15]
	v_sub_u32_e32 v51, v48, v49
	ds_read_u8 v50, v49
	ds_read_u8 v52, v51
	v_cmp_le_i32_e64 s[14:15], v2, v49
	v_cmp_gt_i32_e64 s[12:13], s23, v51
                                        ; implicit-def: $vgpr53
                                        ; implicit-def: $vgpr54
                                        ; implicit-def: $vgpr55
	s_waitcnt lgkmcnt(0)
	v_cmp_lt_u16_sdwa s[16:17], v52, v50 src0_sel:BYTE_0 src1_sel:BYTE_0
	s_or_b64 s[14:15], s[14:15], s[16:17]
	s_and_b64 s[12:13], s[12:13], s[14:15]
	s_xor_b64 s[14:15], s[12:13], -1
	s_and_saveexec_b64 s[16:17], s[14:15]
	s_xor_b64 s[14:15], exec, s[16:17]
	s_cbranch_execz .LBB92_56
; %bb.55:                               ;   in Loop: Header=BB92_2 Depth=1
	ds_read_u8 v54, v49 offset:1
	v_add_u32_e32 v55, 1, v49
	v_mov_b32_e32 v53, v52
                                        ; implicit-def: $vgpr49
.LBB92_56:                              ;   in Loop: Header=BB92_2 Depth=1
	s_andn2_saveexec_b64 s[14:15], s[14:15]
	s_cbranch_execz .LBB92_1
; %bb.57:                               ;   in Loop: Header=BB92_2 Depth=1
	ds_read_u8 v53, v51 offset:1
	v_add_u32_e32 v51, 1, v51
	v_mov_b32_e32 v55, v49
	s_waitcnt lgkmcnt(1)
	v_mov_b32_e32 v54, v50
	s_branch .LBB92_1
.LBB92_58:
	s_add_u32 s0, s18, s20
	s_addc_u32 s1, s19, 0
	v_lshl_add_u64 v[0:1], s[0:1], 0, v[0:1]
	global_store_byte v[0:1], v49, off
	global_store_byte v[0:1], v50, off offset:128
	s_endpgm
	.section	.rodata,"a",@progbits
	.p2align	6, 0x0
	.amdhsa_kernel _Z16sort_keys_kernelIhLj128ELj2EN10test_utils4lessELj10EEvPKT_PS2_T2_
		.amdhsa_group_segment_fixed_size 257
		.amdhsa_private_segment_fixed_size 0
		.amdhsa_kernarg_size 20
		.amdhsa_user_sgpr_count 2
		.amdhsa_user_sgpr_dispatch_ptr 0
		.amdhsa_user_sgpr_queue_ptr 0
		.amdhsa_user_sgpr_kernarg_segment_ptr 1
		.amdhsa_user_sgpr_dispatch_id 0
		.amdhsa_user_sgpr_kernarg_preload_length 0
		.amdhsa_user_sgpr_kernarg_preload_offset 0
		.amdhsa_user_sgpr_private_segment_size 0
		.amdhsa_uses_dynamic_stack 0
		.amdhsa_enable_private_segment 0
		.amdhsa_system_sgpr_workgroup_id_x 1
		.amdhsa_system_sgpr_workgroup_id_y 0
		.amdhsa_system_sgpr_workgroup_id_z 0
		.amdhsa_system_sgpr_workgroup_info 0
		.amdhsa_system_vgpr_workitem_id 0
		.amdhsa_next_free_vgpr 56
		.amdhsa_next_free_sgpr 24
		.amdhsa_accum_offset 56
		.amdhsa_reserve_vcc 1
		.amdhsa_float_round_mode_32 0
		.amdhsa_float_round_mode_16_64 0
		.amdhsa_float_denorm_mode_32 3
		.amdhsa_float_denorm_mode_16_64 3
		.amdhsa_dx10_clamp 1
		.amdhsa_ieee_mode 1
		.amdhsa_fp16_overflow 0
		.amdhsa_tg_split 0
		.amdhsa_exception_fp_ieee_invalid_op 0
		.amdhsa_exception_fp_denorm_src 0
		.amdhsa_exception_fp_ieee_div_zero 0
		.amdhsa_exception_fp_ieee_overflow 0
		.amdhsa_exception_fp_ieee_underflow 0
		.amdhsa_exception_fp_ieee_inexact 0
		.amdhsa_exception_int_div_zero 0
	.end_amdhsa_kernel
	.section	.text._Z16sort_keys_kernelIhLj128ELj2EN10test_utils4lessELj10EEvPKT_PS2_T2_,"axG",@progbits,_Z16sort_keys_kernelIhLj128ELj2EN10test_utils4lessELj10EEvPKT_PS2_T2_,comdat
.Lfunc_end92:
	.size	_Z16sort_keys_kernelIhLj128ELj2EN10test_utils4lessELj10EEvPKT_PS2_T2_, .Lfunc_end92-_Z16sort_keys_kernelIhLj128ELj2EN10test_utils4lessELj10EEvPKT_PS2_T2_
                                        ; -- End function
	.section	.AMDGPU.csdata,"",@progbits
; Kernel info:
; codeLenInByte = 3120
; NumSgprs: 30
; NumVgprs: 56
; NumAgprs: 0
; TotalNumVgprs: 56
; ScratchSize: 0
; MemoryBound: 0
; FloatMode: 240
; IeeeMode: 1
; LDSByteSize: 257 bytes/workgroup (compile time only)
; SGPRBlocks: 3
; VGPRBlocks: 6
; NumSGPRsForWavesPerEU: 30
; NumVGPRsForWavesPerEU: 56
; AccumOffset: 56
; Occupancy: 8
; WaveLimiterHint : 1
; COMPUTE_PGM_RSRC2:SCRATCH_EN: 0
; COMPUTE_PGM_RSRC2:USER_SGPR: 2
; COMPUTE_PGM_RSRC2:TRAP_HANDLER: 0
; COMPUTE_PGM_RSRC2:TGID_X_EN: 1
; COMPUTE_PGM_RSRC2:TGID_Y_EN: 0
; COMPUTE_PGM_RSRC2:TGID_Z_EN: 0
; COMPUTE_PGM_RSRC2:TIDIG_COMP_CNT: 0
; COMPUTE_PGM_RSRC3_GFX90A:ACCUM_OFFSET: 13
; COMPUTE_PGM_RSRC3_GFX90A:TG_SPLIT: 0
	.section	.text._Z17sort_pairs_kernelIhLj128ELj2EN10test_utils4lessELj10EEvPKT_PS2_T2_,"axG",@progbits,_Z17sort_pairs_kernelIhLj128ELj2EN10test_utils4lessELj10EEvPKT_PS2_T2_,comdat
	.protected	_Z17sort_pairs_kernelIhLj128ELj2EN10test_utils4lessELj10EEvPKT_PS2_T2_ ; -- Begin function _Z17sort_pairs_kernelIhLj128ELj2EN10test_utils4lessELj10EEvPKT_PS2_T2_
	.globl	_Z17sort_pairs_kernelIhLj128ELj2EN10test_utils4lessELj10EEvPKT_PS2_T2_
	.p2align	8
	.type	_Z17sort_pairs_kernelIhLj128ELj2EN10test_utils4lessELj10EEvPKT_PS2_T2_,@function
_Z17sort_pairs_kernelIhLj128ELj2EN10test_utils4lessELj10EEvPKT_PS2_T2_: ; @_Z17sort_pairs_kernelIhLj128ELj2EN10test_utils4lessELj10EEvPKT_PS2_T2_
; %bb.0:
	s_load_dwordx4 s[16:19], s[0:1], 0x0
	s_lshl_b32 s22, s2, 8
	v_lshlrev_b32_e32 v6, 1, v0
	v_and_b32_e32 v7, 0xfc, v6
	v_and_b32_e32 v9, 0xf8, v6
	s_waitcnt lgkmcnt(0)
	s_add_u32 s0, s16, s22
	s_addc_u32 s1, s17, 0
	global_load_ubyte v2, v0, s[0:1] offset:128
	global_load_ubyte v3, v0, s[0:1]
	v_or_b32_e32 v19, 2, v7
	v_add_u32_e32 v20, 4, v7
	v_and_b32_e32 v8, 2, v6
	v_and_b32_e32 v11, 0xf0, v6
	v_or_b32_e32 v21, 4, v9
	v_add_u32_e32 v22, 8, v9
	v_sub_u32_e32 v42, v20, v19
	v_and_b32_e32 v10, 6, v6
	v_and_b32_e32 v13, 0xe0, v6
	v_or_b32_e32 v23, 8, v11
	v_add_u32_e32 v24, 16, v11
	v_sub_u32_e32 v4, v19, v7
	v_sub_u32_e32 v43, v22, v21
	;; [unrolled: 1-line block ×3, first 2 shown]
	v_cmp_ge_i32_e32 vcc, v8, v42
	v_and_b32_e32 v12, 14, v6
	v_and_b32_e32 v15, 0xc0, v6
	v_or_b32_e32 v25, 16, v13
	v_add_u32_e32 v26, 32, v13
	v_sub_u32_e32 v44, v24, v23
	v_min_i32_e32 v36, v8, v4
	v_sub_u32_e32 v4, v10, v43
	v_cndmask_b32_e32 v42, 0, v48, vcc
	v_cmp_ge_i32_e32 vcc, v10, v43
	v_and_b32_e32 v14, 30, v6
	v_and_b32_e32 v17, 0x80, v6
	v_or_b32_e32 v27, 32, v15
	v_add_u32_e32 v28, 64, v15
	v_sub_u32_e32 v45, v26, v25
	v_sub_u32_e32 v49, v12, v44
	v_cndmask_b32_e32 v43, 0, v4, vcc
	v_cmp_ge_i32_e32 vcc, v12, v44
	v_and_b32_e32 v16, 62, v6
	v_or_b32_e32 v29, 64, v17
	v_add_u32_e32 v30, 0x80, v17
	v_sub_u32_e32 v46, v28, v27
	v_sub_u32_e32 v50, v14, v45
	v_cndmask_b32_e32 v44, 0, v49, vcc
	v_cmp_ge_i32_e32 vcc, v14, v45
	v_and_b32_e32 v18, 0x7e, v6
	v_sub_u32_e32 v47, v30, v29
	v_sub_u32_e32 v51, v16, v46
	v_cndmask_b32_e32 v45, 0, v50, vcc
	v_cmp_ge_i32_e32 vcc, v16, v46
	v_mov_b32_e32 v5, 0x80
	v_sub_u32_e32 v37, v21, v9
	v_sub_u32_e32 v38, v23, v11
	;; [unrolled: 1-line block ×6, first 2 shown]
	v_cndmask_b32_e32 v46, 0, v51, vcc
	v_cmp_ge_i32_e32 vcc, v18, v47
	v_min_i32_e32 v37, v10, v37
	v_min_i32_e32 v38, v12, v38
	;; [unrolled: 1-line block ×5, first 2 shown]
	v_cndmask_b32_e32 v47, 0, v52, vcc
	v_sub_u32_e64 v49, v6, v5 clamp
	v_min_i32_e32 v50, 0x80, v6
	s_mov_b32 s23, 0
	v_mov_b32_e32 v1, 0
	s_movk_i32 s24, 0x100
	v_add_u32_e32 v31, v19, v8
	v_add_u32_e32 v32, v21, v10
	;; [unrolled: 1-line block ×5, first 2 shown]
	v_cmp_lt_i32_e32 vcc, v42, v36
	v_cmp_lt_i32_e64 s[0:1], v43, v37
	v_cmp_lt_i32_e64 s[2:3], v44, v38
	;; [unrolled: 1-line block ×5, first 2 shown]
	v_add_u32_e32 v48, v29, v18
	v_cmp_lt_i32_e64 s[10:11], v49, v50
	v_add_u32_e32 v51, 0x80, v6
	s_waitcnt vmcnt(1)
	v_lshlrev_b16_e32 v2, 8, v2
	s_waitcnt vmcnt(0)
	v_add_u16_e32 v4, 1, v3
	v_or_b32_e32 v3, v3, v2
	v_or_b32_sdwa v2, v2, v4 dst_sel:DWORD dst_unused:UNUSED_PAD src0_sel:DWORD src1_sel:BYTE_0
	v_and_b32_e32 v4, 0xffff, v3
	v_add_u16_e32 v2, 0x100, v2
	s_mov_b32 s25, 0xc0c0001
	s_branch .LBB93_2
.LBB93_1:                               ;   in Loop: Header=BB93_2 Depth=1
	s_or_b64 exec, exec, s[14:15]
	v_cmp_ge_i32_e64 s[16:17], v56, v5
	s_waitcnt lgkmcnt(0)
	v_cmp_lt_u16_sdwa s[20:21], v57, v3 src0_sel:BYTE_0 src1_sel:BYTE_0
	v_cmp_gt_i32_e64 s[14:15], s24, v4
	s_or_b64 s[16:17], s[16:17], s[20:21]
	s_and_b64 s[14:15], s[14:15], s[16:17]
	v_cndmask_b32_e64 v4, v56, v4, s[14:15]
	s_barrier
	ds_write_b8 v6, v52
	ds_write_b8 v6, v53 offset:1
	s_waitcnt lgkmcnt(0)
	s_barrier
	ds_read_u8 v52, v2
	ds_read_u8 v53, v4
	v_cndmask_b32_e64 v3, v3, v57, s[14:15]
	v_cndmask_b32_e64 v54, v54, v55, s[12:13]
	v_lshlrev_b16_e32 v2, 8, v3
	v_or_b32_sdwa v2, v54, v2 dst_sel:DWORD dst_unused:UNUSED_PAD src0_sel:BYTE_0 src1_sel:DWORD
	v_and_b32_e32 v4, 0xffff, v2
	s_waitcnt lgkmcnt(0)
	v_lshlrev_b16_e32 v2, 8, v53
	v_or_b32_e32 v2, v52, v2
	s_add_i32 s23, s23, 1
	s_cmp_eq_u32 s23, 10
	v_and_b32_e32 v2, 0xffff, v2
	s_cbranch_scc1 .LBB93_58
.LBB93_2:                               ; =>This Loop Header: Depth=1
                                        ;     Child Loop BB93_4 Depth 2
                                        ;     Child Loop BB93_12 Depth 2
	;; [unrolled: 1-line block ×7, first 2 shown]
	v_perm_b32 v3, 0, v4, s25
	v_cmp_lt_u16_sdwa s[12:13], v4, v4 src0_sel:BYTE_1 src1_sel:BYTE_0
	s_barrier
	s_nop 0
	v_cndmask_b32_e64 v3, v4, v3, s[12:13]
	ds_write_b8 v6, v3
	v_lshrrev_b16_e32 v3, 8, v3
	v_mov_b32_e32 v4, v42
	ds_write_b8 v6, v3 offset:1
	s_waitcnt lgkmcnt(0)
	s_barrier
	s_and_saveexec_b64 s[16:17], vcc
	s_cbranch_execz .LBB93_6
; %bb.3:                                ;   in Loop: Header=BB93_2 Depth=1
	s_mov_b64 s[20:21], 0
	v_mov_b32_e32 v4, v42
	v_mov_b32_e32 v3, v36
.LBB93_4:                               ;   Parent Loop BB93_2 Depth=1
                                        ; =>  This Inner Loop Header: Depth=2
	v_sub_u32_e32 v52, v3, v4
	v_lshrrev_b32_e32 v53, 31, v52
	v_add_u32_e32 v52, v52, v53
	v_ashrrev_i32_e32 v52, 1, v52
	v_add_u32_e32 v52, v52, v4
	v_not_b32_e32 v54, v52
	v_add_u32_e32 v53, v7, v52
	v_add3_u32 v54, v8, v54, v19
	ds_read_u8 v53, v53
	ds_read_u8 v54, v54
	v_add_u32_e32 v55, 1, v52
	s_waitcnt lgkmcnt(0)
	v_cmp_lt_u16_e64 s[14:15], v54, v53
	s_nop 1
	v_cndmask_b32_e64 v3, v3, v52, s[14:15]
	v_cndmask_b32_e64 v4, v55, v4, s[14:15]
	v_cmp_ge_i32_e64 s[14:15], v4, v3
	s_or_b64 s[20:21], s[14:15], s[20:21]
	s_andn2_b64 exec, exec, s[20:21]
	s_cbranch_execnz .LBB93_4
; %bb.5:                                ;   in Loop: Header=BB93_2 Depth=1
	s_or_b64 exec, exec, s[20:21]
.LBB93_6:                               ;   in Loop: Header=BB93_2 Depth=1
	s_or_b64 exec, exec, s[16:17]
	v_add_u32_e32 v3, v4, v7
	v_sub_u32_e32 v4, v31, v4
	ds_read_u8 v52, v3
	ds_read_u8 v53, v4
	v_cmp_le_i32_e64 s[16:17], v19, v3
	v_cmp_gt_i32_e64 s[14:15], v20, v4
                                        ; implicit-def: $vgpr54
                                        ; implicit-def: $vgpr55
	s_waitcnt lgkmcnt(0)
	v_cmp_lt_u16_sdwa s[20:21], v53, v52 src0_sel:BYTE_0 src1_sel:BYTE_0
	s_or_b64 s[16:17], s[16:17], s[20:21]
	s_and_b64 s[14:15], s[14:15], s[16:17]
	s_xor_b64 s[16:17], s[14:15], -1
	s_and_saveexec_b64 s[20:21], s[16:17]
	s_xor_b64 s[16:17], exec, s[20:21]
	s_cbranch_execz .LBB93_8
; %bb.7:                                ;   in Loop: Header=BB93_2 Depth=1
	ds_read_u8 v55, v3 offset:1
	v_mov_b32_e32 v54, v53
.LBB93_8:                               ;   in Loop: Header=BB93_2 Depth=1
	s_andn2_saveexec_b64 s[16:17], s[16:17]
	s_cbranch_execz .LBB93_10
; %bb.9:                                ;   in Loop: Header=BB93_2 Depth=1
	ds_read_u8 v54, v4 offset:1
	s_waitcnt lgkmcnt(1)
	v_mov_b32_e32 v55, v52
.LBB93_10:                              ;   in Loop: Header=BB93_2 Depth=1
	s_or_b64 exec, exec, s[16:17]
	v_add_u32_e32 v57, 1, v3
	v_cndmask_b32_e64 v52, v52, v53, s[14:15]
	v_add_u32_e32 v53, 1, v4
	v_cndmask_b32_e64 v57, v57, v3, s[14:15]
	v_perm_b32 v56, 0, v2, s25
	v_cndmask_b32_e64 v53, v4, v53, s[14:15]
	v_cndmask_b32_e64 v3, v3, v4, s[14:15]
	v_cmp_ge_i32_e64 s[14:15], v57, v19
	s_waitcnt lgkmcnt(0)
	v_cmp_lt_u16_sdwa s[16:17], v54, v55 src0_sel:BYTE_0 src1_sel:BYTE_0
	v_cndmask_b32_e64 v2, v2, v56, s[12:13]
	v_cmp_lt_i32_e64 s[12:13], v53, v20
	s_or_b64 s[14:15], s[14:15], s[16:17]
	s_and_b64 s[12:13], s[12:13], s[14:15]
	s_barrier
	ds_write_b8 v6, v2
	v_lshrrev_b16_e32 v2, 8, v2
	v_cndmask_b32_e64 v53, v57, v53, s[12:13]
	ds_write_b8 v6, v2 offset:1
	s_waitcnt lgkmcnt(0)
	s_barrier
	ds_read_u8 v2, v3
	ds_read_u8 v3, v53
	v_cndmask_b32_e64 v4, v55, v54, s[12:13]
	s_waitcnt lgkmcnt(0)
	s_barrier
	ds_write_b8 v6, v52
	ds_write_b8 v6, v4 offset:1
	v_mov_b32_e32 v52, v43
	s_waitcnt lgkmcnt(0)
	s_barrier
	s_and_saveexec_b64 s[14:15], s[0:1]
	s_cbranch_execz .LBB93_14
; %bb.11:                               ;   in Loop: Header=BB93_2 Depth=1
	s_mov_b64 s[16:17], 0
	v_mov_b32_e32 v52, v43
	v_mov_b32_e32 v4, v37
.LBB93_12:                              ;   Parent Loop BB93_2 Depth=1
                                        ; =>  This Inner Loop Header: Depth=2
	v_sub_u32_e32 v53, v4, v52
	v_lshrrev_b32_e32 v54, 31, v53
	v_add_u32_e32 v53, v53, v54
	v_ashrrev_i32_e32 v53, 1, v53
	v_add_u32_e32 v53, v53, v52
	v_not_b32_e32 v55, v53
	v_add_u32_e32 v54, v9, v53
	v_add3_u32 v55, v10, v55, v21
	ds_read_u8 v54, v54
	ds_read_u8 v55, v55
	v_add_u32_e32 v56, 1, v53
	s_waitcnt lgkmcnt(0)
	v_cmp_lt_u16_e64 s[12:13], v55, v54
	s_nop 1
	v_cndmask_b32_e64 v4, v4, v53, s[12:13]
	v_cndmask_b32_e64 v52, v56, v52, s[12:13]
	v_cmp_ge_i32_e64 s[12:13], v52, v4
	s_or_b64 s[16:17], s[12:13], s[16:17]
	s_andn2_b64 exec, exec, s[16:17]
	s_cbranch_execnz .LBB93_12
; %bb.13:                               ;   in Loop: Header=BB93_2 Depth=1
	s_or_b64 exec, exec, s[16:17]
.LBB93_14:                              ;   in Loop: Header=BB93_2 Depth=1
	s_or_b64 exec, exec, s[14:15]
	v_add_u32_e32 v4, v52, v9
	v_sub_u32_e32 v52, v32, v52
	ds_read_u8 v53, v4
	ds_read_u8 v54, v52
	v_cmp_le_i32_e64 s[14:15], v21, v4
	v_cmp_gt_i32_e64 s[12:13], v22, v52
                                        ; implicit-def: $vgpr55
                                        ; implicit-def: $vgpr56
	s_waitcnt lgkmcnt(0)
	v_cmp_lt_u16_sdwa s[16:17], v54, v53 src0_sel:BYTE_0 src1_sel:BYTE_0
	s_or_b64 s[14:15], s[14:15], s[16:17]
	s_and_b64 s[12:13], s[12:13], s[14:15]
	s_xor_b64 s[14:15], s[12:13], -1
	s_and_saveexec_b64 s[16:17], s[14:15]
	s_xor_b64 s[14:15], exec, s[16:17]
	s_cbranch_execz .LBB93_16
; %bb.15:                               ;   in Loop: Header=BB93_2 Depth=1
	ds_read_u8 v56, v4 offset:1
	v_mov_b32_e32 v55, v54
.LBB93_16:                              ;   in Loop: Header=BB93_2 Depth=1
	s_andn2_saveexec_b64 s[14:15], s[14:15]
	s_cbranch_execz .LBB93_18
; %bb.17:                               ;   in Loop: Header=BB93_2 Depth=1
	ds_read_u8 v55, v52 offset:1
	s_waitcnt lgkmcnt(1)
	v_mov_b32_e32 v56, v53
.LBB93_18:                              ;   in Loop: Header=BB93_2 Depth=1
	s_or_b64 exec, exec, s[14:15]
	v_add_u32_e32 v57, 1, v4
	v_cndmask_b32_e64 v53, v53, v54, s[12:13]
	v_add_u32_e32 v54, 1, v52
	v_cndmask_b32_e64 v57, v57, v4, s[12:13]
	v_cndmask_b32_e64 v54, v52, v54, s[12:13]
	v_cmp_ge_i32_e64 s[14:15], v57, v21
	s_waitcnt lgkmcnt(0)
	v_cmp_lt_u16_sdwa s[16:17], v55, v56 src0_sel:BYTE_0 src1_sel:BYTE_0
	v_cndmask_b32_e64 v4, v4, v52, s[12:13]
	v_cmp_lt_i32_e64 s[12:13], v54, v22
	s_or_b64 s[14:15], s[14:15], s[16:17]
	s_and_b64 s[12:13], s[12:13], s[14:15]
	v_cndmask_b32_e64 v54, v57, v54, s[12:13]
	s_barrier
	ds_write_b8 v6, v2
	ds_write_b8 v6, v3 offset:1
	s_waitcnt lgkmcnt(0)
	s_barrier
	ds_read_u8 v2, v4
	ds_read_u8 v3, v54
	v_cndmask_b32_e64 v52, v56, v55, s[12:13]
	s_waitcnt lgkmcnt(0)
	s_barrier
	ds_write_b8 v6, v53
	ds_write_b8 v6, v52 offset:1
	v_mov_b32_e32 v52, v44
	s_waitcnt lgkmcnt(0)
	s_barrier
	s_and_saveexec_b64 s[14:15], s[2:3]
	s_cbranch_execz .LBB93_22
; %bb.19:                               ;   in Loop: Header=BB93_2 Depth=1
	s_mov_b64 s[16:17], 0
	v_mov_b32_e32 v52, v44
	v_mov_b32_e32 v4, v38
.LBB93_20:                              ;   Parent Loop BB93_2 Depth=1
                                        ; =>  This Inner Loop Header: Depth=2
	v_sub_u32_e32 v53, v4, v52
	v_lshrrev_b32_e32 v54, 31, v53
	v_add_u32_e32 v53, v53, v54
	v_ashrrev_i32_e32 v53, 1, v53
	v_add_u32_e32 v53, v53, v52
	v_not_b32_e32 v55, v53
	v_add_u32_e32 v54, v11, v53
	v_add3_u32 v55, v12, v55, v23
	ds_read_u8 v54, v54
	ds_read_u8 v55, v55
	v_add_u32_e32 v56, 1, v53
	s_waitcnt lgkmcnt(0)
	v_cmp_lt_u16_e64 s[12:13], v55, v54
	s_nop 1
	v_cndmask_b32_e64 v4, v4, v53, s[12:13]
	v_cndmask_b32_e64 v52, v56, v52, s[12:13]
	v_cmp_ge_i32_e64 s[12:13], v52, v4
	s_or_b64 s[16:17], s[12:13], s[16:17]
	s_andn2_b64 exec, exec, s[16:17]
	s_cbranch_execnz .LBB93_20
; %bb.21:                               ;   in Loop: Header=BB93_2 Depth=1
	s_or_b64 exec, exec, s[16:17]
.LBB93_22:                              ;   in Loop: Header=BB93_2 Depth=1
	s_or_b64 exec, exec, s[14:15]
	v_add_u32_e32 v4, v52, v11
	v_sub_u32_e32 v52, v33, v52
	ds_read_u8 v53, v4
	ds_read_u8 v54, v52
	v_cmp_le_i32_e64 s[14:15], v23, v4
	v_cmp_gt_i32_e64 s[12:13], v24, v52
                                        ; implicit-def: $vgpr55
                                        ; implicit-def: $vgpr56
	s_waitcnt lgkmcnt(0)
	v_cmp_lt_u16_sdwa s[16:17], v54, v53 src0_sel:BYTE_0 src1_sel:BYTE_0
	s_or_b64 s[14:15], s[14:15], s[16:17]
	s_and_b64 s[12:13], s[12:13], s[14:15]
	s_xor_b64 s[14:15], s[12:13], -1
	s_and_saveexec_b64 s[16:17], s[14:15]
	s_xor_b64 s[14:15], exec, s[16:17]
	s_cbranch_execz .LBB93_24
; %bb.23:                               ;   in Loop: Header=BB93_2 Depth=1
	ds_read_u8 v56, v4 offset:1
	v_mov_b32_e32 v55, v54
.LBB93_24:                              ;   in Loop: Header=BB93_2 Depth=1
	s_andn2_saveexec_b64 s[14:15], s[14:15]
	s_cbranch_execz .LBB93_26
; %bb.25:                               ;   in Loop: Header=BB93_2 Depth=1
	ds_read_u8 v55, v52 offset:1
	s_waitcnt lgkmcnt(1)
	v_mov_b32_e32 v56, v53
.LBB93_26:                              ;   in Loop: Header=BB93_2 Depth=1
	s_or_b64 exec, exec, s[14:15]
	v_add_u32_e32 v57, 1, v4
	v_cndmask_b32_e64 v53, v53, v54, s[12:13]
	v_add_u32_e32 v54, 1, v52
	v_cndmask_b32_e64 v57, v57, v4, s[12:13]
	v_cndmask_b32_e64 v54, v52, v54, s[12:13]
	v_cmp_ge_i32_e64 s[14:15], v57, v23
	s_waitcnt lgkmcnt(0)
	v_cmp_lt_u16_sdwa s[16:17], v55, v56 src0_sel:BYTE_0 src1_sel:BYTE_0
	v_cndmask_b32_e64 v4, v4, v52, s[12:13]
	v_cmp_lt_i32_e64 s[12:13], v54, v24
	s_or_b64 s[14:15], s[14:15], s[16:17]
	s_and_b64 s[12:13], s[12:13], s[14:15]
	v_cndmask_b32_e64 v54, v57, v54, s[12:13]
	s_barrier
	ds_write_b8 v6, v2
	ds_write_b8 v6, v3 offset:1
	s_waitcnt lgkmcnt(0)
	s_barrier
	ds_read_u8 v2, v4
	ds_read_u8 v3, v54
	v_cndmask_b32_e64 v52, v56, v55, s[12:13]
	s_waitcnt lgkmcnt(0)
	s_barrier
	ds_write_b8 v6, v53
	ds_write_b8 v6, v52 offset:1
	v_mov_b32_e32 v52, v45
	s_waitcnt lgkmcnt(0)
	s_barrier
	s_and_saveexec_b64 s[14:15], s[4:5]
	s_cbranch_execz .LBB93_30
; %bb.27:                               ;   in Loop: Header=BB93_2 Depth=1
	s_mov_b64 s[16:17], 0
	v_mov_b32_e32 v52, v45
	v_mov_b32_e32 v4, v39
.LBB93_28:                              ;   Parent Loop BB93_2 Depth=1
                                        ; =>  This Inner Loop Header: Depth=2
	v_sub_u32_e32 v53, v4, v52
	v_lshrrev_b32_e32 v54, 31, v53
	v_add_u32_e32 v53, v53, v54
	v_ashrrev_i32_e32 v53, 1, v53
	v_add_u32_e32 v53, v53, v52
	v_not_b32_e32 v55, v53
	v_add_u32_e32 v54, v13, v53
	v_add3_u32 v55, v14, v55, v25
	ds_read_u8 v54, v54
	ds_read_u8 v55, v55
	v_add_u32_e32 v56, 1, v53
	s_waitcnt lgkmcnt(0)
	v_cmp_lt_u16_e64 s[12:13], v55, v54
	s_nop 1
	v_cndmask_b32_e64 v4, v4, v53, s[12:13]
	v_cndmask_b32_e64 v52, v56, v52, s[12:13]
	v_cmp_ge_i32_e64 s[12:13], v52, v4
	s_or_b64 s[16:17], s[12:13], s[16:17]
	s_andn2_b64 exec, exec, s[16:17]
	s_cbranch_execnz .LBB93_28
; %bb.29:                               ;   in Loop: Header=BB93_2 Depth=1
	s_or_b64 exec, exec, s[16:17]
.LBB93_30:                              ;   in Loop: Header=BB93_2 Depth=1
	s_or_b64 exec, exec, s[14:15]
	v_add_u32_e32 v4, v52, v13
	v_sub_u32_e32 v52, v34, v52
	ds_read_u8 v53, v4
	ds_read_u8 v54, v52
	v_cmp_le_i32_e64 s[14:15], v25, v4
	v_cmp_gt_i32_e64 s[12:13], v26, v52
                                        ; implicit-def: $vgpr55
                                        ; implicit-def: $vgpr56
	s_waitcnt lgkmcnt(0)
	v_cmp_lt_u16_sdwa s[16:17], v54, v53 src0_sel:BYTE_0 src1_sel:BYTE_0
	s_or_b64 s[14:15], s[14:15], s[16:17]
	s_and_b64 s[12:13], s[12:13], s[14:15]
	s_xor_b64 s[14:15], s[12:13], -1
	s_and_saveexec_b64 s[16:17], s[14:15]
	s_xor_b64 s[14:15], exec, s[16:17]
	s_cbranch_execz .LBB93_32
; %bb.31:                               ;   in Loop: Header=BB93_2 Depth=1
	ds_read_u8 v56, v4 offset:1
	v_mov_b32_e32 v55, v54
.LBB93_32:                              ;   in Loop: Header=BB93_2 Depth=1
	s_andn2_saveexec_b64 s[14:15], s[14:15]
	s_cbranch_execz .LBB93_34
; %bb.33:                               ;   in Loop: Header=BB93_2 Depth=1
	ds_read_u8 v55, v52 offset:1
	s_waitcnt lgkmcnt(1)
	v_mov_b32_e32 v56, v53
.LBB93_34:                              ;   in Loop: Header=BB93_2 Depth=1
	s_or_b64 exec, exec, s[14:15]
	v_add_u32_e32 v57, 1, v4
	v_cndmask_b32_e64 v53, v53, v54, s[12:13]
	v_add_u32_e32 v54, 1, v52
	v_cndmask_b32_e64 v57, v57, v4, s[12:13]
	v_cndmask_b32_e64 v54, v52, v54, s[12:13]
	v_cmp_ge_i32_e64 s[14:15], v57, v25
	s_waitcnt lgkmcnt(0)
	v_cmp_lt_u16_sdwa s[16:17], v55, v56 src0_sel:BYTE_0 src1_sel:BYTE_0
	v_cndmask_b32_e64 v4, v4, v52, s[12:13]
	v_cmp_lt_i32_e64 s[12:13], v54, v26
	s_or_b64 s[14:15], s[14:15], s[16:17]
	s_and_b64 s[12:13], s[12:13], s[14:15]
	v_cndmask_b32_e64 v54, v57, v54, s[12:13]
	s_barrier
	ds_write_b8 v6, v2
	ds_write_b8 v6, v3 offset:1
	s_waitcnt lgkmcnt(0)
	s_barrier
	ds_read_u8 v2, v4
	ds_read_u8 v3, v54
	v_cndmask_b32_e64 v52, v56, v55, s[12:13]
	s_waitcnt lgkmcnt(0)
	s_barrier
	ds_write_b8 v6, v53
	ds_write_b8 v6, v52 offset:1
	v_mov_b32_e32 v52, v46
	s_waitcnt lgkmcnt(0)
	s_barrier
	s_and_saveexec_b64 s[14:15], s[6:7]
	s_cbranch_execz .LBB93_38
; %bb.35:                               ;   in Loop: Header=BB93_2 Depth=1
	s_mov_b64 s[16:17], 0
	v_mov_b32_e32 v52, v46
	v_mov_b32_e32 v4, v40
.LBB93_36:                              ;   Parent Loop BB93_2 Depth=1
                                        ; =>  This Inner Loop Header: Depth=2
	v_sub_u32_e32 v53, v4, v52
	v_lshrrev_b32_e32 v54, 31, v53
	v_add_u32_e32 v53, v53, v54
	v_ashrrev_i32_e32 v53, 1, v53
	v_add_u32_e32 v53, v53, v52
	v_not_b32_e32 v55, v53
	v_add_u32_e32 v54, v15, v53
	v_add3_u32 v55, v16, v55, v27
	ds_read_u8 v54, v54
	ds_read_u8 v55, v55
	v_add_u32_e32 v56, 1, v53
	s_waitcnt lgkmcnt(0)
	v_cmp_lt_u16_e64 s[12:13], v55, v54
	s_nop 1
	v_cndmask_b32_e64 v4, v4, v53, s[12:13]
	v_cndmask_b32_e64 v52, v56, v52, s[12:13]
	v_cmp_ge_i32_e64 s[12:13], v52, v4
	s_or_b64 s[16:17], s[12:13], s[16:17]
	s_andn2_b64 exec, exec, s[16:17]
	s_cbranch_execnz .LBB93_36
; %bb.37:                               ;   in Loop: Header=BB93_2 Depth=1
	s_or_b64 exec, exec, s[16:17]
.LBB93_38:                              ;   in Loop: Header=BB93_2 Depth=1
	s_or_b64 exec, exec, s[14:15]
	v_add_u32_e32 v4, v52, v15
	v_sub_u32_e32 v52, v35, v52
	ds_read_u8 v53, v4
	ds_read_u8 v54, v52
	v_cmp_le_i32_e64 s[14:15], v27, v4
	v_cmp_gt_i32_e64 s[12:13], v28, v52
                                        ; implicit-def: $vgpr55
                                        ; implicit-def: $vgpr56
	s_waitcnt lgkmcnt(0)
	v_cmp_lt_u16_sdwa s[16:17], v54, v53 src0_sel:BYTE_0 src1_sel:BYTE_0
	s_or_b64 s[14:15], s[14:15], s[16:17]
	s_and_b64 s[12:13], s[12:13], s[14:15]
	s_xor_b64 s[14:15], s[12:13], -1
	s_and_saveexec_b64 s[16:17], s[14:15]
	s_xor_b64 s[14:15], exec, s[16:17]
	s_cbranch_execz .LBB93_40
; %bb.39:                               ;   in Loop: Header=BB93_2 Depth=1
	ds_read_u8 v56, v4 offset:1
	v_mov_b32_e32 v55, v54
.LBB93_40:                              ;   in Loop: Header=BB93_2 Depth=1
	s_andn2_saveexec_b64 s[14:15], s[14:15]
	s_cbranch_execz .LBB93_42
; %bb.41:                               ;   in Loop: Header=BB93_2 Depth=1
	ds_read_u8 v55, v52 offset:1
	s_waitcnt lgkmcnt(1)
	v_mov_b32_e32 v56, v53
.LBB93_42:                              ;   in Loop: Header=BB93_2 Depth=1
	s_or_b64 exec, exec, s[14:15]
	v_add_u32_e32 v57, 1, v4
	v_cndmask_b32_e64 v53, v53, v54, s[12:13]
	v_add_u32_e32 v54, 1, v52
	v_cndmask_b32_e64 v57, v57, v4, s[12:13]
	v_cndmask_b32_e64 v54, v52, v54, s[12:13]
	v_cmp_ge_i32_e64 s[14:15], v57, v27
	s_waitcnt lgkmcnt(0)
	v_cmp_lt_u16_sdwa s[16:17], v55, v56 src0_sel:BYTE_0 src1_sel:BYTE_0
	v_cndmask_b32_e64 v4, v4, v52, s[12:13]
	v_cmp_lt_i32_e64 s[12:13], v54, v28
	s_or_b64 s[14:15], s[14:15], s[16:17]
	s_and_b64 s[12:13], s[12:13], s[14:15]
	v_cndmask_b32_e64 v54, v57, v54, s[12:13]
	s_barrier
	ds_write_b8 v6, v2
	ds_write_b8 v6, v3 offset:1
	s_waitcnt lgkmcnt(0)
	s_barrier
	ds_read_u8 v2, v4
	ds_read_u8 v3, v54
	v_cndmask_b32_e64 v52, v56, v55, s[12:13]
	s_waitcnt lgkmcnt(0)
	s_barrier
	ds_write_b8 v6, v53
	ds_write_b8 v6, v52 offset:1
	v_mov_b32_e32 v52, v47
	s_waitcnt lgkmcnt(0)
	s_barrier
	s_and_saveexec_b64 s[14:15], s[8:9]
	s_cbranch_execz .LBB93_46
; %bb.43:                               ;   in Loop: Header=BB93_2 Depth=1
	s_mov_b64 s[16:17], 0
	v_mov_b32_e32 v52, v47
	v_mov_b32_e32 v4, v41
.LBB93_44:                              ;   Parent Loop BB93_2 Depth=1
                                        ; =>  This Inner Loop Header: Depth=2
	v_sub_u32_e32 v53, v4, v52
	v_lshrrev_b32_e32 v54, 31, v53
	v_add_u32_e32 v53, v53, v54
	v_ashrrev_i32_e32 v53, 1, v53
	v_add_u32_e32 v53, v53, v52
	v_not_b32_e32 v55, v53
	v_add_u32_e32 v54, v17, v53
	v_add3_u32 v55, v18, v55, v29
	ds_read_u8 v54, v54
	ds_read_u8 v55, v55
	v_add_u32_e32 v56, 1, v53
	s_waitcnt lgkmcnt(0)
	v_cmp_lt_u16_e64 s[12:13], v55, v54
	s_nop 1
	v_cndmask_b32_e64 v4, v4, v53, s[12:13]
	v_cndmask_b32_e64 v52, v56, v52, s[12:13]
	v_cmp_ge_i32_e64 s[12:13], v52, v4
	s_or_b64 s[16:17], s[12:13], s[16:17]
	s_andn2_b64 exec, exec, s[16:17]
	s_cbranch_execnz .LBB93_44
; %bb.45:                               ;   in Loop: Header=BB93_2 Depth=1
	s_or_b64 exec, exec, s[16:17]
.LBB93_46:                              ;   in Loop: Header=BB93_2 Depth=1
	s_or_b64 exec, exec, s[14:15]
	v_add_u32_e32 v4, v52, v17
	v_sub_u32_e32 v52, v48, v52
	ds_read_u8 v53, v4
	ds_read_u8 v54, v52
	v_cmp_le_i32_e64 s[14:15], v29, v4
	v_cmp_gt_i32_e64 s[12:13], v30, v52
                                        ; implicit-def: $vgpr55
                                        ; implicit-def: $vgpr56
	s_waitcnt lgkmcnt(0)
	v_cmp_lt_u16_sdwa s[16:17], v54, v53 src0_sel:BYTE_0 src1_sel:BYTE_0
	s_or_b64 s[14:15], s[14:15], s[16:17]
	s_and_b64 s[12:13], s[12:13], s[14:15]
	s_xor_b64 s[14:15], s[12:13], -1
	s_and_saveexec_b64 s[16:17], s[14:15]
	s_xor_b64 s[14:15], exec, s[16:17]
	s_cbranch_execz .LBB93_48
; %bb.47:                               ;   in Loop: Header=BB93_2 Depth=1
	ds_read_u8 v56, v4 offset:1
	v_mov_b32_e32 v55, v54
.LBB93_48:                              ;   in Loop: Header=BB93_2 Depth=1
	s_andn2_saveexec_b64 s[14:15], s[14:15]
	s_cbranch_execz .LBB93_50
; %bb.49:                               ;   in Loop: Header=BB93_2 Depth=1
	ds_read_u8 v55, v52 offset:1
	s_waitcnt lgkmcnt(1)
	v_mov_b32_e32 v56, v53
.LBB93_50:                              ;   in Loop: Header=BB93_2 Depth=1
	s_or_b64 exec, exec, s[14:15]
	v_add_u32_e32 v57, 1, v4
	v_cndmask_b32_e64 v54, v53, v54, s[12:13]
	v_add_u32_e32 v53, 1, v52
	v_cndmask_b32_e64 v57, v57, v4, s[12:13]
	v_cndmask_b32_e64 v53, v52, v53, s[12:13]
	v_cmp_ge_i32_e64 s[14:15], v57, v29
	s_waitcnt lgkmcnt(0)
	v_cmp_lt_u16_sdwa s[16:17], v55, v56 src0_sel:BYTE_0 src1_sel:BYTE_0
	v_cndmask_b32_e64 v4, v4, v52, s[12:13]
	v_cmp_lt_i32_e64 s[12:13], v53, v30
	s_or_b64 s[14:15], s[14:15], s[16:17]
	s_and_b64 s[12:13], s[12:13], s[14:15]
	v_cndmask_b32_e64 v53, v57, v53, s[12:13]
	s_barrier
	ds_write_b8 v6, v2
	ds_write_b8 v6, v3 offset:1
	s_waitcnt lgkmcnt(0)
	s_barrier
	ds_read_u8 v52, v4
	ds_read_u8 v53, v53
	v_mov_b32_e32 v2, v49
	v_cndmask_b32_e64 v55, v56, v55, s[12:13]
	s_waitcnt lgkmcnt(0)
	s_barrier
	ds_write_b8 v6, v54
	ds_write_b8 v6, v55 offset:1
	s_waitcnt lgkmcnt(0)
	s_barrier
	s_and_saveexec_b64 s[14:15], s[10:11]
	s_cbranch_execz .LBB93_54
; %bb.51:                               ;   in Loop: Header=BB93_2 Depth=1
	s_mov_b64 s[16:17], 0
	v_mov_b32_e32 v2, v49
	v_mov_b32_e32 v3, v50
.LBB93_52:                              ;   Parent Loop BB93_2 Depth=1
                                        ; =>  This Inner Loop Header: Depth=2
	v_sub_u32_e32 v4, v3, v2
	v_lshrrev_b32_e32 v54, 31, v4
	v_add_u32_e32 v4, v4, v54
	v_ashrrev_i32_e32 v4, 1, v4
	v_add_u32_e32 v4, v4, v2
	v_not_b32_e32 v54, v4
	v_add3_u32 v54, v6, v54, v5
	ds_read_u8 v55, v4
	ds_read_u8 v54, v54
	v_add_u32_e32 v56, 1, v4
	s_waitcnt lgkmcnt(0)
	v_cmp_lt_u16_e64 s[12:13], v54, v55
	s_nop 1
	v_cndmask_b32_e64 v3, v3, v4, s[12:13]
	v_cndmask_b32_e64 v2, v56, v2, s[12:13]
	v_cmp_ge_i32_e64 s[12:13], v2, v3
	s_or_b64 s[16:17], s[12:13], s[16:17]
	s_andn2_b64 exec, exec, s[16:17]
	s_cbranch_execnz .LBB93_52
; %bb.53:                               ;   in Loop: Header=BB93_2 Depth=1
	s_or_b64 exec, exec, s[16:17]
.LBB93_54:                              ;   in Loop: Header=BB93_2 Depth=1
	s_or_b64 exec, exec, s[14:15]
	v_sub_u32_e32 v4, v51, v2
	ds_read_u8 v54, v2
	ds_read_u8 v55, v4
	v_cmp_le_i32_e64 s[14:15], v5, v2
	v_cmp_gt_i32_e64 s[12:13], s24, v4
                                        ; implicit-def: $vgpr57
                                        ; implicit-def: $vgpr3
                                        ; implicit-def: $vgpr56
	s_waitcnt lgkmcnt(0)
	v_cmp_lt_u16_sdwa s[16:17], v55, v54 src0_sel:BYTE_0 src1_sel:BYTE_0
	s_or_b64 s[14:15], s[14:15], s[16:17]
	s_and_b64 s[12:13], s[12:13], s[14:15]
	s_xor_b64 s[14:15], s[12:13], -1
	s_and_saveexec_b64 s[16:17], s[14:15]
	s_xor_b64 s[14:15], exec, s[16:17]
	s_cbranch_execz .LBB93_56
; %bb.55:                               ;   in Loop: Header=BB93_2 Depth=1
	ds_read_u8 v3, v2 offset:1
	v_add_u32_e32 v56, 1, v2
	v_mov_b32_e32 v57, v55
.LBB93_56:                              ;   in Loop: Header=BB93_2 Depth=1
	s_andn2_saveexec_b64 s[14:15], s[14:15]
	s_cbranch_execz .LBB93_1
; %bb.57:                               ;   in Loop: Header=BB93_2 Depth=1
	ds_read_u8 v57, v4 offset:1
	v_mov_b32_e32 v56, v2
	v_add_u32_e32 v58, 1, v4
	s_waitcnt lgkmcnt(1)
	v_mov_b64_e32 v[2:3], v[4:5]
	v_mov_b32_e32 v4, v58
	v_mov_b32_e32 v3, v54
	s_branch .LBB93_1
.LBB93_58:
	s_add_u32 s0, s18, s22
	s_addc_u32 s1, s19, 0
	v_add_u16_e32 v2, v54, v52
	v_lshl_add_u64 v[0:1], s[0:1], 0, v[0:1]
	v_add_u16_e32 v3, v3, v53
	global_store_byte v[0:1], v2, off
	global_store_byte v[0:1], v3, off offset:128
	s_endpgm
	.section	.rodata,"a",@progbits
	.p2align	6, 0x0
	.amdhsa_kernel _Z17sort_pairs_kernelIhLj128ELj2EN10test_utils4lessELj10EEvPKT_PS2_T2_
		.amdhsa_group_segment_fixed_size 257
		.amdhsa_private_segment_fixed_size 0
		.amdhsa_kernarg_size 20
		.amdhsa_user_sgpr_count 2
		.amdhsa_user_sgpr_dispatch_ptr 0
		.amdhsa_user_sgpr_queue_ptr 0
		.amdhsa_user_sgpr_kernarg_segment_ptr 1
		.amdhsa_user_sgpr_dispatch_id 0
		.amdhsa_user_sgpr_kernarg_preload_length 0
		.amdhsa_user_sgpr_kernarg_preload_offset 0
		.amdhsa_user_sgpr_private_segment_size 0
		.amdhsa_uses_dynamic_stack 0
		.amdhsa_enable_private_segment 0
		.amdhsa_system_sgpr_workgroup_id_x 1
		.amdhsa_system_sgpr_workgroup_id_y 0
		.amdhsa_system_sgpr_workgroup_id_z 0
		.amdhsa_system_sgpr_workgroup_info 0
		.amdhsa_system_vgpr_workitem_id 0
		.amdhsa_next_free_vgpr 59
		.amdhsa_next_free_sgpr 26
		.amdhsa_accum_offset 60
		.amdhsa_reserve_vcc 1
		.amdhsa_float_round_mode_32 0
		.amdhsa_float_round_mode_16_64 0
		.amdhsa_float_denorm_mode_32 3
		.amdhsa_float_denorm_mode_16_64 3
		.amdhsa_dx10_clamp 1
		.amdhsa_ieee_mode 1
		.amdhsa_fp16_overflow 0
		.amdhsa_tg_split 0
		.amdhsa_exception_fp_ieee_invalid_op 0
		.amdhsa_exception_fp_denorm_src 0
		.amdhsa_exception_fp_ieee_div_zero 0
		.amdhsa_exception_fp_ieee_overflow 0
		.amdhsa_exception_fp_ieee_underflow 0
		.amdhsa_exception_fp_ieee_inexact 0
		.amdhsa_exception_int_div_zero 0
	.end_amdhsa_kernel
	.section	.text._Z17sort_pairs_kernelIhLj128ELj2EN10test_utils4lessELj10EEvPKT_PS2_T2_,"axG",@progbits,_Z17sort_pairs_kernelIhLj128ELj2EN10test_utils4lessELj10EEvPKT_PS2_T2_,comdat
.Lfunc_end93:
	.size	_Z17sort_pairs_kernelIhLj128ELj2EN10test_utils4lessELj10EEvPKT_PS2_T2_, .Lfunc_end93-_Z17sort_pairs_kernelIhLj128ELj2EN10test_utils4lessELj10EEvPKT_PS2_T2_
                                        ; -- End function
	.section	.AMDGPU.csdata,"",@progbits
; Kernel info:
; codeLenInByte = 3588
; NumSgprs: 32
; NumVgprs: 59
; NumAgprs: 0
; TotalNumVgprs: 59
; ScratchSize: 0
; MemoryBound: 0
; FloatMode: 240
; IeeeMode: 1
; LDSByteSize: 257 bytes/workgroup (compile time only)
; SGPRBlocks: 3
; VGPRBlocks: 7
; NumSGPRsForWavesPerEU: 32
; NumVGPRsForWavesPerEU: 59
; AccumOffset: 60
; Occupancy: 8
; WaveLimiterHint : 1
; COMPUTE_PGM_RSRC2:SCRATCH_EN: 0
; COMPUTE_PGM_RSRC2:USER_SGPR: 2
; COMPUTE_PGM_RSRC2:TRAP_HANDLER: 0
; COMPUTE_PGM_RSRC2:TGID_X_EN: 1
; COMPUTE_PGM_RSRC2:TGID_Y_EN: 0
; COMPUTE_PGM_RSRC2:TGID_Z_EN: 0
; COMPUTE_PGM_RSRC2:TIDIG_COMP_CNT: 0
; COMPUTE_PGM_RSRC3_GFX90A:ACCUM_OFFSET: 14
; COMPUTE_PGM_RSRC3_GFX90A:TG_SPLIT: 0
	.section	.text._Z16sort_keys_kernelIhLj128ELj3EN10test_utils4lessELj10EEvPKT_PS2_T2_,"axG",@progbits,_Z16sort_keys_kernelIhLj128ELj3EN10test_utils4lessELj10EEvPKT_PS2_T2_,comdat
	.protected	_Z16sort_keys_kernelIhLj128ELj3EN10test_utils4lessELj10EEvPKT_PS2_T2_ ; -- Begin function _Z16sort_keys_kernelIhLj128ELj3EN10test_utils4lessELj10EEvPKT_PS2_T2_
	.globl	_Z16sort_keys_kernelIhLj128ELj3EN10test_utils4lessELj10EEvPKT_PS2_T2_
	.p2align	8
	.type	_Z16sort_keys_kernelIhLj128ELj3EN10test_utils4lessELj10EEvPKT_PS2_T2_,@function
_Z16sort_keys_kernelIhLj128ELj3EN10test_utils4lessELj10EEvPKT_PS2_T2_: ; @_Z16sort_keys_kernelIhLj128ELj3EN10test_utils4lessELj10EEvPKT_PS2_T2_
; %bb.0:
	s_load_dwordx4 s[16:19], s[0:1], 0x0
	s_mul_i32 s20, s2, 0x180
	v_and_b32_e32 v3, 0x7e, v0
	v_and_b32_e32 v8, 0x60, v0
	v_mul_u32_u24_e32 v9, 3, v3
	s_waitcnt lgkmcnt(0)
	s_add_u32 s0, s16, s20
	s_addc_u32 s1, s17, 0
	global_load_ubyte v33, v0, s[0:1]
	global_load_ubyte v34, v0, s[0:1] offset:128
	global_load_ubyte v35, v0, s[0:1] offset:256
	v_and_b32_e32 v4, 1, v0
	v_and_b32_e32 v5, 0x7c, v0
	v_mul_u32_u24_e32 v36, 3, v8
	v_min_u32_e32 v13, 0x17d, v9
	v_min_u32_e32 v14, 0x17a, v9
	v_and_b32_e32 v6, 0x78, v0
	v_cmp_eq_u32_e32 vcc, 1, v4
	v_mul_u32_u24_e32 v10, 3, v5
	v_add_u32_e32 v13, 3, v13
	v_add_u32_e32 v14, 6, v14
	v_and_b32_e32 v7, 0x70, v0
	v_and_b32_e32 v37, 31, v0
	v_cndmask_b32_e64 v3, 0, 3, vcc
	v_mul_u32_u24_e32 v11, 3, v6
	v_min_u32_e32 v15, 0x17a, v10
	v_min_u32_e32 v16, 0x174, v10
	v_sub_u32_e32 v29, v14, v13
	v_and_b32_e32 v22, 3, v0
	v_mul_u32_u24_e32 v12, 3, v7
	v_mul_u32_u24_e32 v7, 3, v37
	v_min_u32_e32 v17, 0x174, v11
	v_min_u32_e32 v18, 0x168, v11
	v_add_u32_e32 v15, 6, v15
	v_add_u32_e32 v16, 12, v16
	v_sub_u32_e32 v38, v3, v29
	v_cmp_ge_i32_e32 vcc, v3, v29
	v_and_b32_e32 v23, 7, v0
	v_mul_u32_u24_e32 v4, 3, v22
	v_add_u32_e32 v17, 12, v17
	v_add_u32_e32 v18, 24, v18
	v_sub_u32_e32 v30, v16, v15
	v_cndmask_b32_e32 v29, 0, v38, vcc
	v_mul_u32_u24_e32 v5, 3, v23
	v_sub_u32_e32 v31, v18, v17
	v_sub_u32_e32 v39, v4, v30
	v_cmp_ge_i32_e32 vcc, v4, v30
	v_min_u32_e32 v19, 0x168, v12
	v_min_u32_e32 v20, 0x150, v12
	v_sub_u32_e32 v40, v5, v31
	v_cndmask_b32_e32 v30, 0, v39, vcc
	v_cmp_ge_i32_e32 vcc, v5, v31
	v_and_b32_e32 v24, 15, v0
	v_add_u32_e32 v19, 24, v19
	v_add_u32_e32 v20, 48, v20
	v_cndmask_b32_e32 v31, 0, v40, vcc
	v_mul_u32_u24_e32 v6, 3, v24
	v_sub_u32_e32 v32, v20, v19
	v_and_b32_e32 v45, 63, v0
	v_min_u32_e32 v8, 0x180, v9
	v_min_u32_e32 v9, 0x180, v10
	;; [unrolled: 1-line block ×5, first 2 shown]
	v_sub_u32_e32 v41, v6, v32
	v_cmp_ge_i32_e32 vcc, v6, v32
	v_mul_u32_u24_e32 v2, 3, v0
	v_sub_u32_e32 v25, v13, v8
	v_sub_u32_e32 v26, v15, v9
	;; [unrolled: 1-line block ×4, first 2 shown]
	v_cndmask_b32_e32 v32, 0, v41, vcc
	v_mov_b32_e32 v41, 0xc0
	v_min_i32_e32 v25, v3, v25
	v_min_i32_e32 v26, v4, v26
	;; [unrolled: 1-line block ×5, first 2 shown]
	s_movk_i32 s21, 0x180
	s_mov_b32 s22, 0
	v_mov_b32_e32 v1, 0
	v_add_u32_e32 v21, v13, v3
	v_mad_u32_u24 v22, v22, 3, v15
	v_mad_u32_u24 v23, v23, 3, v17
	;; [unrolled: 1-line block ×3, first 2 shown]
	v_cmp_lt_i32_e32 vcc, v29, v25
	v_cmp_lt_i32_e64 s[0:1], v30, v26
	v_cmp_lt_i32_e64 s[2:3], v31, v27
	;; [unrolled: 1-line block ×3, first 2 shown]
	s_waitcnt vmcnt(1)
	v_lshlrev_b16_e32 v34, 8, v34
	v_or_b32_e32 v33, v33, v34
	v_and_b32_e32 v33, 0xffff, v33
	s_waitcnt vmcnt(0)
	v_lshl_or_b32 v50, v35, 16, v33
	v_min_u32_e32 v33, 0x150, v36
	v_min_u32_e32 v34, 0x120, v36
	v_add_u32_e32 v33, 48, v33
	v_add_u32_e32 v34, 0x60, v34
	v_sub_u32_e32 v35, v34, v33
	v_sub_u32_e32 v38, v7, v35
	v_cmp_ge_i32_e64 s[6:7], v7, v35
	v_sub_u32_e32 v36, v33, v12
	v_min_i32_e32 v36, v7, v36
	v_cndmask_b32_e64 v35, 0, v38, s[6:7]
	v_and_b32_e32 v38, 64, v0
	v_mul_u32_u24_e32 v42, 3, v38
	v_min_u32_e32 v39, 0x180, v42
	v_min_u32_e32 v40, 0x120, v42
	;; [unrolled: 1-line block ×3, first 2 shown]
	v_add_u32_e32 v40, 0x60, v40
	v_add_u32_e32 v42, 0xc0, v42
	v_mul_u32_u24_e32 v38, 3, v45
	v_sub_u32_e32 v43, v42, v40
	v_sub_u32_e32 v44, v40, v39
	;; [unrolled: 1-line block ×3, first 2 shown]
	v_cmp_ge_i32_e64 s[8:9], v38, v43
	v_min_i32_e32 v44, v38, v44
	v_cmp_lt_i32_e64 s[6:7], v35, v36
	v_cndmask_b32_e64 v43, 0, v46, s[8:9]
	v_sub_u32_e64 v46, v2, v41 clamp
	v_mad_u32_u24 v37, v37, 3, v33
	v_cmp_lt_i32_e64 s[8:9], v43, v44
	v_mad_u32_u24 v45, v45, 3, v40
	v_cmp_lt_i32_e64 s[10:11], v46, v47
	v_mad_u32_u24 v48, v0, 3, v41
	s_mov_b32 s23, 0x7060405
	s_movk_i32 s24, 0xff
	s_movk_i32 s25, 0xff00
	s_mov_b32 s26, 0xffff0000
	v_mov_b32_e32 v49, 8
	s_branch .LBB94_2
.LBB94_1:                               ;   in Loop: Header=BB94_2 Depth=1
	s_or_b64 exec, exec, s[16:17]
	v_cndmask_b32_e64 v53, v54, v53, s[14:15]
	v_cmp_ge_i32_e64 s[14:15], v57, v41
	s_waitcnt lgkmcnt(0)
	v_cmp_lt_u16_sdwa s[16:17], v58, v52 src0_sel:BYTE_0 src1_sel:BYTE_0
	v_cndmask_b32_e64 v51, v50, v51, s[12:13]
	v_cmp_gt_i32_e64 s[12:13], s21, v55
	s_or_b64 s[14:15], s[14:15], s[16:17]
	s_and_b64 s[12:13], s[12:13], s[14:15]
	v_cndmask_b32_e64 v52, v52, v58, s[12:13]
	v_lshlrev_b16_e32 v50, 8, v53
	v_and_b32_e32 v54, 0xff, v52
	v_or_b32_sdwa v50, v51, v50 dst_sel:DWORD dst_unused:UNUSED_PAD src0_sel:BYTE_0 src1_sel:DWORD
	v_lshlrev_b32_e32 v54, 16, v54
	s_add_i32 s22, s22, 1
	s_cmp_eq_u32 s22, 10
	v_or_b32_sdwa v50, v50, v54 dst_sel:DWORD dst_unused:UNUSED_PAD src0_sel:WORD_0 src1_sel:DWORD
	s_cbranch_scc1 .LBB94_86
.LBB94_2:                               ; =>This Loop Header: Depth=1
                                        ;     Child Loop BB94_4 Depth 2
                                        ;     Child Loop BB94_16 Depth 2
                                        ;     Child Loop BB94_28 Depth 2
                                        ;     Child Loop BB94_40 Depth 2
                                        ;     Child Loop BB94_52 Depth 2
                                        ;     Child Loop BB94_64 Depth 2
                                        ;     Child Loop BB94_76 Depth 2
	v_lshrrev_b32_e32 v52, 8, v50
	v_perm_b32 v51, v50, v50, s23
	v_cmp_lt_u16_sdwa s[12:13], v52, v50 src0_sel:BYTE_0 src1_sel:BYTE_0
	v_max_u16_sdwa v54, v52, v50 dst_sel:DWORD dst_unused:UNUSED_PAD src0_sel:BYTE_0 src1_sel:BYTE_0
	s_nop 0
	v_cndmask_b32_e64 v51, v50, v51, s[12:13]
	v_and_b32_sdwa v53, v51, s25 dst_sel:DWORD dst_unused:UNUSED_PAD src0_sel:WORD_1 src1_sel:DWORD
	v_lshlrev_b16_sdwa v55, v49, v51 dst_sel:DWORD dst_unused:UNUSED_PAD src0_sel:DWORD src1_sel:WORD_1
	v_or_b32_sdwa v53, v54, v53 dst_sel:WORD_1 dst_unused:UNUSED_PAD src0_sel:DWORD src1_sel:DWORD
	v_min_u16_sdwa v50, v52, v50 dst_sel:DWORD dst_unused:UNUSED_PAD src0_sel:BYTE_0 src1_sel:BYTE_0
	v_and_b32_sdwa v52, v51, s24 dst_sel:DWORD dst_unused:UNUSED_PAD src0_sel:WORD_1 src1_sel:DWORD
	v_or_b32_sdwa v55, v51, v55 dst_sel:DWORD dst_unused:UNUSED_PAD src0_sel:BYTE_0 src1_sel:DWORD
	v_or_b32_sdwa v53, v55, v53 dst_sel:DWORD dst_unused:UNUSED_PAD src0_sel:WORD_0 src1_sel:DWORD
	v_cmp_lt_u16_e64 s[12:13], v52, v54
	s_barrier
	s_nop 0
	v_cndmask_b32_e64 v51, v51, v53, s[12:13]
	v_min_u16_e32 v53, v52, v54
	v_lshlrev_b16_e32 v54, 8, v50
	v_or_b32_e32 v53, v53, v54
	v_and_b32_e32 v53, 0xffff, v53
	v_and_or_b32 v53, v51, s26, v53
	v_cmp_lt_u16_e64 s[12:13], v52, v50
	s_nop 1
	v_cndmask_b32_e64 v50, v51, v53, s[12:13]
	v_lshrrev_b32_e32 v51, 8, v50
	ds_write_b8 v2, v50
	ds_write_b8 v2, v51 offset:1
	ds_write_b8_d16_hi v2, v50 offset:2
	v_mov_b32_e32 v50, v29
	s_waitcnt lgkmcnt(0)
	s_barrier
	s_and_saveexec_b64 s[14:15], vcc
	s_cbranch_execz .LBB94_6
; %bb.3:                                ;   in Loop: Header=BB94_2 Depth=1
	s_mov_b64 s[16:17], 0
	v_mov_b32_e32 v50, v29
	v_mov_b32_e32 v51, v25
.LBB94_4:                               ;   Parent Loop BB94_2 Depth=1
                                        ; =>  This Inner Loop Header: Depth=2
	v_sub_u32_e32 v52, v51, v50
	v_lshrrev_b32_e32 v53, 31, v52
	v_add_u32_e32 v52, v52, v53
	v_ashrrev_i32_e32 v52, 1, v52
	v_add_u32_e32 v52, v52, v50
	v_not_b32_e32 v54, v52
	v_add_u32_e32 v53, v8, v52
	v_add3_u32 v54, v3, v54, v13
	ds_read_u8 v53, v53
	ds_read_u8 v54, v54
	v_add_u32_e32 v55, 1, v52
	s_waitcnt lgkmcnt(0)
	v_cmp_lt_u16_e64 s[12:13], v54, v53
	s_nop 1
	v_cndmask_b32_e64 v51, v51, v52, s[12:13]
	v_cndmask_b32_e64 v50, v55, v50, s[12:13]
	v_cmp_ge_i32_e64 s[12:13], v50, v51
	s_or_b64 s[16:17], s[12:13], s[16:17]
	s_andn2_b64 exec, exec, s[16:17]
	s_cbranch_execnz .LBB94_4
; %bb.5:                                ;   in Loop: Header=BB94_2 Depth=1
	s_or_b64 exec, exec, s[16:17]
.LBB94_6:                               ;   in Loop: Header=BB94_2 Depth=1
	s_or_b64 exec, exec, s[14:15]
	v_add_u32_e32 v54, v50, v8
	v_sub_u32_e32 v55, v21, v50
	ds_read_u8 v50, v54
	ds_read_u8 v51, v55
	v_cmp_le_i32_e64 s[14:15], v13, v54
	v_cmp_gt_i32_e64 s[12:13], v14, v55
                                        ; implicit-def: $vgpr52
                                        ; implicit-def: $vgpr53
	s_waitcnt lgkmcnt(0)
	v_cmp_lt_u16_sdwa s[16:17], v51, v50 src0_sel:BYTE_0 src1_sel:BYTE_0
	s_or_b64 s[14:15], s[14:15], s[16:17]
	s_and_b64 s[12:13], s[12:13], s[14:15]
	s_xor_b64 s[14:15], s[12:13], -1
	s_and_saveexec_b64 s[16:17], s[14:15]
	s_xor_b64 s[14:15], exec, s[16:17]
	s_cbranch_execz .LBB94_8
; %bb.7:                                ;   in Loop: Header=BB94_2 Depth=1
	ds_read_u8 v53, v54 offset:1
	v_mov_b32_e32 v52, v51
.LBB94_8:                               ;   in Loop: Header=BB94_2 Depth=1
	s_andn2_saveexec_b64 s[14:15], s[14:15]
	s_cbranch_execz .LBB94_10
; %bb.9:                                ;   in Loop: Header=BB94_2 Depth=1
	ds_read_u8 v52, v55 offset:1
	s_waitcnt lgkmcnt(1)
	v_mov_b32_e32 v53, v50
.LBB94_10:                              ;   in Loop: Header=BB94_2 Depth=1
	s_or_b64 exec, exec, s[14:15]
	v_add_u32_e32 v57, 1, v54
	v_add_u32_e32 v56, 1, v55
	v_cndmask_b32_e64 v54, v57, v54, s[12:13]
	v_cndmask_b32_e64 v55, v55, v56, s[12:13]
	v_cmp_ge_i32_e64 s[16:17], v54, v13
	s_waitcnt lgkmcnt(0)
	v_cmp_lt_u16_sdwa s[28:29], v52, v53 src0_sel:BYTE_0 src1_sel:BYTE_0
	v_cmp_lt_i32_e64 s[14:15], v55, v14
	s_or_b64 s[16:17], s[16:17], s[28:29]
	s_and_b64 s[14:15], s[14:15], s[16:17]
	s_xor_b64 s[16:17], s[14:15], -1
                                        ; implicit-def: $vgpr56
	s_and_saveexec_b64 s[28:29], s[16:17]
	s_xor_b64 s[16:17], exec, s[28:29]
	s_cbranch_execz .LBB94_12
; %bb.11:                               ;   in Loop: Header=BB94_2 Depth=1
	ds_read_u8 v56, v54 offset:1
.LBB94_12:                              ;   in Loop: Header=BB94_2 Depth=1
	s_or_saveexec_b64 s[16:17], s[16:17]
	v_mov_b32_e32 v57, v52
	s_xor_b64 exec, exec, s[16:17]
	s_cbranch_execz .LBB94_14
; %bb.13:                               ;   in Loop: Header=BB94_2 Depth=1
	ds_read_u8 v57, v55 offset:1
	s_waitcnt lgkmcnt(1)
	v_mov_b32_e32 v56, v53
.LBB94_14:                              ;   in Loop: Header=BB94_2 Depth=1
	s_or_b64 exec, exec, s[16:17]
	v_add_u32_e32 v58, 1, v54
	v_cndmask_b32_e64 v52, v53, v52, s[14:15]
	v_add_u32_e32 v53, 1, v55
	v_cndmask_b32_e64 v54, v58, v54, s[14:15]
	v_cndmask_b32_e64 v53, v55, v53, s[14:15]
	v_cmp_ge_i32_e64 s[14:15], v54, v13
	s_waitcnt lgkmcnt(0)
	v_cmp_lt_u16_sdwa s[16:17], v57, v56 src0_sel:BYTE_0 src1_sel:BYTE_0
	v_cndmask_b32_e64 v50, v50, v51, s[12:13]
	v_cmp_lt_i32_e64 s[12:13], v53, v14
	s_or_b64 s[14:15], s[14:15], s[16:17]
	s_and_b64 s[12:13], s[12:13], s[14:15]
	v_cndmask_b32_e64 v51, v56, v57, s[12:13]
	s_barrier
	ds_write_b8 v2, v50
	ds_write_b8 v2, v52 offset:1
	ds_write_b8 v2, v51 offset:2
	v_mov_b32_e32 v50, v30
	s_waitcnt lgkmcnt(0)
	s_barrier
	s_and_saveexec_b64 s[14:15], s[0:1]
	s_cbranch_execz .LBB94_18
; %bb.15:                               ;   in Loop: Header=BB94_2 Depth=1
	s_mov_b64 s[16:17], 0
	v_mov_b32_e32 v50, v30
	v_mov_b32_e32 v51, v26
.LBB94_16:                              ;   Parent Loop BB94_2 Depth=1
                                        ; =>  This Inner Loop Header: Depth=2
	v_sub_u32_e32 v52, v51, v50
	v_lshrrev_b32_e32 v53, 31, v52
	v_add_u32_e32 v52, v52, v53
	v_ashrrev_i32_e32 v52, 1, v52
	v_add_u32_e32 v52, v52, v50
	v_not_b32_e32 v54, v52
	v_add_u32_e32 v53, v9, v52
	v_add3_u32 v54, v4, v54, v15
	ds_read_u8 v53, v53
	ds_read_u8 v54, v54
	v_add_u32_e32 v55, 1, v52
	s_waitcnt lgkmcnt(0)
	v_cmp_lt_u16_e64 s[12:13], v54, v53
	s_nop 1
	v_cndmask_b32_e64 v51, v51, v52, s[12:13]
	v_cndmask_b32_e64 v50, v55, v50, s[12:13]
	v_cmp_ge_i32_e64 s[12:13], v50, v51
	s_or_b64 s[16:17], s[12:13], s[16:17]
	s_andn2_b64 exec, exec, s[16:17]
	s_cbranch_execnz .LBB94_16
; %bb.17:                               ;   in Loop: Header=BB94_2 Depth=1
	s_or_b64 exec, exec, s[16:17]
.LBB94_18:                              ;   in Loop: Header=BB94_2 Depth=1
	s_or_b64 exec, exec, s[14:15]
	v_add_u32_e32 v54, v50, v9
	v_sub_u32_e32 v55, v22, v50
	ds_read_u8 v50, v54
	ds_read_u8 v51, v55
	v_cmp_le_i32_e64 s[14:15], v15, v54
	v_cmp_gt_i32_e64 s[12:13], v16, v55
                                        ; implicit-def: $vgpr52
                                        ; implicit-def: $vgpr53
	s_waitcnt lgkmcnt(0)
	v_cmp_lt_u16_sdwa s[16:17], v51, v50 src0_sel:BYTE_0 src1_sel:BYTE_0
	s_or_b64 s[14:15], s[14:15], s[16:17]
	s_and_b64 s[12:13], s[12:13], s[14:15]
	s_xor_b64 s[14:15], s[12:13], -1
	s_and_saveexec_b64 s[16:17], s[14:15]
	s_xor_b64 s[14:15], exec, s[16:17]
	s_cbranch_execz .LBB94_20
; %bb.19:                               ;   in Loop: Header=BB94_2 Depth=1
	ds_read_u8 v53, v54 offset:1
	v_mov_b32_e32 v52, v51
.LBB94_20:                              ;   in Loop: Header=BB94_2 Depth=1
	s_andn2_saveexec_b64 s[14:15], s[14:15]
	s_cbranch_execz .LBB94_22
; %bb.21:                               ;   in Loop: Header=BB94_2 Depth=1
	ds_read_u8 v52, v55 offset:1
	s_waitcnt lgkmcnt(1)
	v_mov_b32_e32 v53, v50
.LBB94_22:                              ;   in Loop: Header=BB94_2 Depth=1
	s_or_b64 exec, exec, s[14:15]
	v_add_u32_e32 v57, 1, v54
	v_add_u32_e32 v56, 1, v55
	v_cndmask_b32_e64 v54, v57, v54, s[12:13]
	v_cndmask_b32_e64 v55, v55, v56, s[12:13]
	v_cmp_ge_i32_e64 s[16:17], v54, v15
	s_waitcnt lgkmcnt(0)
	v_cmp_lt_u16_sdwa s[28:29], v52, v53 src0_sel:BYTE_0 src1_sel:BYTE_0
	v_cmp_lt_i32_e64 s[14:15], v55, v16
	s_or_b64 s[16:17], s[16:17], s[28:29]
	s_and_b64 s[14:15], s[14:15], s[16:17]
	s_xor_b64 s[16:17], s[14:15], -1
                                        ; implicit-def: $vgpr56
	s_and_saveexec_b64 s[28:29], s[16:17]
	s_xor_b64 s[16:17], exec, s[28:29]
	s_cbranch_execz .LBB94_24
; %bb.23:                               ;   in Loop: Header=BB94_2 Depth=1
	ds_read_u8 v56, v54 offset:1
.LBB94_24:                              ;   in Loop: Header=BB94_2 Depth=1
	s_or_saveexec_b64 s[16:17], s[16:17]
	v_mov_b32_e32 v57, v52
	s_xor_b64 exec, exec, s[16:17]
	s_cbranch_execz .LBB94_26
; %bb.25:                               ;   in Loop: Header=BB94_2 Depth=1
	ds_read_u8 v57, v55 offset:1
	s_waitcnt lgkmcnt(1)
	v_mov_b32_e32 v56, v53
.LBB94_26:                              ;   in Loop: Header=BB94_2 Depth=1
	s_or_b64 exec, exec, s[16:17]
	v_add_u32_e32 v58, 1, v54
	v_cndmask_b32_e64 v52, v53, v52, s[14:15]
	v_add_u32_e32 v53, 1, v55
	v_cndmask_b32_e64 v54, v58, v54, s[14:15]
	v_cndmask_b32_e64 v53, v55, v53, s[14:15]
	v_cmp_ge_i32_e64 s[14:15], v54, v15
	s_waitcnt lgkmcnt(0)
	v_cmp_lt_u16_sdwa s[16:17], v57, v56 src0_sel:BYTE_0 src1_sel:BYTE_0
	v_cndmask_b32_e64 v50, v50, v51, s[12:13]
	v_cmp_lt_i32_e64 s[12:13], v53, v16
	s_or_b64 s[14:15], s[14:15], s[16:17]
	s_and_b64 s[12:13], s[12:13], s[14:15]
	v_cndmask_b32_e64 v51, v56, v57, s[12:13]
	s_barrier
	ds_write_b8 v2, v50
	ds_write_b8 v2, v52 offset:1
	ds_write_b8 v2, v51 offset:2
	v_mov_b32_e32 v50, v31
	s_waitcnt lgkmcnt(0)
	s_barrier
	s_and_saveexec_b64 s[14:15], s[2:3]
	s_cbranch_execz .LBB94_30
; %bb.27:                               ;   in Loop: Header=BB94_2 Depth=1
	s_mov_b64 s[16:17], 0
	v_mov_b32_e32 v50, v31
	v_mov_b32_e32 v51, v27
.LBB94_28:                              ;   Parent Loop BB94_2 Depth=1
                                        ; =>  This Inner Loop Header: Depth=2
	v_sub_u32_e32 v52, v51, v50
	v_lshrrev_b32_e32 v53, 31, v52
	v_add_u32_e32 v52, v52, v53
	v_ashrrev_i32_e32 v52, 1, v52
	v_add_u32_e32 v52, v52, v50
	v_not_b32_e32 v54, v52
	v_add_u32_e32 v53, v10, v52
	v_add3_u32 v54, v5, v54, v17
	ds_read_u8 v53, v53
	ds_read_u8 v54, v54
	v_add_u32_e32 v55, 1, v52
	s_waitcnt lgkmcnt(0)
	v_cmp_lt_u16_e64 s[12:13], v54, v53
	s_nop 1
	v_cndmask_b32_e64 v51, v51, v52, s[12:13]
	v_cndmask_b32_e64 v50, v55, v50, s[12:13]
	v_cmp_ge_i32_e64 s[12:13], v50, v51
	s_or_b64 s[16:17], s[12:13], s[16:17]
	s_andn2_b64 exec, exec, s[16:17]
	s_cbranch_execnz .LBB94_28
; %bb.29:                               ;   in Loop: Header=BB94_2 Depth=1
	s_or_b64 exec, exec, s[16:17]
.LBB94_30:                              ;   in Loop: Header=BB94_2 Depth=1
	s_or_b64 exec, exec, s[14:15]
	v_add_u32_e32 v54, v50, v10
	v_sub_u32_e32 v55, v23, v50
	ds_read_u8 v50, v54
	ds_read_u8 v51, v55
	v_cmp_le_i32_e64 s[14:15], v17, v54
	v_cmp_gt_i32_e64 s[12:13], v18, v55
                                        ; implicit-def: $vgpr52
                                        ; implicit-def: $vgpr53
	s_waitcnt lgkmcnt(0)
	v_cmp_lt_u16_sdwa s[16:17], v51, v50 src0_sel:BYTE_0 src1_sel:BYTE_0
	s_or_b64 s[14:15], s[14:15], s[16:17]
	s_and_b64 s[12:13], s[12:13], s[14:15]
	s_xor_b64 s[14:15], s[12:13], -1
	s_and_saveexec_b64 s[16:17], s[14:15]
	s_xor_b64 s[14:15], exec, s[16:17]
	s_cbranch_execz .LBB94_32
; %bb.31:                               ;   in Loop: Header=BB94_2 Depth=1
	ds_read_u8 v53, v54 offset:1
	v_mov_b32_e32 v52, v51
.LBB94_32:                              ;   in Loop: Header=BB94_2 Depth=1
	s_andn2_saveexec_b64 s[14:15], s[14:15]
	s_cbranch_execz .LBB94_34
; %bb.33:                               ;   in Loop: Header=BB94_2 Depth=1
	ds_read_u8 v52, v55 offset:1
	s_waitcnt lgkmcnt(1)
	v_mov_b32_e32 v53, v50
.LBB94_34:                              ;   in Loop: Header=BB94_2 Depth=1
	s_or_b64 exec, exec, s[14:15]
	v_add_u32_e32 v57, 1, v54
	v_add_u32_e32 v56, 1, v55
	v_cndmask_b32_e64 v54, v57, v54, s[12:13]
	v_cndmask_b32_e64 v55, v55, v56, s[12:13]
	v_cmp_ge_i32_e64 s[16:17], v54, v17
	s_waitcnt lgkmcnt(0)
	v_cmp_lt_u16_sdwa s[28:29], v52, v53 src0_sel:BYTE_0 src1_sel:BYTE_0
	v_cmp_lt_i32_e64 s[14:15], v55, v18
	s_or_b64 s[16:17], s[16:17], s[28:29]
	s_and_b64 s[14:15], s[14:15], s[16:17]
	s_xor_b64 s[16:17], s[14:15], -1
                                        ; implicit-def: $vgpr56
	s_and_saveexec_b64 s[28:29], s[16:17]
	s_xor_b64 s[16:17], exec, s[28:29]
	s_cbranch_execz .LBB94_36
; %bb.35:                               ;   in Loop: Header=BB94_2 Depth=1
	ds_read_u8 v56, v54 offset:1
.LBB94_36:                              ;   in Loop: Header=BB94_2 Depth=1
	s_or_saveexec_b64 s[16:17], s[16:17]
	v_mov_b32_e32 v57, v52
	s_xor_b64 exec, exec, s[16:17]
	s_cbranch_execz .LBB94_38
; %bb.37:                               ;   in Loop: Header=BB94_2 Depth=1
	ds_read_u8 v57, v55 offset:1
	s_waitcnt lgkmcnt(1)
	v_mov_b32_e32 v56, v53
.LBB94_38:                              ;   in Loop: Header=BB94_2 Depth=1
	s_or_b64 exec, exec, s[16:17]
	v_add_u32_e32 v58, 1, v54
	v_cndmask_b32_e64 v52, v53, v52, s[14:15]
	v_add_u32_e32 v53, 1, v55
	v_cndmask_b32_e64 v54, v58, v54, s[14:15]
	v_cndmask_b32_e64 v53, v55, v53, s[14:15]
	v_cmp_ge_i32_e64 s[14:15], v54, v17
	s_waitcnt lgkmcnt(0)
	v_cmp_lt_u16_sdwa s[16:17], v57, v56 src0_sel:BYTE_0 src1_sel:BYTE_0
	v_cndmask_b32_e64 v50, v50, v51, s[12:13]
	v_cmp_lt_i32_e64 s[12:13], v53, v18
	s_or_b64 s[14:15], s[14:15], s[16:17]
	s_and_b64 s[12:13], s[12:13], s[14:15]
	v_cndmask_b32_e64 v51, v56, v57, s[12:13]
	s_barrier
	ds_write_b8 v2, v50
	ds_write_b8 v2, v52 offset:1
	ds_write_b8 v2, v51 offset:2
	v_mov_b32_e32 v50, v32
	s_waitcnt lgkmcnt(0)
	s_barrier
	s_and_saveexec_b64 s[14:15], s[4:5]
	s_cbranch_execz .LBB94_42
; %bb.39:                               ;   in Loop: Header=BB94_2 Depth=1
	s_mov_b64 s[16:17], 0
	v_mov_b32_e32 v50, v32
	v_mov_b32_e32 v51, v28
.LBB94_40:                              ;   Parent Loop BB94_2 Depth=1
                                        ; =>  This Inner Loop Header: Depth=2
	v_sub_u32_e32 v52, v51, v50
	v_lshrrev_b32_e32 v53, 31, v52
	v_add_u32_e32 v52, v52, v53
	v_ashrrev_i32_e32 v52, 1, v52
	v_add_u32_e32 v52, v52, v50
	v_not_b32_e32 v54, v52
	v_add_u32_e32 v53, v11, v52
	v_add3_u32 v54, v6, v54, v19
	ds_read_u8 v53, v53
	ds_read_u8 v54, v54
	v_add_u32_e32 v55, 1, v52
	s_waitcnt lgkmcnt(0)
	v_cmp_lt_u16_e64 s[12:13], v54, v53
	s_nop 1
	v_cndmask_b32_e64 v51, v51, v52, s[12:13]
	v_cndmask_b32_e64 v50, v55, v50, s[12:13]
	v_cmp_ge_i32_e64 s[12:13], v50, v51
	s_or_b64 s[16:17], s[12:13], s[16:17]
	s_andn2_b64 exec, exec, s[16:17]
	s_cbranch_execnz .LBB94_40
; %bb.41:                               ;   in Loop: Header=BB94_2 Depth=1
	s_or_b64 exec, exec, s[16:17]
.LBB94_42:                              ;   in Loop: Header=BB94_2 Depth=1
	s_or_b64 exec, exec, s[14:15]
	v_add_u32_e32 v54, v50, v11
	v_sub_u32_e32 v55, v24, v50
	ds_read_u8 v50, v54
	ds_read_u8 v51, v55
	v_cmp_le_i32_e64 s[14:15], v19, v54
	v_cmp_gt_i32_e64 s[12:13], v20, v55
                                        ; implicit-def: $vgpr52
                                        ; implicit-def: $vgpr53
	s_waitcnt lgkmcnt(0)
	v_cmp_lt_u16_sdwa s[16:17], v51, v50 src0_sel:BYTE_0 src1_sel:BYTE_0
	s_or_b64 s[14:15], s[14:15], s[16:17]
	s_and_b64 s[12:13], s[12:13], s[14:15]
	s_xor_b64 s[14:15], s[12:13], -1
	s_and_saveexec_b64 s[16:17], s[14:15]
	s_xor_b64 s[14:15], exec, s[16:17]
	s_cbranch_execz .LBB94_44
; %bb.43:                               ;   in Loop: Header=BB94_2 Depth=1
	ds_read_u8 v53, v54 offset:1
	v_mov_b32_e32 v52, v51
.LBB94_44:                              ;   in Loop: Header=BB94_2 Depth=1
	s_andn2_saveexec_b64 s[14:15], s[14:15]
	s_cbranch_execz .LBB94_46
; %bb.45:                               ;   in Loop: Header=BB94_2 Depth=1
	ds_read_u8 v52, v55 offset:1
	s_waitcnt lgkmcnt(1)
	v_mov_b32_e32 v53, v50
.LBB94_46:                              ;   in Loop: Header=BB94_2 Depth=1
	s_or_b64 exec, exec, s[14:15]
	v_add_u32_e32 v57, 1, v54
	v_add_u32_e32 v56, 1, v55
	v_cndmask_b32_e64 v54, v57, v54, s[12:13]
	v_cndmask_b32_e64 v55, v55, v56, s[12:13]
	v_cmp_ge_i32_e64 s[16:17], v54, v19
	s_waitcnt lgkmcnt(0)
	v_cmp_lt_u16_sdwa s[28:29], v52, v53 src0_sel:BYTE_0 src1_sel:BYTE_0
	v_cmp_lt_i32_e64 s[14:15], v55, v20
	s_or_b64 s[16:17], s[16:17], s[28:29]
	s_and_b64 s[14:15], s[14:15], s[16:17]
	s_xor_b64 s[16:17], s[14:15], -1
                                        ; implicit-def: $vgpr56
	s_and_saveexec_b64 s[28:29], s[16:17]
	s_xor_b64 s[16:17], exec, s[28:29]
	s_cbranch_execz .LBB94_48
; %bb.47:                               ;   in Loop: Header=BB94_2 Depth=1
	ds_read_u8 v56, v54 offset:1
.LBB94_48:                              ;   in Loop: Header=BB94_2 Depth=1
	s_or_saveexec_b64 s[16:17], s[16:17]
	v_mov_b32_e32 v57, v52
	s_xor_b64 exec, exec, s[16:17]
	s_cbranch_execz .LBB94_50
; %bb.49:                               ;   in Loop: Header=BB94_2 Depth=1
	ds_read_u8 v57, v55 offset:1
	s_waitcnt lgkmcnt(1)
	v_mov_b32_e32 v56, v53
.LBB94_50:                              ;   in Loop: Header=BB94_2 Depth=1
	s_or_b64 exec, exec, s[16:17]
	v_add_u32_e32 v58, 1, v54
	v_cndmask_b32_e64 v52, v53, v52, s[14:15]
	v_add_u32_e32 v53, 1, v55
	v_cndmask_b32_e64 v54, v58, v54, s[14:15]
	v_cndmask_b32_e64 v53, v55, v53, s[14:15]
	v_cmp_ge_i32_e64 s[14:15], v54, v19
	s_waitcnt lgkmcnt(0)
	v_cmp_lt_u16_sdwa s[16:17], v57, v56 src0_sel:BYTE_0 src1_sel:BYTE_0
	v_cndmask_b32_e64 v50, v50, v51, s[12:13]
	v_cmp_lt_i32_e64 s[12:13], v53, v20
	s_or_b64 s[14:15], s[14:15], s[16:17]
	s_and_b64 s[12:13], s[12:13], s[14:15]
	v_cndmask_b32_e64 v51, v56, v57, s[12:13]
	s_barrier
	ds_write_b8 v2, v50
	ds_write_b8 v2, v52 offset:1
	ds_write_b8 v2, v51 offset:2
	v_mov_b32_e32 v50, v35
	s_waitcnt lgkmcnt(0)
	s_barrier
	s_and_saveexec_b64 s[14:15], s[6:7]
	s_cbranch_execz .LBB94_54
; %bb.51:                               ;   in Loop: Header=BB94_2 Depth=1
	s_mov_b64 s[16:17], 0
	v_mov_b32_e32 v50, v35
	v_mov_b32_e32 v51, v36
.LBB94_52:                              ;   Parent Loop BB94_2 Depth=1
                                        ; =>  This Inner Loop Header: Depth=2
	v_sub_u32_e32 v52, v51, v50
	v_lshrrev_b32_e32 v53, 31, v52
	v_add_u32_e32 v52, v52, v53
	v_ashrrev_i32_e32 v52, 1, v52
	v_add_u32_e32 v52, v52, v50
	v_not_b32_e32 v54, v52
	v_add_u32_e32 v53, v12, v52
	v_add3_u32 v54, v7, v54, v33
	ds_read_u8 v53, v53
	ds_read_u8 v54, v54
	v_add_u32_e32 v55, 1, v52
	s_waitcnt lgkmcnt(0)
	v_cmp_lt_u16_e64 s[12:13], v54, v53
	s_nop 1
	v_cndmask_b32_e64 v51, v51, v52, s[12:13]
	v_cndmask_b32_e64 v50, v55, v50, s[12:13]
	v_cmp_ge_i32_e64 s[12:13], v50, v51
	s_or_b64 s[16:17], s[12:13], s[16:17]
	s_andn2_b64 exec, exec, s[16:17]
	s_cbranch_execnz .LBB94_52
; %bb.53:                               ;   in Loop: Header=BB94_2 Depth=1
	s_or_b64 exec, exec, s[16:17]
.LBB94_54:                              ;   in Loop: Header=BB94_2 Depth=1
	s_or_b64 exec, exec, s[14:15]
	v_add_u32_e32 v54, v50, v12
	v_sub_u32_e32 v55, v37, v50
	ds_read_u8 v50, v54
	ds_read_u8 v51, v55
	v_cmp_le_i32_e64 s[14:15], v33, v54
	v_cmp_gt_i32_e64 s[12:13], v34, v55
                                        ; implicit-def: $vgpr52
                                        ; implicit-def: $vgpr53
	s_waitcnt lgkmcnt(0)
	v_cmp_lt_u16_sdwa s[16:17], v51, v50 src0_sel:BYTE_0 src1_sel:BYTE_0
	s_or_b64 s[14:15], s[14:15], s[16:17]
	s_and_b64 s[12:13], s[12:13], s[14:15]
	s_xor_b64 s[14:15], s[12:13], -1
	s_and_saveexec_b64 s[16:17], s[14:15]
	s_xor_b64 s[14:15], exec, s[16:17]
	s_cbranch_execz .LBB94_56
; %bb.55:                               ;   in Loop: Header=BB94_2 Depth=1
	ds_read_u8 v53, v54 offset:1
	v_mov_b32_e32 v52, v51
.LBB94_56:                              ;   in Loop: Header=BB94_2 Depth=1
	s_andn2_saveexec_b64 s[14:15], s[14:15]
	s_cbranch_execz .LBB94_58
; %bb.57:                               ;   in Loop: Header=BB94_2 Depth=1
	ds_read_u8 v52, v55 offset:1
	s_waitcnt lgkmcnt(1)
	v_mov_b32_e32 v53, v50
.LBB94_58:                              ;   in Loop: Header=BB94_2 Depth=1
	s_or_b64 exec, exec, s[14:15]
	v_add_u32_e32 v57, 1, v54
	v_add_u32_e32 v56, 1, v55
	v_cndmask_b32_e64 v54, v57, v54, s[12:13]
	v_cndmask_b32_e64 v55, v55, v56, s[12:13]
	v_cmp_ge_i32_e64 s[16:17], v54, v33
	s_waitcnt lgkmcnt(0)
	v_cmp_lt_u16_sdwa s[28:29], v52, v53 src0_sel:BYTE_0 src1_sel:BYTE_0
	v_cmp_lt_i32_e64 s[14:15], v55, v34
	s_or_b64 s[16:17], s[16:17], s[28:29]
	s_and_b64 s[14:15], s[14:15], s[16:17]
	s_xor_b64 s[16:17], s[14:15], -1
                                        ; implicit-def: $vgpr56
	s_and_saveexec_b64 s[28:29], s[16:17]
	s_xor_b64 s[16:17], exec, s[28:29]
	s_cbranch_execz .LBB94_60
; %bb.59:                               ;   in Loop: Header=BB94_2 Depth=1
	ds_read_u8 v56, v54 offset:1
.LBB94_60:                              ;   in Loop: Header=BB94_2 Depth=1
	s_or_saveexec_b64 s[16:17], s[16:17]
	v_mov_b32_e32 v57, v52
	s_xor_b64 exec, exec, s[16:17]
	s_cbranch_execz .LBB94_62
; %bb.61:                               ;   in Loop: Header=BB94_2 Depth=1
	ds_read_u8 v57, v55 offset:1
	s_waitcnt lgkmcnt(1)
	v_mov_b32_e32 v56, v53
.LBB94_62:                              ;   in Loop: Header=BB94_2 Depth=1
	s_or_b64 exec, exec, s[16:17]
	v_add_u32_e32 v58, 1, v54
	v_cndmask_b32_e64 v52, v53, v52, s[14:15]
	v_add_u32_e32 v53, 1, v55
	v_cndmask_b32_e64 v54, v58, v54, s[14:15]
	v_cndmask_b32_e64 v53, v55, v53, s[14:15]
	v_cmp_ge_i32_e64 s[14:15], v54, v33
	s_waitcnt lgkmcnt(0)
	v_cmp_lt_u16_sdwa s[16:17], v57, v56 src0_sel:BYTE_0 src1_sel:BYTE_0
	v_cndmask_b32_e64 v50, v50, v51, s[12:13]
	v_cmp_lt_i32_e64 s[12:13], v53, v34
	s_or_b64 s[14:15], s[14:15], s[16:17]
	s_and_b64 s[12:13], s[12:13], s[14:15]
	v_cndmask_b32_e64 v51, v56, v57, s[12:13]
	s_barrier
	ds_write_b8 v2, v50
	ds_write_b8 v2, v52 offset:1
	ds_write_b8 v2, v51 offset:2
	v_mov_b32_e32 v50, v43
	s_waitcnt lgkmcnt(0)
	s_barrier
	s_and_saveexec_b64 s[14:15], s[8:9]
	s_cbranch_execz .LBB94_66
; %bb.63:                               ;   in Loop: Header=BB94_2 Depth=1
	s_mov_b64 s[16:17], 0
	v_mov_b32_e32 v50, v43
	v_mov_b32_e32 v51, v44
.LBB94_64:                              ;   Parent Loop BB94_2 Depth=1
                                        ; =>  This Inner Loop Header: Depth=2
	v_sub_u32_e32 v52, v51, v50
	v_lshrrev_b32_e32 v53, 31, v52
	v_add_u32_e32 v52, v52, v53
	v_ashrrev_i32_e32 v52, 1, v52
	v_add_u32_e32 v52, v52, v50
	v_not_b32_e32 v54, v52
	v_add_u32_e32 v53, v39, v52
	v_add3_u32 v54, v38, v54, v40
	ds_read_u8 v53, v53
	ds_read_u8 v54, v54
	v_add_u32_e32 v55, 1, v52
	s_waitcnt lgkmcnt(0)
	v_cmp_lt_u16_e64 s[12:13], v54, v53
	s_nop 1
	v_cndmask_b32_e64 v51, v51, v52, s[12:13]
	v_cndmask_b32_e64 v50, v55, v50, s[12:13]
	v_cmp_ge_i32_e64 s[12:13], v50, v51
	s_or_b64 s[16:17], s[12:13], s[16:17]
	s_andn2_b64 exec, exec, s[16:17]
	s_cbranch_execnz .LBB94_64
; %bb.65:                               ;   in Loop: Header=BB94_2 Depth=1
	s_or_b64 exec, exec, s[16:17]
.LBB94_66:                              ;   in Loop: Header=BB94_2 Depth=1
	s_or_b64 exec, exec, s[14:15]
	v_add_u32_e32 v54, v50, v39
	v_sub_u32_e32 v55, v45, v50
	ds_read_u8 v50, v54
	ds_read_u8 v51, v55
	v_cmp_le_i32_e64 s[14:15], v40, v54
	v_cmp_gt_i32_e64 s[12:13], v42, v55
                                        ; implicit-def: $vgpr52
                                        ; implicit-def: $vgpr53
	s_waitcnt lgkmcnt(0)
	v_cmp_lt_u16_sdwa s[16:17], v51, v50 src0_sel:BYTE_0 src1_sel:BYTE_0
	s_or_b64 s[14:15], s[14:15], s[16:17]
	s_and_b64 s[12:13], s[12:13], s[14:15]
	s_xor_b64 s[14:15], s[12:13], -1
	s_and_saveexec_b64 s[16:17], s[14:15]
	s_xor_b64 s[14:15], exec, s[16:17]
	s_cbranch_execz .LBB94_68
; %bb.67:                               ;   in Loop: Header=BB94_2 Depth=1
	ds_read_u8 v53, v54 offset:1
	v_mov_b32_e32 v52, v51
.LBB94_68:                              ;   in Loop: Header=BB94_2 Depth=1
	s_andn2_saveexec_b64 s[14:15], s[14:15]
	s_cbranch_execz .LBB94_70
; %bb.69:                               ;   in Loop: Header=BB94_2 Depth=1
	ds_read_u8 v52, v55 offset:1
	s_waitcnt lgkmcnt(1)
	v_mov_b32_e32 v53, v50
.LBB94_70:                              ;   in Loop: Header=BB94_2 Depth=1
	s_or_b64 exec, exec, s[14:15]
	v_add_u32_e32 v57, 1, v54
	v_add_u32_e32 v56, 1, v55
	v_cndmask_b32_e64 v54, v57, v54, s[12:13]
	v_cndmask_b32_e64 v55, v55, v56, s[12:13]
	v_cmp_ge_i32_e64 s[16:17], v54, v40
	s_waitcnt lgkmcnt(0)
	v_cmp_lt_u16_sdwa s[28:29], v52, v53 src0_sel:BYTE_0 src1_sel:BYTE_0
	v_cmp_lt_i32_e64 s[14:15], v55, v42
	s_or_b64 s[16:17], s[16:17], s[28:29]
	s_and_b64 s[14:15], s[14:15], s[16:17]
	s_xor_b64 s[16:17], s[14:15], -1
                                        ; implicit-def: $vgpr56
	s_and_saveexec_b64 s[28:29], s[16:17]
	s_xor_b64 s[16:17], exec, s[28:29]
	s_cbranch_execz .LBB94_72
; %bb.71:                               ;   in Loop: Header=BB94_2 Depth=1
	ds_read_u8 v56, v54 offset:1
.LBB94_72:                              ;   in Loop: Header=BB94_2 Depth=1
	s_or_saveexec_b64 s[16:17], s[16:17]
	v_mov_b32_e32 v57, v52
	s_xor_b64 exec, exec, s[16:17]
	s_cbranch_execz .LBB94_74
; %bb.73:                               ;   in Loop: Header=BB94_2 Depth=1
	ds_read_u8 v57, v55 offset:1
	s_waitcnt lgkmcnt(1)
	v_mov_b32_e32 v56, v53
.LBB94_74:                              ;   in Loop: Header=BB94_2 Depth=1
	s_or_b64 exec, exec, s[16:17]
	v_add_u32_e32 v58, 1, v54
	v_cndmask_b32_e64 v52, v53, v52, s[14:15]
	v_add_u32_e32 v53, 1, v55
	v_cndmask_b32_e64 v54, v58, v54, s[14:15]
	v_cndmask_b32_e64 v53, v55, v53, s[14:15]
	v_cmp_ge_i32_e64 s[14:15], v54, v40
	s_waitcnt lgkmcnt(0)
	v_cmp_lt_u16_sdwa s[16:17], v57, v56 src0_sel:BYTE_0 src1_sel:BYTE_0
	v_cndmask_b32_e64 v50, v50, v51, s[12:13]
	v_cmp_lt_i32_e64 s[12:13], v53, v42
	s_or_b64 s[14:15], s[14:15], s[16:17]
	s_and_b64 s[12:13], s[12:13], s[14:15]
	v_cndmask_b32_e64 v51, v56, v57, s[12:13]
	s_barrier
	ds_write_b8 v2, v50
	ds_write_b8 v2, v52 offset:1
	ds_write_b8 v2, v51 offset:2
	v_mov_b32_e32 v52, v46
	s_waitcnt lgkmcnt(0)
	s_barrier
	s_and_saveexec_b64 s[14:15], s[10:11]
	s_cbranch_execz .LBB94_78
; %bb.75:                               ;   in Loop: Header=BB94_2 Depth=1
	s_mov_b64 s[16:17], 0
	v_mov_b32_e32 v52, v46
	v_mov_b32_e32 v50, v47
.LBB94_76:                              ;   Parent Loop BB94_2 Depth=1
                                        ; =>  This Inner Loop Header: Depth=2
	v_sub_u32_e32 v51, v50, v52
	v_lshrrev_b32_e32 v53, 31, v51
	v_add_u32_e32 v51, v51, v53
	v_ashrrev_i32_e32 v51, 1, v51
	v_add_u32_e32 v51, v51, v52
	v_not_b32_e32 v53, v51
	v_add3_u32 v53, v2, v53, v41
	ds_read_u8 v54, v51
	ds_read_u8 v53, v53
	v_add_u32_e32 v55, 1, v51
	s_waitcnt lgkmcnt(0)
	v_cmp_lt_u16_e64 s[12:13], v53, v54
	s_nop 1
	v_cndmask_b32_e64 v50, v50, v51, s[12:13]
	v_cndmask_b32_e64 v52, v55, v52, s[12:13]
	v_cmp_ge_i32_e64 s[12:13], v52, v50
	s_or_b64 s[16:17], s[12:13], s[16:17]
	s_andn2_b64 exec, exec, s[16:17]
	s_cbranch_execnz .LBB94_76
; %bb.77:                               ;   in Loop: Header=BB94_2 Depth=1
	s_or_b64 exec, exec, s[16:17]
.LBB94_78:                              ;   in Loop: Header=BB94_2 Depth=1
	s_or_b64 exec, exec, s[14:15]
	v_sub_u32_e32 v55, v48, v52
	ds_read_u8 v50, v52
	ds_read_u8 v51, v55
	v_cmp_le_i32_e64 s[14:15], v41, v52
	v_cmp_gt_i32_e64 s[12:13], s21, v55
                                        ; implicit-def: $vgpr53
                                        ; implicit-def: $vgpr54
	s_waitcnt lgkmcnt(0)
	v_cmp_lt_u16_sdwa s[16:17], v51, v50 src0_sel:BYTE_0 src1_sel:BYTE_0
	s_or_b64 s[14:15], s[14:15], s[16:17]
	s_and_b64 s[12:13], s[12:13], s[14:15]
	s_xor_b64 s[14:15], s[12:13], -1
	s_and_saveexec_b64 s[16:17], s[14:15]
	s_xor_b64 s[14:15], exec, s[16:17]
	s_cbranch_execz .LBB94_80
; %bb.79:                               ;   in Loop: Header=BB94_2 Depth=1
	ds_read_u8 v54, v52 offset:1
	v_mov_b32_e32 v53, v51
.LBB94_80:                              ;   in Loop: Header=BB94_2 Depth=1
	s_andn2_saveexec_b64 s[14:15], s[14:15]
	s_cbranch_execz .LBB94_82
; %bb.81:                               ;   in Loop: Header=BB94_2 Depth=1
	ds_read_u8 v53, v55 offset:1
	s_waitcnt lgkmcnt(1)
	v_mov_b32_e32 v54, v50
.LBB94_82:                              ;   in Loop: Header=BB94_2 Depth=1
	s_or_b64 exec, exec, s[14:15]
	v_add_u32_e32 v56, 1, v55
	v_add_u32_e32 v57, 1, v52
	v_cndmask_b32_e64 v55, v55, v56, s[12:13]
	v_cndmask_b32_e64 v56, v57, v52, s[12:13]
	v_cmp_ge_i32_e64 s[16:17], v56, v41
	s_waitcnt lgkmcnt(0)
	v_cmp_lt_u16_sdwa s[28:29], v53, v54 src0_sel:BYTE_0 src1_sel:BYTE_0
	v_cmp_gt_i32_e64 s[14:15], s21, v55
	s_or_b64 s[16:17], s[16:17], s[28:29]
	s_and_b64 s[14:15], s[14:15], s[16:17]
	s_xor_b64 s[16:17], s[14:15], -1
                                        ; implicit-def: $vgpr52
                                        ; implicit-def: $vgpr57
	s_and_saveexec_b64 s[28:29], s[16:17]
	s_xor_b64 s[16:17], exec, s[28:29]
	s_cbranch_execz .LBB94_84
; %bb.83:                               ;   in Loop: Header=BB94_2 Depth=1
	ds_read_u8 v52, v56 offset:1
	v_add_u32_e32 v57, 1, v56
                                        ; implicit-def: $vgpr56
.LBB94_84:                              ;   in Loop: Header=BB94_2 Depth=1
	s_or_saveexec_b64 s[16:17], s[16:17]
	v_mov_b32_e32 v58, v53
	s_xor_b64 exec, exec, s[16:17]
	s_cbranch_execz .LBB94_1
; %bb.85:                               ;   in Loop: Header=BB94_2 Depth=1
	ds_read_u8 v58, v55 offset:1
	v_add_u32_e32 v55, 1, v55
	v_mov_b32_e32 v57, v56
	s_waitcnt lgkmcnt(1)
	v_mov_b32_e32 v52, v54
	s_branch .LBB94_1
.LBB94_86:
	s_add_u32 s0, s18, s20
	s_addc_u32 s1, s19, 0
	v_lshl_add_u64 v[0:1], s[0:1], 0, v[0:1]
	global_store_byte v[0:1], v51, off
	global_store_byte v[0:1], v53, off offset:128
	global_store_byte v[0:1], v52, off offset:256
	s_endpgm
	.section	.rodata,"a",@progbits
	.p2align	6, 0x0
	.amdhsa_kernel _Z16sort_keys_kernelIhLj128ELj3EN10test_utils4lessELj10EEvPKT_PS2_T2_
		.amdhsa_group_segment_fixed_size 385
		.amdhsa_private_segment_fixed_size 0
		.amdhsa_kernarg_size 20
		.amdhsa_user_sgpr_count 2
		.amdhsa_user_sgpr_dispatch_ptr 0
		.amdhsa_user_sgpr_queue_ptr 0
		.amdhsa_user_sgpr_kernarg_segment_ptr 1
		.amdhsa_user_sgpr_dispatch_id 0
		.amdhsa_user_sgpr_kernarg_preload_length 0
		.amdhsa_user_sgpr_kernarg_preload_offset 0
		.amdhsa_user_sgpr_private_segment_size 0
		.amdhsa_uses_dynamic_stack 0
		.amdhsa_enable_private_segment 0
		.amdhsa_system_sgpr_workgroup_id_x 1
		.amdhsa_system_sgpr_workgroup_id_y 0
		.amdhsa_system_sgpr_workgroup_id_z 0
		.amdhsa_system_sgpr_workgroup_info 0
		.amdhsa_system_vgpr_workitem_id 0
		.amdhsa_next_free_vgpr 59
		.amdhsa_next_free_sgpr 30
		.amdhsa_accum_offset 60
		.amdhsa_reserve_vcc 1
		.amdhsa_float_round_mode_32 0
		.amdhsa_float_round_mode_16_64 0
		.amdhsa_float_denorm_mode_32 3
		.amdhsa_float_denorm_mode_16_64 3
		.amdhsa_dx10_clamp 1
		.amdhsa_ieee_mode 1
		.amdhsa_fp16_overflow 0
		.amdhsa_tg_split 0
		.amdhsa_exception_fp_ieee_invalid_op 0
		.amdhsa_exception_fp_denorm_src 0
		.amdhsa_exception_fp_ieee_div_zero 0
		.amdhsa_exception_fp_ieee_overflow 0
		.amdhsa_exception_fp_ieee_underflow 0
		.amdhsa_exception_fp_ieee_inexact 0
		.amdhsa_exception_int_div_zero 0
	.end_amdhsa_kernel
	.section	.text._Z16sort_keys_kernelIhLj128ELj3EN10test_utils4lessELj10EEvPKT_PS2_T2_,"axG",@progbits,_Z16sort_keys_kernelIhLj128ELj3EN10test_utils4lessELj10EEvPKT_PS2_T2_,comdat
.Lfunc_end94:
	.size	_Z16sort_keys_kernelIhLj128ELj3EN10test_utils4lessELj10EEvPKT_PS2_T2_, .Lfunc_end94-_Z16sort_keys_kernelIhLj128ELj3EN10test_utils4lessELj10EEvPKT_PS2_T2_
                                        ; -- End function
	.section	.AMDGPU.csdata,"",@progbits
; Kernel info:
; codeLenInByte = 4460
; NumSgprs: 36
; NumVgprs: 59
; NumAgprs: 0
; TotalNumVgprs: 59
; ScratchSize: 0
; MemoryBound: 0
; FloatMode: 240
; IeeeMode: 1
; LDSByteSize: 385 bytes/workgroup (compile time only)
; SGPRBlocks: 4
; VGPRBlocks: 7
; NumSGPRsForWavesPerEU: 36
; NumVGPRsForWavesPerEU: 59
; AccumOffset: 60
; Occupancy: 8
; WaveLimiterHint : 1
; COMPUTE_PGM_RSRC2:SCRATCH_EN: 0
; COMPUTE_PGM_RSRC2:USER_SGPR: 2
; COMPUTE_PGM_RSRC2:TRAP_HANDLER: 0
; COMPUTE_PGM_RSRC2:TGID_X_EN: 1
; COMPUTE_PGM_RSRC2:TGID_Y_EN: 0
; COMPUTE_PGM_RSRC2:TGID_Z_EN: 0
; COMPUTE_PGM_RSRC2:TIDIG_COMP_CNT: 0
; COMPUTE_PGM_RSRC3_GFX90A:ACCUM_OFFSET: 14
; COMPUTE_PGM_RSRC3_GFX90A:TG_SPLIT: 0
	.section	.text._Z17sort_pairs_kernelIhLj128ELj3EN10test_utils4lessELj10EEvPKT_PS2_T2_,"axG",@progbits,_Z17sort_pairs_kernelIhLj128ELj3EN10test_utils4lessELj10EEvPKT_PS2_T2_,comdat
	.protected	_Z17sort_pairs_kernelIhLj128ELj3EN10test_utils4lessELj10EEvPKT_PS2_T2_ ; -- Begin function _Z17sort_pairs_kernelIhLj128ELj3EN10test_utils4lessELj10EEvPKT_PS2_T2_
	.globl	_Z17sort_pairs_kernelIhLj128ELj3EN10test_utils4lessELj10EEvPKT_PS2_T2_
	.p2align	8
	.type	_Z17sort_pairs_kernelIhLj128ELj3EN10test_utils4lessELj10EEvPKT_PS2_T2_,@function
_Z17sort_pairs_kernelIhLj128ELj3EN10test_utils4lessELj10EEvPKT_PS2_T2_: ; @_Z17sort_pairs_kernelIhLj128ELj3EN10test_utils4lessELj10EEvPKT_PS2_T2_
; %bb.0:
	s_load_dwordx4 s[24:27], s[0:1], 0x0
	s_mul_i32 s28, s2, 0x180
	v_and_b32_e32 v3, 0x7e, v0
	v_and_b32_e32 v5, 0x7c, v0
	;; [unrolled: 1-line block ×3, first 2 shown]
	s_waitcnt lgkmcnt(0)
	s_add_u32 s0, s24, s28
	s_addc_u32 s1, s25, 0
	global_load_ubyte v29, v0, s[0:1] offset:128
	global_load_ubyte v30, v0, s[0:1] offset:256
	global_load_ubyte v31, v0, s[0:1]
	v_and_b32_e32 v7, 0x70, v0
	v_mul_u32_u24_e32 v8, 3, v3
	v_and_b32_e32 v4, 1, v0
	v_mul_u32_u24_e32 v9, 3, v5
	v_mul_u32_u24_e32 v10, 3, v6
	;; [unrolled: 1-line block ×3, first 2 shown]
	v_min_u32_e32 v12, 0x17d, v8
	v_min_u32_e32 v13, 0x17a, v8
	v_cmp_eq_u32_e32 vcc, 1, v4
	v_min_u32_e32 v7, 0x180, v8
	v_min_u32_e32 v8, 0x180, v9
	v_min_u32_e32 v14, 0x17a, v9
	v_min_u32_e32 v15, 0x174, v9
	v_min_u32_e32 v9, 0x180, v10
	v_min_u32_e32 v16, 0x174, v10
	v_min_u32_e32 v17, 0x168, v10
	v_min_u32_e32 v10, 0x180, v11
	v_min_u32_e32 v18, 0x168, v11
	v_min_u32_e32 v19, 0x150, v11
	v_add_u32_e32 v11, 3, v12
	v_add_u32_e32 v12, 6, v13
	v_and_b32_e32 v20, 3, v0
	v_cndmask_b32_e64 v3, 0, 3, vcc
	v_add_u32_e32 v13, 6, v14
	v_add_u32_e32 v14, 12, v15
	v_sub_u32_e32 v25, v12, v11
	v_mul_u32_u24_e32 v4, 3, v20
	v_sub_u32_e32 v26, v14, v13
	v_sub_u32_e32 v34, v3, v25
	v_cmp_ge_i32_e32 vcc, v3, v25
	v_sub_u32_e32 v35, v4, v26
	v_and_b32_e32 v21, 7, v0
	v_cndmask_b32_e32 v25, 0, v34, vcc
	v_cmp_ge_i32_e32 vcc, v4, v26
	v_add_u32_e32 v15, 12, v16
	v_add_u32_e32 v16, 24, v17
	v_cndmask_b32_e32 v26, 0, v35, vcc
	v_and_b32_e32 v32, 15, v0
	v_mul_u32_u24_e32 v5, 3, v21
	v_add_u32_e32 v17, 24, v18
	v_add_u32_e32 v18, 48, v19
	v_sub_u32_e32 v27, v16, v15
	v_mul_u32_u24_e32 v6, 3, v32
	v_sub_u32_e32 v33, v17, v10
	v_sub_u32_e32 v28, v18, v17
	;; [unrolled: 1-line block ×3, first 2 shown]
	v_cmp_ge_i32_e32 vcc, v5, v27
	v_sub_u32_e32 v37, v6, v28
	v_and_b32_e32 v45, 63, v0
	v_cndmask_b32_e32 v27, 0, v36, vcc
	v_cmp_ge_i32_e32 vcc, v6, v28
	v_mul_u32_u24_e32 v2, 3, v0
	v_sub_u32_e32 v22, v11, v7
	v_cndmask_b32_e32 v28, 0, v37, vcc
	v_and_b32_e32 v37, 31, v0
	v_sub_u32_e32 v23, v13, v8
	v_sub_u32_e32 v24, v15, v9
	v_mov_b32_e32 v41, 0xc0
	v_min_i32_e32 v22, v3, v22
	v_min_i32_e32 v23, v4, v23
	;; [unrolled: 1-line block ×4, first 2 shown]
	s_movk_i32 s24, 0x180
	s_mov_b32 s25, 0
	v_mov_b32_e32 v1, 0
	s_movk_i32 s29, 0xff
	v_add_u32_e32 v19, v11, v3
	v_mad_u32_u24 v20, v20, 3, v13
	v_mad_u32_u24 v21, v21, 3, v15
	v_cmp_lt_i32_e32 vcc, v25, v22
	v_cmp_lt_i32_e64 s[0:1], v26, v23
	v_cmp_lt_i32_e64 s[2:3], v27, v24
	v_mad_u32_u24 v48, v0, 3, v41
	s_mov_b32 s30, 0x7060405
	s_movk_i32 s31, 0xff00
	s_mov_b32 s33, 0xffff0000
	s_mov_b32 s34, 0xc0c0001
	s_waitcnt vmcnt(2)
	v_lshlrev_b16_e32 v29, 8, v29
	s_waitcnt vmcnt(1)
	v_lshlrev_b32_e32 v34, 16, v30
	s_waitcnt vmcnt(0)
	v_add_u16_e32 v35, 1, v31
	v_add_u16_e32 v30, 1, v30
	v_or_b32_e32 v31, v31, v29
	v_or_b32_sdwa v29, v29, v35 dst_sel:DWORD dst_unused:UNUSED_PAD src0_sel:DWORD src1_sel:BYTE_0
	v_and_b32_e32 v30, 0xff, v30
	v_or_b32_sdwa v50, v31, v34 dst_sel:DWORD dst_unused:UNUSED_PAD src0_sel:WORD_0 src1_sel:DWORD
	v_and_b32_e32 v31, 0x60, v0
	v_add_u16_e32 v29, 0x100, v29
	v_lshlrev_b32_e32 v30, 16, v30
	v_mul_u32_u24_e32 v34, 3, v31
	v_or_b32_e32 v49, v29, v30
	v_min_i32_e32 v29, v6, v33
	v_mad_u32_u24 v30, v32, 3, v17
	v_min_u32_e32 v32, 0x180, v34
	v_min_u32_e32 v33, 0x150, v34
	;; [unrolled: 1-line block ×3, first 2 shown]
	v_add_u32_e32 v33, 48, v33
	v_add_u32_e32 v34, 0x60, v34
	v_mul_u32_u24_e32 v31, 3, v37
	v_sub_u32_e32 v35, v34, v33
	v_sub_u32_e32 v38, v31, v35
	v_cmp_ge_i32_e64 s[6:7], v31, v35
	v_sub_u32_e32 v36, v33, v32
	v_min_i32_e32 v36, v31, v36
	v_cndmask_b32_e64 v35, 0, v38, s[6:7]
	v_and_b32_e32 v38, 64, v0
	v_mul_u32_u24_e32 v42, 3, v38
	v_min_u32_e32 v39, 0x180, v42
	v_min_u32_e32 v40, 0x120, v42
	;; [unrolled: 1-line block ×3, first 2 shown]
	v_add_u32_e32 v40, 0x60, v40
	v_add_u32_e32 v42, 0xc0, v42
	v_mul_u32_u24_e32 v38, 3, v45
	v_sub_u32_e32 v43, v42, v40
	v_sub_u32_e32 v44, v40, v39
	;; [unrolled: 1-line block ×3, first 2 shown]
	v_cmp_ge_i32_e64 s[8:9], v38, v43
	v_min_i32_e32 v44, v38, v44
	v_cmp_lt_i32_e64 s[4:5], v28, v29
	v_cndmask_b32_e64 v43, 0, v46, s[8:9]
	v_sub_u32_e64 v46, v2, v41 clamp
	v_cmp_lt_i32_e64 s[6:7], v35, v36
	v_mad_u32_u24 v37, v37, 3, v33
	v_cmp_lt_i32_e64 s[8:9], v43, v44
	v_mad_u32_u24 v45, v45, 3, v40
	v_cmp_lt_i32_e64 s[10:11], v46, v47
	s_branch .LBB95_2
.LBB95_1:                               ;   in Loop: Header=BB95_2 Depth=1
	s_or_b64 exec, exec, s[16:17]
	v_cndmask_b32_e64 v54, v54, v55, s[12:13]
	v_cndmask_b32_e64 v55, v57, v56, s[14:15]
	v_cmp_ge_i32_e64 s[14:15], v59, v41
	s_waitcnt lgkmcnt(0)
	v_cmp_lt_u16_sdwa s[16:17], v63, v60 src0_sel:BYTE_0 src1_sel:BYTE_0
	v_cndmask_b32_e64 v53, v52, v53, s[12:13]
	v_cmp_gt_i32_e64 s[12:13], s24, v58
	s_or_b64 s[14:15], s[14:15], s[16:17]
	s_and_b64 s[12:13], s[12:13], s[14:15]
	v_lshlrev_b16_e32 v56, 8, v55
	v_or_b32_sdwa v57, v54, v56 dst_sel:DWORD dst_unused:UNUSED_PAD src0_sel:BYTE_0 src1_sel:DWORD
	v_cndmask_b32_e64 v58, v59, v58, s[12:13]
	s_barrier
	ds_write_b8 v2, v50
	ds_write_b8 v2, v51 offset:1
	ds_write_b8 v2, v49 offset:2
	s_waitcnt lgkmcnt(0)
	s_barrier
	ds_read_u8 v51, v62
	ds_read_u8 v56, v53
	;; [unrolled: 1-line block ×3, first 2 shown]
	v_cndmask_b32_e64 v52, v60, v63, s[12:13]
	v_and_b32_e32 v60, 0xff, v52
	v_lshlrev_b32_e32 v49, 16, v60
	v_or_b32_sdwa v50, v57, v49 dst_sel:DWORD dst_unused:UNUSED_PAD src0_sel:WORD_0 src1_sel:DWORD
	s_waitcnt lgkmcnt(2)
	v_lshlrev_b16_e32 v49, 8, v51
	s_waitcnt lgkmcnt(1)
	v_or_b32_e32 v49, v56, v49
	s_waitcnt lgkmcnt(0)
	v_lshlrev_b32_e32 v57, 16, v53
	s_add_i32 s25, s25, 1
	s_cmp_eq_u32 s25, 10
	v_or_b32_sdwa v49, v49, v57 dst_sel:DWORD dst_unused:UNUSED_PAD src0_sel:WORD_0 src1_sel:DWORD
	s_cbranch_scc1 .LBB95_86
.LBB95_2:                               ; =>This Loop Header: Depth=1
                                        ;     Child Loop BB95_4 Depth 2
                                        ;     Child Loop BB95_16 Depth 2
	;; [unrolled: 1-line block ×7, first 2 shown]
	v_lshrrev_b32_e32 v52, 8, v50
	v_perm_b32 v51, v50, v50, s30
	v_cmp_lt_u16_sdwa s[12:13], v52, v50 src0_sel:BYTE_0 src1_sel:BYTE_0
	v_mov_b32_e32 v54, 8
	s_nop 0
	v_cndmask_b32_e64 v51, v50, v51, s[12:13]
	v_and_b32_sdwa v53, v51, s31 dst_sel:DWORD dst_unused:UNUSED_PAD src0_sel:WORD_1 src1_sel:DWORD
	v_max_u16_sdwa v50, v52, v50 dst_sel:DWORD dst_unused:UNUSED_PAD src0_sel:BYTE_0 src1_sel:BYTE_0
	v_lshlrev_b16_sdwa v54, v54, v51 dst_sel:DWORD dst_unused:UNUSED_PAD src0_sel:DWORD src1_sel:WORD_1
	v_or_b32_sdwa v52, v50, v53 dst_sel:WORD_1 dst_unused:UNUSED_PAD src0_sel:DWORD src1_sel:DWORD
	v_and_b32_sdwa v53, v51, s29 dst_sel:DWORD dst_unused:UNUSED_PAD src0_sel:WORD_1 src1_sel:DWORD
	v_or_b32_sdwa v54, v51, v54 dst_sel:DWORD dst_unused:UNUSED_PAD src0_sel:BYTE_0 src1_sel:DWORD
	v_or_b32_sdwa v52, v54, v52 dst_sel:DWORD dst_unused:UNUSED_PAD src0_sel:WORD_0 src1_sel:DWORD
	v_cmp_lt_u16_e64 s[14:15], v53, v50
	v_min_u16_e32 v50, v53, v50
	s_barrier
	v_cndmask_b32_e64 v51, v51, v52, s[14:15]
	v_lshlrev_b16_e32 v52, 8, v51
	v_or_b32_e32 v52, v50, v52
	v_and_b32_e32 v52, 0xffff, v52
	v_and_or_b32 v52, v51, s33, v52
	v_cmp_lt_u16_sdwa s[16:17], v50, v51 src0_sel:DWORD src1_sel:BYTE_0
	s_nop 1
	v_cndmask_b32_e64 v50, v51, v52, s[16:17]
	v_lshrrev_b32_e32 v51, 8, v50
	ds_write_b8 v2, v50
	ds_write_b8 v2, v51 offset:1
	ds_write_b8_d16_hi v2, v50 offset:2
	v_mov_b32_e32 v51, v25
	s_waitcnt lgkmcnt(0)
	s_barrier
	s_and_saveexec_b64 s[20:21], vcc
	s_cbranch_execz .LBB95_6
; %bb.3:                                ;   in Loop: Header=BB95_2 Depth=1
	s_mov_b64 s[22:23], 0
	v_mov_b32_e32 v51, v25
	v_mov_b32_e32 v50, v22
.LBB95_4:                               ;   Parent Loop BB95_2 Depth=1
                                        ; =>  This Inner Loop Header: Depth=2
	v_sub_u32_e32 v52, v50, v51
	v_lshrrev_b32_e32 v53, 31, v52
	v_add_u32_e32 v52, v52, v53
	v_ashrrev_i32_e32 v52, 1, v52
	v_add_u32_e32 v52, v52, v51
	v_not_b32_e32 v54, v52
	v_add_u32_e32 v53, v7, v52
	v_add3_u32 v54, v3, v54, v11
	ds_read_u8 v53, v53
	ds_read_u8 v54, v54
	v_add_u32_e32 v55, 1, v52
	s_waitcnt lgkmcnt(0)
	v_cmp_lt_u16_e64 s[18:19], v54, v53
	s_nop 1
	v_cndmask_b32_e64 v50, v50, v52, s[18:19]
	v_cndmask_b32_e64 v51, v55, v51, s[18:19]
	v_cmp_ge_i32_e64 s[18:19], v51, v50
	s_or_b64 s[22:23], s[18:19], s[22:23]
	s_andn2_b64 exec, exec, s[22:23]
	s_cbranch_execnz .LBB95_4
; %bb.5:                                ;   in Loop: Header=BB95_2 Depth=1
	s_or_b64 exec, exec, s[22:23]
.LBB95_6:                               ;   in Loop: Header=BB95_2 Depth=1
	s_or_b64 exec, exec, s[20:21]
	v_add_u32_e32 v50, v51, v7
	v_sub_u32_e32 v51, v19, v51
	ds_read_u8 v52, v50
	ds_read_u8 v53, v51
	v_cmp_le_i32_e64 s[20:21], v11, v50
	v_cmp_gt_i32_e64 s[18:19], v12, v51
                                        ; implicit-def: $vgpr54
                                        ; implicit-def: $vgpr55
	s_waitcnt lgkmcnt(0)
	v_cmp_lt_u16_sdwa s[22:23], v53, v52 src0_sel:BYTE_0 src1_sel:BYTE_0
	s_or_b64 s[20:21], s[20:21], s[22:23]
	s_and_b64 s[18:19], s[18:19], s[20:21]
	s_xor_b64 s[20:21], s[18:19], -1
	s_and_saveexec_b64 s[22:23], s[20:21]
	s_xor_b64 s[20:21], exec, s[22:23]
	s_cbranch_execz .LBB95_8
; %bb.7:                                ;   in Loop: Header=BB95_2 Depth=1
	ds_read_u8 v55, v50 offset:1
	v_mov_b32_e32 v54, v53
.LBB95_8:                               ;   in Loop: Header=BB95_2 Depth=1
	s_andn2_saveexec_b64 s[20:21], s[20:21]
	s_cbranch_execz .LBB95_10
; %bb.9:                                ;   in Loop: Header=BB95_2 Depth=1
	ds_read_u8 v54, v51 offset:1
	s_waitcnt lgkmcnt(1)
	v_mov_b32_e32 v55, v52
.LBB95_10:                              ;   in Loop: Header=BB95_2 Depth=1
	s_or_b64 exec, exec, s[20:21]
	v_add_u32_e32 v58, 1, v50
	v_add_u32_e32 v56, 1, v51
	v_cndmask_b32_e64 v58, v58, v50, s[18:19]
	v_cndmask_b32_e64 v57, v51, v56, s[18:19]
	v_cmp_ge_i32_e64 s[22:23], v58, v11
	s_waitcnt lgkmcnt(0)
	v_cmp_lt_u16_sdwa s[36:37], v54, v55 src0_sel:BYTE_0 src1_sel:BYTE_0
	v_cmp_lt_i32_e64 s[20:21], v57, v12
	s_or_b64 s[22:23], s[22:23], s[36:37]
	s_and_b64 s[20:21], s[20:21], s[22:23]
	s_xor_b64 s[22:23], s[20:21], -1
                                        ; implicit-def: $vgpr56
	s_and_saveexec_b64 s[36:37], s[22:23]
	s_xor_b64 s[22:23], exec, s[36:37]
	s_cbranch_execz .LBB95_12
; %bb.11:                               ;   in Loop: Header=BB95_2 Depth=1
	ds_read_u8 v56, v58 offset:1
.LBB95_12:                              ;   in Loop: Header=BB95_2 Depth=1
	s_or_saveexec_b64 s[22:23], s[22:23]
	v_mov_b32_e32 v59, v54
	s_xor_b64 exec, exec, s[22:23]
	s_cbranch_execz .LBB95_14
; %bb.13:                               ;   in Loop: Header=BB95_2 Depth=1
	ds_read_u8 v59, v57 offset:1
	s_waitcnt lgkmcnt(1)
	v_mov_b32_e32 v56, v55
.LBB95_14:                              ;   in Loop: Header=BB95_2 Depth=1
	s_or_b64 exec, exec, s[22:23]
	v_perm_b32 v60, v49, v49, s30
	v_cndmask_b32_e64 v49, v49, v60, s[12:13]
	v_cndmask_b32_e64 v50, v50, v51, s[18:19]
	v_lshrrev_b32_e32 v51, 16, v49
	v_cndmask_b32_e64 v52, v52, v53, s[18:19]
	v_lshlrev_b16_e32 v51, 8, v51
	v_lshrrev_b16_e32 v53, 8, v49
	v_or_b32_sdwa v51, v49, v51 dst_sel:DWORD dst_unused:UNUSED_PAD src0_sel:BYTE_0 src1_sel:DWORD
	v_lshlrev_b32_e32 v53, 16, v53
	v_or_b32_sdwa v51, v51, v53 dst_sel:DWORD dst_unused:UNUSED_PAD src0_sel:WORD_0 src1_sel:DWORD
	v_cndmask_b32_e64 v49, v49, v51, s[14:15]
	v_add_u32_e32 v61, 1, v58
	v_perm_b32 v51, 0, v49, s34
	v_cndmask_b32_e64 v54, v55, v54, s[20:21]
	v_add_u32_e32 v55, 1, v57
	v_cndmask_b32_e64 v61, v61, v58, s[20:21]
	v_and_or_b32 v51, v49, s33, v51
	v_cndmask_b32_e64 v55, v57, v55, s[20:21]
	v_cndmask_b32_e64 v49, v49, v51, s[16:17]
	v_cmp_ge_i32_e64 s[14:15], v61, v11
	s_waitcnt lgkmcnt(0)
	v_cmp_lt_u16_sdwa s[16:17], v59, v56 src0_sel:BYTE_0 src1_sel:BYTE_0
	v_cmp_lt_i32_e64 s[12:13], v55, v12
	s_or_b64 s[14:15], s[14:15], s[16:17]
	s_and_b64 s[12:13], s[12:13], s[14:15]
	v_cndmask_b32_e64 v51, v61, v55, s[12:13]
	v_lshrrev_b32_e32 v55, 8, v49
	v_cndmask_b32_e64 v57, v58, v57, s[20:21]
	s_barrier
	ds_write_b8 v2, v49
	ds_write_b8 v2, v55 offset:1
	ds_write_b8_d16_hi v2, v49 offset:2
	s_waitcnt lgkmcnt(0)
	s_barrier
	ds_read_u8 v49, v51
	ds_read_u8 v50, v50
	;; [unrolled: 1-line block ×3, first 2 shown]
	v_cndmask_b32_e64 v53, v56, v59, s[12:13]
	s_waitcnt lgkmcnt(0)
	s_barrier
	ds_write_b8 v2, v52
	ds_write_b8 v2, v54 offset:1
	ds_write_b8 v2, v53 offset:2
	v_mov_b32_e32 v53, v26
	s_waitcnt lgkmcnt(0)
	s_barrier
	s_and_saveexec_b64 s[14:15], s[0:1]
	s_cbranch_execz .LBB95_18
; %bb.15:                               ;   in Loop: Header=BB95_2 Depth=1
	s_mov_b64 s[16:17], 0
	v_mov_b32_e32 v53, v26
	v_mov_b32_e32 v52, v23
.LBB95_16:                              ;   Parent Loop BB95_2 Depth=1
                                        ; =>  This Inner Loop Header: Depth=2
	v_sub_u32_e32 v54, v52, v53
	v_lshrrev_b32_e32 v55, 31, v54
	v_add_u32_e32 v54, v54, v55
	v_ashrrev_i32_e32 v54, 1, v54
	v_add_u32_e32 v54, v54, v53
	v_not_b32_e32 v56, v54
	v_add_u32_e32 v55, v8, v54
	v_add3_u32 v56, v4, v56, v13
	ds_read_u8 v55, v55
	ds_read_u8 v56, v56
	v_add_u32_e32 v57, 1, v54
	s_waitcnt lgkmcnt(0)
	v_cmp_lt_u16_e64 s[12:13], v56, v55
	s_nop 1
	v_cndmask_b32_e64 v52, v52, v54, s[12:13]
	v_cndmask_b32_e64 v53, v57, v53, s[12:13]
	v_cmp_ge_i32_e64 s[12:13], v53, v52
	s_or_b64 s[16:17], s[12:13], s[16:17]
	s_andn2_b64 exec, exec, s[16:17]
	s_cbranch_execnz .LBB95_16
; %bb.17:                               ;   in Loop: Header=BB95_2 Depth=1
	s_or_b64 exec, exec, s[16:17]
.LBB95_18:                              ;   in Loop: Header=BB95_2 Depth=1
	s_or_b64 exec, exec, s[14:15]
	v_add_u32_e32 v52, v53, v8
	v_sub_u32_e32 v53, v20, v53
	ds_read_u8 v54, v52
	ds_read_u8 v55, v53
	v_cmp_le_i32_e64 s[14:15], v13, v52
	v_cmp_gt_i32_e64 s[12:13], v14, v53
                                        ; implicit-def: $vgpr56
                                        ; implicit-def: $vgpr57
	s_waitcnt lgkmcnt(0)
	v_cmp_lt_u16_sdwa s[16:17], v55, v54 src0_sel:BYTE_0 src1_sel:BYTE_0
	s_or_b64 s[14:15], s[14:15], s[16:17]
	s_and_b64 s[12:13], s[12:13], s[14:15]
	s_xor_b64 s[14:15], s[12:13], -1
	s_and_saveexec_b64 s[16:17], s[14:15]
	s_xor_b64 s[14:15], exec, s[16:17]
	s_cbranch_execz .LBB95_20
; %bb.19:                               ;   in Loop: Header=BB95_2 Depth=1
	ds_read_u8 v57, v52 offset:1
	v_mov_b32_e32 v56, v55
.LBB95_20:                              ;   in Loop: Header=BB95_2 Depth=1
	s_andn2_saveexec_b64 s[14:15], s[14:15]
	s_cbranch_execz .LBB95_22
; %bb.21:                               ;   in Loop: Header=BB95_2 Depth=1
	ds_read_u8 v56, v53 offset:1
	s_waitcnt lgkmcnt(1)
	v_mov_b32_e32 v57, v54
.LBB95_22:                              ;   in Loop: Header=BB95_2 Depth=1
	s_or_b64 exec, exec, s[14:15]
	v_add_u32_e32 v59, 1, v52
	v_add_u32_e32 v58, 1, v53
	v_cndmask_b32_e64 v59, v59, v52, s[12:13]
	v_cndmask_b32_e64 v58, v53, v58, s[12:13]
	v_cmp_ge_i32_e64 s[16:17], v59, v13
	s_waitcnt lgkmcnt(0)
	v_cmp_lt_u16_sdwa s[18:19], v56, v57 src0_sel:BYTE_0 src1_sel:BYTE_0
	v_cmp_lt_i32_e64 s[14:15], v58, v14
	s_or_b64 s[16:17], s[16:17], s[18:19]
	s_and_b64 s[14:15], s[14:15], s[16:17]
	s_xor_b64 s[16:17], s[14:15], -1
                                        ; implicit-def: $vgpr60
	s_and_saveexec_b64 s[18:19], s[16:17]
	s_xor_b64 s[16:17], exec, s[18:19]
	s_cbranch_execz .LBB95_24
; %bb.23:                               ;   in Loop: Header=BB95_2 Depth=1
	ds_read_u8 v60, v59 offset:1
.LBB95_24:                              ;   in Loop: Header=BB95_2 Depth=1
	s_or_saveexec_b64 s[16:17], s[16:17]
	v_mov_b32_e32 v61, v56
	s_xor_b64 exec, exec, s[16:17]
	s_cbranch_execz .LBB95_26
; %bb.25:                               ;   in Loop: Header=BB95_2 Depth=1
	ds_read_u8 v61, v58 offset:1
	s_waitcnt lgkmcnt(1)
	v_mov_b32_e32 v60, v57
.LBB95_26:                              ;   in Loop: Header=BB95_2 Depth=1
	s_or_b64 exec, exec, s[16:17]
	v_add_u32_e32 v62, 1, v59
	v_cndmask_b32_e64 v56, v57, v56, s[14:15]
	v_add_u32_e32 v57, 1, v58
	v_cndmask_b32_e64 v62, v62, v59, s[14:15]
	v_cndmask_b32_e64 v57, v58, v57, s[14:15]
	;; [unrolled: 1-line block ×3, first 2 shown]
	v_cmp_ge_i32_e64 s[14:15], v62, v13
	s_waitcnt lgkmcnt(0)
	v_cmp_lt_u16_sdwa s[16:17], v61, v60 src0_sel:BYTE_0 src1_sel:BYTE_0
	v_cndmask_b32_e64 v54, v54, v55, s[12:13]
	v_cndmask_b32_e64 v52, v52, v53, s[12:13]
	v_cmp_lt_i32_e64 s[12:13], v57, v14
	s_or_b64 s[14:15], s[14:15], s[16:17]
	s_and_b64 s[12:13], s[12:13], s[14:15]
	v_cndmask_b32_e64 v55, v62, v57, s[12:13]
	s_barrier
	ds_write_b8 v2, v50
	ds_write_b8 v2, v51 offset:1
	ds_write_b8 v2, v49 offset:2
	s_waitcnt lgkmcnt(0)
	s_barrier
	ds_read_u8 v49, v55
	ds_read_u8 v50, v52
	;; [unrolled: 1-line block ×3, first 2 shown]
	v_cndmask_b32_e64 v53, v60, v61, s[12:13]
	s_waitcnt lgkmcnt(0)
	s_barrier
	ds_write_b8 v2, v54
	ds_write_b8 v2, v56 offset:1
	ds_write_b8 v2, v53 offset:2
	v_mov_b32_e32 v53, v27
	s_waitcnt lgkmcnt(0)
	s_barrier
	s_and_saveexec_b64 s[14:15], s[2:3]
	s_cbranch_execz .LBB95_30
; %bb.27:                               ;   in Loop: Header=BB95_2 Depth=1
	s_mov_b64 s[16:17], 0
	v_mov_b32_e32 v53, v27
	v_mov_b32_e32 v52, v24
.LBB95_28:                              ;   Parent Loop BB95_2 Depth=1
                                        ; =>  This Inner Loop Header: Depth=2
	v_sub_u32_e32 v54, v52, v53
	v_lshrrev_b32_e32 v55, 31, v54
	v_add_u32_e32 v54, v54, v55
	v_ashrrev_i32_e32 v54, 1, v54
	v_add_u32_e32 v54, v54, v53
	v_not_b32_e32 v56, v54
	v_add_u32_e32 v55, v9, v54
	v_add3_u32 v56, v5, v56, v15
	ds_read_u8 v55, v55
	ds_read_u8 v56, v56
	v_add_u32_e32 v57, 1, v54
	s_waitcnt lgkmcnt(0)
	v_cmp_lt_u16_e64 s[12:13], v56, v55
	s_nop 1
	v_cndmask_b32_e64 v52, v52, v54, s[12:13]
	v_cndmask_b32_e64 v53, v57, v53, s[12:13]
	v_cmp_ge_i32_e64 s[12:13], v53, v52
	s_or_b64 s[16:17], s[12:13], s[16:17]
	s_andn2_b64 exec, exec, s[16:17]
	s_cbranch_execnz .LBB95_28
; %bb.29:                               ;   in Loop: Header=BB95_2 Depth=1
	s_or_b64 exec, exec, s[16:17]
.LBB95_30:                              ;   in Loop: Header=BB95_2 Depth=1
	s_or_b64 exec, exec, s[14:15]
	v_add_u32_e32 v52, v53, v9
	v_sub_u32_e32 v53, v21, v53
	ds_read_u8 v54, v52
	ds_read_u8 v55, v53
	v_cmp_le_i32_e64 s[14:15], v15, v52
	v_cmp_gt_i32_e64 s[12:13], v16, v53
                                        ; implicit-def: $vgpr56
                                        ; implicit-def: $vgpr57
	s_waitcnt lgkmcnt(0)
	v_cmp_lt_u16_sdwa s[16:17], v55, v54 src0_sel:BYTE_0 src1_sel:BYTE_0
	s_or_b64 s[14:15], s[14:15], s[16:17]
	s_and_b64 s[12:13], s[12:13], s[14:15]
	s_xor_b64 s[14:15], s[12:13], -1
	s_and_saveexec_b64 s[16:17], s[14:15]
	s_xor_b64 s[14:15], exec, s[16:17]
	s_cbranch_execz .LBB95_32
; %bb.31:                               ;   in Loop: Header=BB95_2 Depth=1
	ds_read_u8 v57, v52 offset:1
	v_mov_b32_e32 v56, v55
.LBB95_32:                              ;   in Loop: Header=BB95_2 Depth=1
	s_andn2_saveexec_b64 s[14:15], s[14:15]
	s_cbranch_execz .LBB95_34
; %bb.33:                               ;   in Loop: Header=BB95_2 Depth=1
	ds_read_u8 v56, v53 offset:1
	s_waitcnt lgkmcnt(1)
	v_mov_b32_e32 v57, v54
.LBB95_34:                              ;   in Loop: Header=BB95_2 Depth=1
	s_or_b64 exec, exec, s[14:15]
	v_add_u32_e32 v59, 1, v52
	v_add_u32_e32 v58, 1, v53
	v_cndmask_b32_e64 v59, v59, v52, s[12:13]
	v_cndmask_b32_e64 v58, v53, v58, s[12:13]
	v_cmp_ge_i32_e64 s[16:17], v59, v15
	s_waitcnt lgkmcnt(0)
	v_cmp_lt_u16_sdwa s[18:19], v56, v57 src0_sel:BYTE_0 src1_sel:BYTE_0
	v_cmp_lt_i32_e64 s[14:15], v58, v16
	s_or_b64 s[16:17], s[16:17], s[18:19]
	s_and_b64 s[14:15], s[14:15], s[16:17]
	s_xor_b64 s[16:17], s[14:15], -1
                                        ; implicit-def: $vgpr60
	s_and_saveexec_b64 s[18:19], s[16:17]
	s_xor_b64 s[16:17], exec, s[18:19]
	s_cbranch_execz .LBB95_36
; %bb.35:                               ;   in Loop: Header=BB95_2 Depth=1
	ds_read_u8 v60, v59 offset:1
.LBB95_36:                              ;   in Loop: Header=BB95_2 Depth=1
	s_or_saveexec_b64 s[16:17], s[16:17]
	v_mov_b32_e32 v61, v56
	s_xor_b64 exec, exec, s[16:17]
	s_cbranch_execz .LBB95_38
; %bb.37:                               ;   in Loop: Header=BB95_2 Depth=1
	ds_read_u8 v61, v58 offset:1
	s_waitcnt lgkmcnt(1)
	v_mov_b32_e32 v60, v57
.LBB95_38:                              ;   in Loop: Header=BB95_2 Depth=1
	s_or_b64 exec, exec, s[16:17]
	v_add_u32_e32 v62, 1, v59
	v_cndmask_b32_e64 v56, v57, v56, s[14:15]
	v_add_u32_e32 v57, 1, v58
	v_cndmask_b32_e64 v62, v62, v59, s[14:15]
	v_cndmask_b32_e64 v57, v58, v57, s[14:15]
	;; [unrolled: 1-line block ×3, first 2 shown]
	v_cmp_ge_i32_e64 s[14:15], v62, v15
	s_waitcnt lgkmcnt(0)
	v_cmp_lt_u16_sdwa s[16:17], v61, v60 src0_sel:BYTE_0 src1_sel:BYTE_0
	v_cndmask_b32_e64 v54, v54, v55, s[12:13]
	v_cndmask_b32_e64 v52, v52, v53, s[12:13]
	v_cmp_lt_i32_e64 s[12:13], v57, v16
	s_or_b64 s[14:15], s[14:15], s[16:17]
	s_and_b64 s[12:13], s[12:13], s[14:15]
	v_cndmask_b32_e64 v55, v62, v57, s[12:13]
	s_barrier
	ds_write_b8 v2, v50
	ds_write_b8 v2, v51 offset:1
	ds_write_b8 v2, v49 offset:2
	s_waitcnt lgkmcnt(0)
	s_barrier
	ds_read_u8 v49, v55
	ds_read_u8 v50, v52
	;; [unrolled: 1-line block ×3, first 2 shown]
	v_cndmask_b32_e64 v53, v60, v61, s[12:13]
	s_waitcnt lgkmcnt(0)
	s_barrier
	ds_write_b8 v2, v54
	ds_write_b8 v2, v56 offset:1
	ds_write_b8 v2, v53 offset:2
	v_mov_b32_e32 v53, v28
	s_waitcnt lgkmcnt(0)
	s_barrier
	s_and_saveexec_b64 s[14:15], s[4:5]
	s_cbranch_execz .LBB95_42
; %bb.39:                               ;   in Loop: Header=BB95_2 Depth=1
	s_mov_b64 s[16:17], 0
	v_mov_b32_e32 v53, v28
	v_mov_b32_e32 v52, v29
.LBB95_40:                              ;   Parent Loop BB95_2 Depth=1
                                        ; =>  This Inner Loop Header: Depth=2
	v_sub_u32_e32 v54, v52, v53
	v_lshrrev_b32_e32 v55, 31, v54
	v_add_u32_e32 v54, v54, v55
	v_ashrrev_i32_e32 v54, 1, v54
	v_add_u32_e32 v54, v54, v53
	v_not_b32_e32 v56, v54
	v_add_u32_e32 v55, v10, v54
	v_add3_u32 v56, v6, v56, v17
	ds_read_u8 v55, v55
	ds_read_u8 v56, v56
	v_add_u32_e32 v57, 1, v54
	s_waitcnt lgkmcnt(0)
	v_cmp_lt_u16_e64 s[12:13], v56, v55
	s_nop 1
	v_cndmask_b32_e64 v52, v52, v54, s[12:13]
	v_cndmask_b32_e64 v53, v57, v53, s[12:13]
	v_cmp_ge_i32_e64 s[12:13], v53, v52
	s_or_b64 s[16:17], s[12:13], s[16:17]
	s_andn2_b64 exec, exec, s[16:17]
	s_cbranch_execnz .LBB95_40
; %bb.41:                               ;   in Loop: Header=BB95_2 Depth=1
	s_or_b64 exec, exec, s[16:17]
.LBB95_42:                              ;   in Loop: Header=BB95_2 Depth=1
	s_or_b64 exec, exec, s[14:15]
	v_add_u32_e32 v52, v53, v10
	v_sub_u32_e32 v53, v30, v53
	ds_read_u8 v54, v52
	ds_read_u8 v55, v53
	v_cmp_le_i32_e64 s[14:15], v17, v52
	v_cmp_gt_i32_e64 s[12:13], v18, v53
                                        ; implicit-def: $vgpr56
                                        ; implicit-def: $vgpr57
	s_waitcnt lgkmcnt(0)
	v_cmp_lt_u16_sdwa s[16:17], v55, v54 src0_sel:BYTE_0 src1_sel:BYTE_0
	s_or_b64 s[14:15], s[14:15], s[16:17]
	s_and_b64 s[12:13], s[12:13], s[14:15]
	s_xor_b64 s[14:15], s[12:13], -1
	s_and_saveexec_b64 s[16:17], s[14:15]
	s_xor_b64 s[14:15], exec, s[16:17]
	s_cbranch_execz .LBB95_44
; %bb.43:                               ;   in Loop: Header=BB95_2 Depth=1
	ds_read_u8 v57, v52 offset:1
	v_mov_b32_e32 v56, v55
.LBB95_44:                              ;   in Loop: Header=BB95_2 Depth=1
	s_andn2_saveexec_b64 s[14:15], s[14:15]
	s_cbranch_execz .LBB95_46
; %bb.45:                               ;   in Loop: Header=BB95_2 Depth=1
	ds_read_u8 v56, v53 offset:1
	s_waitcnt lgkmcnt(1)
	v_mov_b32_e32 v57, v54
.LBB95_46:                              ;   in Loop: Header=BB95_2 Depth=1
	s_or_b64 exec, exec, s[14:15]
	v_add_u32_e32 v59, 1, v52
	v_add_u32_e32 v58, 1, v53
	v_cndmask_b32_e64 v59, v59, v52, s[12:13]
	v_cndmask_b32_e64 v58, v53, v58, s[12:13]
	v_cmp_ge_i32_e64 s[16:17], v59, v17
	s_waitcnt lgkmcnt(0)
	v_cmp_lt_u16_sdwa s[18:19], v56, v57 src0_sel:BYTE_0 src1_sel:BYTE_0
	v_cmp_lt_i32_e64 s[14:15], v58, v18
	s_or_b64 s[16:17], s[16:17], s[18:19]
	s_and_b64 s[14:15], s[14:15], s[16:17]
	s_xor_b64 s[16:17], s[14:15], -1
                                        ; implicit-def: $vgpr60
	s_and_saveexec_b64 s[18:19], s[16:17]
	s_xor_b64 s[16:17], exec, s[18:19]
	s_cbranch_execz .LBB95_48
; %bb.47:                               ;   in Loop: Header=BB95_2 Depth=1
	ds_read_u8 v60, v59 offset:1
.LBB95_48:                              ;   in Loop: Header=BB95_2 Depth=1
	s_or_saveexec_b64 s[16:17], s[16:17]
	v_mov_b32_e32 v61, v56
	s_xor_b64 exec, exec, s[16:17]
	s_cbranch_execz .LBB95_50
; %bb.49:                               ;   in Loop: Header=BB95_2 Depth=1
	ds_read_u8 v61, v58 offset:1
	s_waitcnt lgkmcnt(1)
	v_mov_b32_e32 v60, v57
.LBB95_50:                              ;   in Loop: Header=BB95_2 Depth=1
	s_or_b64 exec, exec, s[16:17]
	v_add_u32_e32 v62, 1, v59
	v_cndmask_b32_e64 v56, v57, v56, s[14:15]
	v_add_u32_e32 v57, 1, v58
	v_cndmask_b32_e64 v62, v62, v59, s[14:15]
	v_cndmask_b32_e64 v57, v58, v57, s[14:15]
	;; [unrolled: 1-line block ×3, first 2 shown]
	v_cmp_ge_i32_e64 s[14:15], v62, v17
	s_waitcnt lgkmcnt(0)
	v_cmp_lt_u16_sdwa s[16:17], v61, v60 src0_sel:BYTE_0 src1_sel:BYTE_0
	v_cndmask_b32_e64 v54, v54, v55, s[12:13]
	v_cndmask_b32_e64 v52, v52, v53, s[12:13]
	v_cmp_lt_i32_e64 s[12:13], v57, v18
	s_or_b64 s[14:15], s[14:15], s[16:17]
	s_and_b64 s[12:13], s[12:13], s[14:15]
	v_cndmask_b32_e64 v55, v62, v57, s[12:13]
	s_barrier
	ds_write_b8 v2, v50
	ds_write_b8 v2, v51 offset:1
	ds_write_b8 v2, v49 offset:2
	s_waitcnt lgkmcnt(0)
	s_barrier
	ds_read_u8 v49, v55
	ds_read_u8 v50, v52
	;; [unrolled: 1-line block ×3, first 2 shown]
	v_cndmask_b32_e64 v53, v60, v61, s[12:13]
	s_waitcnt lgkmcnt(0)
	s_barrier
	ds_write_b8 v2, v54
	ds_write_b8 v2, v56 offset:1
	ds_write_b8 v2, v53 offset:2
	v_mov_b32_e32 v53, v35
	s_waitcnt lgkmcnt(0)
	s_barrier
	s_and_saveexec_b64 s[14:15], s[6:7]
	s_cbranch_execz .LBB95_54
; %bb.51:                               ;   in Loop: Header=BB95_2 Depth=1
	s_mov_b64 s[16:17], 0
	v_mov_b32_e32 v53, v35
	v_mov_b32_e32 v52, v36
.LBB95_52:                              ;   Parent Loop BB95_2 Depth=1
                                        ; =>  This Inner Loop Header: Depth=2
	v_sub_u32_e32 v54, v52, v53
	v_lshrrev_b32_e32 v55, 31, v54
	v_add_u32_e32 v54, v54, v55
	v_ashrrev_i32_e32 v54, 1, v54
	v_add_u32_e32 v54, v54, v53
	v_not_b32_e32 v56, v54
	v_add_u32_e32 v55, v32, v54
	v_add3_u32 v56, v31, v56, v33
	ds_read_u8 v55, v55
	ds_read_u8 v56, v56
	v_add_u32_e32 v57, 1, v54
	s_waitcnt lgkmcnt(0)
	v_cmp_lt_u16_e64 s[12:13], v56, v55
	s_nop 1
	v_cndmask_b32_e64 v52, v52, v54, s[12:13]
	v_cndmask_b32_e64 v53, v57, v53, s[12:13]
	v_cmp_ge_i32_e64 s[12:13], v53, v52
	s_or_b64 s[16:17], s[12:13], s[16:17]
	s_andn2_b64 exec, exec, s[16:17]
	s_cbranch_execnz .LBB95_52
; %bb.53:                               ;   in Loop: Header=BB95_2 Depth=1
	s_or_b64 exec, exec, s[16:17]
.LBB95_54:                              ;   in Loop: Header=BB95_2 Depth=1
	s_or_b64 exec, exec, s[14:15]
	v_add_u32_e32 v52, v53, v32
	v_sub_u32_e32 v53, v37, v53
	ds_read_u8 v54, v52
	ds_read_u8 v55, v53
	v_cmp_le_i32_e64 s[14:15], v33, v52
	v_cmp_gt_i32_e64 s[12:13], v34, v53
                                        ; implicit-def: $vgpr56
                                        ; implicit-def: $vgpr57
	s_waitcnt lgkmcnt(0)
	v_cmp_lt_u16_sdwa s[16:17], v55, v54 src0_sel:BYTE_0 src1_sel:BYTE_0
	s_or_b64 s[14:15], s[14:15], s[16:17]
	s_and_b64 s[12:13], s[12:13], s[14:15]
	s_xor_b64 s[14:15], s[12:13], -1
	s_and_saveexec_b64 s[16:17], s[14:15]
	s_xor_b64 s[14:15], exec, s[16:17]
	s_cbranch_execz .LBB95_56
; %bb.55:                               ;   in Loop: Header=BB95_2 Depth=1
	ds_read_u8 v57, v52 offset:1
	v_mov_b32_e32 v56, v55
.LBB95_56:                              ;   in Loop: Header=BB95_2 Depth=1
	s_andn2_saveexec_b64 s[14:15], s[14:15]
	s_cbranch_execz .LBB95_58
; %bb.57:                               ;   in Loop: Header=BB95_2 Depth=1
	ds_read_u8 v56, v53 offset:1
	s_waitcnt lgkmcnt(1)
	v_mov_b32_e32 v57, v54
.LBB95_58:                              ;   in Loop: Header=BB95_2 Depth=1
	s_or_b64 exec, exec, s[14:15]
	v_add_u32_e32 v59, 1, v52
	v_add_u32_e32 v58, 1, v53
	v_cndmask_b32_e64 v59, v59, v52, s[12:13]
	v_cndmask_b32_e64 v58, v53, v58, s[12:13]
	v_cmp_ge_i32_e64 s[16:17], v59, v33
	s_waitcnt lgkmcnt(0)
	v_cmp_lt_u16_sdwa s[18:19], v56, v57 src0_sel:BYTE_0 src1_sel:BYTE_0
	v_cmp_lt_i32_e64 s[14:15], v58, v34
	s_or_b64 s[16:17], s[16:17], s[18:19]
	s_and_b64 s[14:15], s[14:15], s[16:17]
	s_xor_b64 s[16:17], s[14:15], -1
                                        ; implicit-def: $vgpr60
	s_and_saveexec_b64 s[18:19], s[16:17]
	s_xor_b64 s[16:17], exec, s[18:19]
	s_cbranch_execz .LBB95_60
; %bb.59:                               ;   in Loop: Header=BB95_2 Depth=1
	ds_read_u8 v60, v59 offset:1
.LBB95_60:                              ;   in Loop: Header=BB95_2 Depth=1
	s_or_saveexec_b64 s[16:17], s[16:17]
	v_mov_b32_e32 v61, v56
	s_xor_b64 exec, exec, s[16:17]
	s_cbranch_execz .LBB95_62
; %bb.61:                               ;   in Loop: Header=BB95_2 Depth=1
	ds_read_u8 v61, v58 offset:1
	s_waitcnt lgkmcnt(1)
	v_mov_b32_e32 v60, v57
.LBB95_62:                              ;   in Loop: Header=BB95_2 Depth=1
	s_or_b64 exec, exec, s[16:17]
	v_add_u32_e32 v62, 1, v59
	v_cndmask_b32_e64 v56, v57, v56, s[14:15]
	v_add_u32_e32 v57, 1, v58
	v_cndmask_b32_e64 v62, v62, v59, s[14:15]
	v_cndmask_b32_e64 v57, v58, v57, s[14:15]
	;; [unrolled: 1-line block ×3, first 2 shown]
	v_cmp_ge_i32_e64 s[14:15], v62, v33
	s_waitcnt lgkmcnt(0)
	v_cmp_lt_u16_sdwa s[16:17], v61, v60 src0_sel:BYTE_0 src1_sel:BYTE_0
	v_cndmask_b32_e64 v54, v54, v55, s[12:13]
	v_cndmask_b32_e64 v52, v52, v53, s[12:13]
	v_cmp_lt_i32_e64 s[12:13], v57, v34
	s_or_b64 s[14:15], s[14:15], s[16:17]
	s_and_b64 s[12:13], s[12:13], s[14:15]
	v_cndmask_b32_e64 v55, v62, v57, s[12:13]
	s_barrier
	ds_write_b8 v2, v50
	ds_write_b8 v2, v51 offset:1
	ds_write_b8 v2, v49 offset:2
	s_waitcnt lgkmcnt(0)
	s_barrier
	ds_read_u8 v49, v55
	ds_read_u8 v50, v52
	;; [unrolled: 1-line block ×3, first 2 shown]
	v_cndmask_b32_e64 v53, v60, v61, s[12:13]
	s_waitcnt lgkmcnt(0)
	s_barrier
	ds_write_b8 v2, v54
	ds_write_b8 v2, v56 offset:1
	ds_write_b8 v2, v53 offset:2
	v_mov_b32_e32 v53, v43
	s_waitcnt lgkmcnt(0)
	s_barrier
	s_and_saveexec_b64 s[14:15], s[8:9]
	s_cbranch_execz .LBB95_66
; %bb.63:                               ;   in Loop: Header=BB95_2 Depth=1
	s_mov_b64 s[16:17], 0
	v_mov_b32_e32 v53, v43
	v_mov_b32_e32 v52, v44
.LBB95_64:                              ;   Parent Loop BB95_2 Depth=1
                                        ; =>  This Inner Loop Header: Depth=2
	v_sub_u32_e32 v54, v52, v53
	v_lshrrev_b32_e32 v55, 31, v54
	v_add_u32_e32 v54, v54, v55
	v_ashrrev_i32_e32 v54, 1, v54
	v_add_u32_e32 v54, v54, v53
	v_not_b32_e32 v56, v54
	v_add_u32_e32 v55, v39, v54
	v_add3_u32 v56, v38, v56, v40
	ds_read_u8 v55, v55
	ds_read_u8 v56, v56
	v_add_u32_e32 v57, 1, v54
	s_waitcnt lgkmcnt(0)
	v_cmp_lt_u16_e64 s[12:13], v56, v55
	s_nop 1
	v_cndmask_b32_e64 v52, v52, v54, s[12:13]
	v_cndmask_b32_e64 v53, v57, v53, s[12:13]
	v_cmp_ge_i32_e64 s[12:13], v53, v52
	s_or_b64 s[16:17], s[12:13], s[16:17]
	s_andn2_b64 exec, exec, s[16:17]
	s_cbranch_execnz .LBB95_64
; %bb.65:                               ;   in Loop: Header=BB95_2 Depth=1
	s_or_b64 exec, exec, s[16:17]
.LBB95_66:                              ;   in Loop: Header=BB95_2 Depth=1
	s_or_b64 exec, exec, s[14:15]
	v_add_u32_e32 v52, v53, v39
	v_sub_u32_e32 v53, v45, v53
	ds_read_u8 v54, v52
	ds_read_u8 v55, v53
	v_cmp_le_i32_e64 s[14:15], v40, v52
	v_cmp_gt_i32_e64 s[12:13], v42, v53
                                        ; implicit-def: $vgpr56
                                        ; implicit-def: $vgpr57
	s_waitcnt lgkmcnt(0)
	v_cmp_lt_u16_sdwa s[16:17], v55, v54 src0_sel:BYTE_0 src1_sel:BYTE_0
	s_or_b64 s[14:15], s[14:15], s[16:17]
	s_and_b64 s[12:13], s[12:13], s[14:15]
	s_xor_b64 s[14:15], s[12:13], -1
	s_and_saveexec_b64 s[16:17], s[14:15]
	s_xor_b64 s[14:15], exec, s[16:17]
	s_cbranch_execz .LBB95_68
; %bb.67:                               ;   in Loop: Header=BB95_2 Depth=1
	ds_read_u8 v57, v52 offset:1
	v_mov_b32_e32 v56, v55
.LBB95_68:                              ;   in Loop: Header=BB95_2 Depth=1
	s_andn2_saveexec_b64 s[14:15], s[14:15]
	s_cbranch_execz .LBB95_70
; %bb.69:                               ;   in Loop: Header=BB95_2 Depth=1
	ds_read_u8 v56, v53 offset:1
	s_waitcnt lgkmcnt(1)
	v_mov_b32_e32 v57, v54
.LBB95_70:                              ;   in Loop: Header=BB95_2 Depth=1
	s_or_b64 exec, exec, s[14:15]
	v_add_u32_e32 v59, 1, v52
	v_add_u32_e32 v58, 1, v53
	v_cndmask_b32_e64 v59, v59, v52, s[12:13]
	v_cndmask_b32_e64 v58, v53, v58, s[12:13]
	v_cmp_ge_i32_e64 s[16:17], v59, v40
	s_waitcnt lgkmcnt(0)
	v_cmp_lt_u16_sdwa s[18:19], v56, v57 src0_sel:BYTE_0 src1_sel:BYTE_0
	v_cmp_lt_i32_e64 s[14:15], v58, v42
	s_or_b64 s[16:17], s[16:17], s[18:19]
	s_and_b64 s[14:15], s[14:15], s[16:17]
	s_xor_b64 s[16:17], s[14:15], -1
                                        ; implicit-def: $vgpr60
	s_and_saveexec_b64 s[18:19], s[16:17]
	s_xor_b64 s[16:17], exec, s[18:19]
	s_cbranch_execz .LBB95_72
; %bb.71:                               ;   in Loop: Header=BB95_2 Depth=1
	ds_read_u8 v60, v59 offset:1
.LBB95_72:                              ;   in Loop: Header=BB95_2 Depth=1
	s_or_saveexec_b64 s[16:17], s[16:17]
	v_mov_b32_e32 v61, v56
	s_xor_b64 exec, exec, s[16:17]
	s_cbranch_execz .LBB95_74
; %bb.73:                               ;   in Loop: Header=BB95_2 Depth=1
	ds_read_u8 v61, v58 offset:1
	s_waitcnt lgkmcnt(1)
	v_mov_b32_e32 v60, v57
.LBB95_74:                              ;   in Loop: Header=BB95_2 Depth=1
	s_or_b64 exec, exec, s[16:17]
	v_add_u32_e32 v62, 1, v59
	v_cndmask_b32_e64 v56, v57, v56, s[14:15]
	v_add_u32_e32 v57, 1, v58
	v_cndmask_b32_e64 v62, v62, v59, s[14:15]
	v_cndmask_b32_e64 v57, v58, v57, s[14:15]
	;; [unrolled: 1-line block ×3, first 2 shown]
	v_cmp_ge_i32_e64 s[14:15], v62, v40
	s_waitcnt lgkmcnt(0)
	v_cmp_lt_u16_sdwa s[16:17], v61, v60 src0_sel:BYTE_0 src1_sel:BYTE_0
	v_cndmask_b32_e64 v54, v54, v55, s[12:13]
	v_cndmask_b32_e64 v52, v52, v53, s[12:13]
	v_cmp_lt_i32_e64 s[12:13], v57, v42
	s_or_b64 s[14:15], s[14:15], s[16:17]
	s_and_b64 s[12:13], s[12:13], s[14:15]
	v_cndmask_b32_e64 v55, v62, v57, s[12:13]
	s_barrier
	ds_write_b8 v2, v50
	ds_write_b8 v2, v51 offset:1
	ds_write_b8 v2, v49 offset:2
	s_waitcnt lgkmcnt(0)
	s_barrier
	ds_read_u8 v49, v55
	ds_read_u8 v50, v52
	;; [unrolled: 1-line block ×3, first 2 shown]
	v_mov_b32_e32 v52, v46
	v_cndmask_b32_e64 v53, v60, v61, s[12:13]
	s_waitcnt lgkmcnt(0)
	s_barrier
	ds_write_b8 v2, v54
	ds_write_b8 v2, v56 offset:1
	ds_write_b8 v2, v53 offset:2
	s_waitcnt lgkmcnt(0)
	s_barrier
	s_and_saveexec_b64 s[14:15], s[10:11]
	s_cbranch_execz .LBB95_78
; %bb.75:                               ;   in Loop: Header=BB95_2 Depth=1
	s_mov_b64 s[16:17], 0
	v_mov_b32_e32 v52, v46
	v_mov_b32_e32 v53, v47
.LBB95_76:                              ;   Parent Loop BB95_2 Depth=1
                                        ; =>  This Inner Loop Header: Depth=2
	v_sub_u32_e32 v54, v53, v52
	v_lshrrev_b32_e32 v55, 31, v54
	v_add_u32_e32 v54, v54, v55
	v_ashrrev_i32_e32 v54, 1, v54
	v_add_u32_e32 v54, v54, v52
	v_not_b32_e32 v55, v54
	v_add3_u32 v55, v2, v55, v41
	ds_read_u8 v56, v54
	ds_read_u8 v55, v55
	v_add_u32_e32 v57, 1, v54
	s_waitcnt lgkmcnt(0)
	v_cmp_lt_u16_e64 s[12:13], v55, v56
	s_nop 1
	v_cndmask_b32_e64 v53, v53, v54, s[12:13]
	v_cndmask_b32_e64 v52, v57, v52, s[12:13]
	v_cmp_ge_i32_e64 s[12:13], v52, v53
	s_or_b64 s[16:17], s[12:13], s[16:17]
	s_andn2_b64 exec, exec, s[16:17]
	s_cbranch_execnz .LBB95_76
; %bb.77:                               ;   in Loop: Header=BB95_2 Depth=1
	s_or_b64 exec, exec, s[16:17]
.LBB95_78:                              ;   in Loop: Header=BB95_2 Depth=1
	s_or_b64 exec, exec, s[14:15]
	v_sub_u32_e32 v53, v48, v52
	ds_read_u8 v54, v52
	ds_read_u8 v55, v53
	v_cmp_le_i32_e64 s[14:15], v41, v52
	v_cmp_gt_i32_e64 s[12:13], s24, v53
                                        ; implicit-def: $vgpr56
                                        ; implicit-def: $vgpr57
	s_waitcnt lgkmcnt(0)
	v_cmp_lt_u16_sdwa s[16:17], v55, v54 src0_sel:BYTE_0 src1_sel:BYTE_0
	s_or_b64 s[14:15], s[14:15], s[16:17]
	s_and_b64 s[12:13], s[12:13], s[14:15]
	s_xor_b64 s[14:15], s[12:13], -1
	s_and_saveexec_b64 s[16:17], s[14:15]
	s_xor_b64 s[14:15], exec, s[16:17]
	s_cbranch_execz .LBB95_80
; %bb.79:                               ;   in Loop: Header=BB95_2 Depth=1
	ds_read_u8 v57, v52 offset:1
	v_mov_b32_e32 v56, v55
.LBB95_80:                              ;   in Loop: Header=BB95_2 Depth=1
	s_andn2_saveexec_b64 s[14:15], s[14:15]
	s_cbranch_execz .LBB95_82
; %bb.81:                               ;   in Loop: Header=BB95_2 Depth=1
	ds_read_u8 v56, v53 offset:1
	s_waitcnt lgkmcnt(1)
	v_mov_b32_e32 v57, v54
.LBB95_82:                              ;   in Loop: Header=BB95_2 Depth=1
	s_or_b64 exec, exec, s[14:15]
	v_add_u32_e32 v59, 1, v52
	v_add_u32_e32 v58, 1, v53
	v_cndmask_b32_e64 v61, v59, v52, s[12:13]
	v_cndmask_b32_e64 v58, v53, v58, s[12:13]
	v_cmp_ge_i32_e64 s[16:17], v61, v41
	s_waitcnt lgkmcnt(0)
	v_cmp_lt_u16_sdwa s[18:19], v56, v57 src0_sel:BYTE_0 src1_sel:BYTE_0
	v_cmp_gt_i32_e64 s[14:15], s24, v58
	s_or_b64 s[16:17], s[16:17], s[18:19]
	s_and_b64 s[14:15], s[14:15], s[16:17]
	s_xor_b64 s[16:17], s[14:15], -1
                                        ; implicit-def: $vgpr60
                                        ; implicit-def: $vgpr59
	s_and_saveexec_b64 s[18:19], s[16:17]
	s_xor_b64 s[16:17], exec, s[18:19]
	s_cbranch_execz .LBB95_84
; %bb.83:                               ;   in Loop: Header=BB95_2 Depth=1
	ds_read_u8 v60, v61 offset:1
	v_add_u32_e32 v59, 1, v61
.LBB95_84:                              ;   in Loop: Header=BB95_2 Depth=1
	s_or_saveexec_b64 s[16:17], s[16:17]
	v_mov_b32_e32 v62, v61
	v_mov_b32_e32 v63, v56
	s_xor_b64 exec, exec, s[16:17]
	s_cbranch_execz .LBB95_1
; %bb.85:                               ;   in Loop: Header=BB95_2 Depth=1
	ds_read_u8 v63, v58 offset:1
	s_waitcnt lgkmcnt(1)
	v_add_u32_e32 v60, 1, v58
	v_mov_b32_e32 v62, v58
	v_mov_b32_e32 v59, v61
	;; [unrolled: 1-line block ×4, first 2 shown]
	s_branch .LBB95_1
.LBB95_86:
	s_add_u32 s0, s26, s28
	s_addc_u32 s1, s27, 0
	v_add_u16_e32 v2, v54, v56
	v_lshl_add_u64 v[0:1], s[0:1], 0, v[0:1]
	v_add_u16_e32 v3, v55, v51
	v_add_u16_e32 v4, v52, v53
	global_store_byte v[0:1], v2, off
	global_store_byte v[0:1], v3, off offset:128
	global_store_byte v[0:1], v4, off offset:256
	s_endpgm
	.section	.rodata,"a",@progbits
	.p2align	6, 0x0
	.amdhsa_kernel _Z17sort_pairs_kernelIhLj128ELj3EN10test_utils4lessELj10EEvPKT_PS2_T2_
		.amdhsa_group_segment_fixed_size 385
		.amdhsa_private_segment_fixed_size 0
		.amdhsa_kernarg_size 20
		.amdhsa_user_sgpr_count 2
		.amdhsa_user_sgpr_dispatch_ptr 0
		.amdhsa_user_sgpr_queue_ptr 0
		.amdhsa_user_sgpr_kernarg_segment_ptr 1
		.amdhsa_user_sgpr_dispatch_id 0
		.amdhsa_user_sgpr_kernarg_preload_length 0
		.amdhsa_user_sgpr_kernarg_preload_offset 0
		.amdhsa_user_sgpr_private_segment_size 0
		.amdhsa_uses_dynamic_stack 0
		.amdhsa_enable_private_segment 0
		.amdhsa_system_sgpr_workgroup_id_x 1
		.amdhsa_system_sgpr_workgroup_id_y 0
		.amdhsa_system_sgpr_workgroup_id_z 0
		.amdhsa_system_sgpr_workgroup_info 0
		.amdhsa_system_vgpr_workitem_id 0
		.amdhsa_next_free_vgpr 64
		.amdhsa_next_free_sgpr 38
		.amdhsa_accum_offset 64
		.amdhsa_reserve_vcc 1
		.amdhsa_float_round_mode_32 0
		.amdhsa_float_round_mode_16_64 0
		.amdhsa_float_denorm_mode_32 3
		.amdhsa_float_denorm_mode_16_64 3
		.amdhsa_dx10_clamp 1
		.amdhsa_ieee_mode 1
		.amdhsa_fp16_overflow 0
		.amdhsa_tg_split 0
		.amdhsa_exception_fp_ieee_invalid_op 0
		.amdhsa_exception_fp_denorm_src 0
		.amdhsa_exception_fp_ieee_div_zero 0
		.amdhsa_exception_fp_ieee_overflow 0
		.amdhsa_exception_fp_ieee_underflow 0
		.amdhsa_exception_fp_ieee_inexact 0
		.amdhsa_exception_int_div_zero 0
	.end_amdhsa_kernel
	.section	.text._Z17sort_pairs_kernelIhLj128ELj3EN10test_utils4lessELj10EEvPKT_PS2_T2_,"axG",@progbits,_Z17sort_pairs_kernelIhLj128ELj3EN10test_utils4lessELj10EEvPKT_PS2_T2_,comdat
.Lfunc_end95:
	.size	_Z17sort_pairs_kernelIhLj128ELj3EN10test_utils4lessELj10EEvPKT_PS2_T2_, .Lfunc_end95-_Z17sort_pairs_kernelIhLj128ELj3EN10test_utils4lessELj10EEvPKT_PS2_T2_
                                        ; -- End function
	.section	.AMDGPU.csdata,"",@progbits
; Kernel info:
; codeLenInByte = 5240
; NumSgprs: 44
; NumVgprs: 64
; NumAgprs: 0
; TotalNumVgprs: 64
; ScratchSize: 0
; MemoryBound: 0
; FloatMode: 240
; IeeeMode: 1
; LDSByteSize: 385 bytes/workgroup (compile time only)
; SGPRBlocks: 5
; VGPRBlocks: 7
; NumSGPRsForWavesPerEU: 44
; NumVGPRsForWavesPerEU: 64
; AccumOffset: 64
; Occupancy: 8
; WaveLimiterHint : 1
; COMPUTE_PGM_RSRC2:SCRATCH_EN: 0
; COMPUTE_PGM_RSRC2:USER_SGPR: 2
; COMPUTE_PGM_RSRC2:TRAP_HANDLER: 0
; COMPUTE_PGM_RSRC2:TGID_X_EN: 1
; COMPUTE_PGM_RSRC2:TGID_Y_EN: 0
; COMPUTE_PGM_RSRC2:TGID_Z_EN: 0
; COMPUTE_PGM_RSRC2:TIDIG_COMP_CNT: 0
; COMPUTE_PGM_RSRC3_GFX90A:ACCUM_OFFSET: 15
; COMPUTE_PGM_RSRC3_GFX90A:TG_SPLIT: 0
	.section	.text._Z16sort_keys_kernelIhLj128ELj4EN10test_utils4lessELj10EEvPKT_PS2_T2_,"axG",@progbits,_Z16sort_keys_kernelIhLj128ELj4EN10test_utils4lessELj10EEvPKT_PS2_T2_,comdat
	.protected	_Z16sort_keys_kernelIhLj128ELj4EN10test_utils4lessELj10EEvPKT_PS2_T2_ ; -- Begin function _Z16sort_keys_kernelIhLj128ELj4EN10test_utils4lessELj10EEvPKT_PS2_T2_
	.globl	_Z16sort_keys_kernelIhLj128ELj4EN10test_utils4lessELj10EEvPKT_PS2_T2_
	.p2align	8
	.type	_Z16sort_keys_kernelIhLj128ELj4EN10test_utils4lessELj10EEvPKT_PS2_T2_,@function
_Z16sort_keys_kernelIhLj128ELj4EN10test_utils4lessELj10EEvPKT_PS2_T2_: ; @_Z16sort_keys_kernelIhLj128ELj4EN10test_utils4lessELj10EEvPKT_PS2_T2_
; %bb.0:
	s_load_dwordx4 s[20:23], s[0:1], 0x0
	s_lshl_b32 s24, s2, 9
	v_lshlrev_b32_e32 v3, 2, v0
	v_and_b32_e32 v4, 0x1f8, v3
	v_and_b32_e32 v6, 0x1f0, v3
	s_waitcnt lgkmcnt(0)
	s_add_u32 s0, s20, s24
	s_addc_u32 s1, s21, 0
	global_load_ubyte v45, v0, s[0:1] offset:128
	global_load_ubyte v46, v0, s[0:1] offset:384
	global_load_ubyte v47, v0, s[0:1]
	global_load_ubyte v48, v0, s[0:1] offset:256
	v_or_b32_e32 v16, 4, v4
	v_add_u32_e32 v17, 8, v4
	v_and_b32_e32 v5, 4, v3
	v_and_b32_e32 v8, 0x1e0, v3
	v_or_b32_e32 v18, 8, v6
	v_add_u32_e32 v19, 16, v6
	v_sub_u32_e32 v39, v17, v16
	v_and_b32_e32 v7, 12, v3
	v_and_b32_e32 v10, 0x1c0, v3
	v_or_b32_e32 v20, 16, v8
	v_add_u32_e32 v21, 32, v8
	v_sub_u32_e32 v40, v19, v18
	v_sub_u32_e32 v49, v5, v39
	v_cmp_ge_i32_e32 vcc, v5, v39
	v_and_b32_e32 v9, 28, v3
	v_and_b32_e32 v12, 0x180, v3
	v_or_b32_e32 v22, 32, v10
	v_add_u32_e32 v23, 64, v10
	v_sub_u32_e32 v41, v21, v20
	v_sub_u32_e32 v50, v7, v40
	v_cndmask_b32_e32 v39, 0, v49, vcc
	v_cmp_ge_i32_e32 vcc, v7, v40
	v_and_b32_e32 v11, 60, v3
	v_and_b32_e32 v14, 0x100, v3
	v_or_b32_e32 v24, 64, v12
	v_add_u32_e32 v25, 0x80, v12
	v_sub_u32_e32 v42, v23, v22
	v_sub_u32_e32 v51, v9, v41
	v_cndmask_b32_e32 v40, 0, v50, vcc
	v_cmp_ge_i32_e32 vcc, v9, v41
	v_and_b32_e32 v13, 0x7c, v3
	v_or_b32_e32 v26, 0x80, v14
	v_add_u32_e32 v27, 0x100, v14
	v_sub_u32_e32 v43, v25, v24
	v_sub_u32_e32 v52, v11, v42
	v_cndmask_b32_e32 v41, 0, v51, vcc
	v_cmp_ge_i32_e32 vcc, v11, v42
	v_and_b32_e32 v15, 0xfc, v3
	v_sub_u32_e32 v44, v27, v26
	v_sub_u32_e32 v53, v13, v43
	v_cndmask_b32_e32 v42, 0, v52, vcc
	v_cmp_ge_i32_e32 vcc, v13, v43
	v_mov_b32_e32 v2, 0x100
	v_sub_u32_e32 v33, v16, v4
	v_sub_u32_e32 v34, v18, v6
	;; [unrolled: 1-line block ×7, first 2 shown]
	v_cndmask_b32_e32 v43, 0, v53, vcc
	v_cmp_ge_i32_e32 vcc, v15, v44
	v_min_i32_e32 v33, v5, v33
	v_min_i32_e32 v34, v7, v34
	;; [unrolled: 1-line block ×6, first 2 shown]
	v_cndmask_b32_e32 v44, 0, v54, vcc
	s_mov_b32 s20, 0
	v_mov_b32_e32 v1, 0
	s_mov_b32 s21, 0xffff
	v_add_u32_e32 v28, v16, v5
	v_add_u32_e32 v29, v18, v7
	v_add_u32_e32 v30, v20, v9
	v_add_u32_e32 v31, v22, v11
	v_add_u32_e32 v32, v24, v13
	v_cmp_lt_i32_e32 vcc, v39, v33
	v_cmp_lt_i32_e64 s[0:1], v40, v34
	v_cmp_lt_i32_e64 s[2:3], v41, v35
	v_cmp_lt_i32_e64 s[4:5], v42, v36
	v_cmp_lt_i32_e64 s[6:7], v43, v37
	v_cmp_lt_i32_e64 s[8:9], v44, v38
	s_mov_b32 s25, 0x7060405
	s_mov_b32 s26, 0xc0c0001
	s_movk_i32 s27, 0xff00
	s_waitcnt vmcnt(3)
	v_lshlrev_b16_e32 v45, 8, v45
	s_waitcnt vmcnt(2)
	v_lshlrev_b16_e32 v46, 8, v46
	s_waitcnt vmcnt(1)
	v_or_b32_e32 v45, v47, v45
	s_waitcnt vmcnt(0)
	v_or_b32_sdwa v46, v48, v46 dst_sel:WORD_1 dst_unused:UNUSED_PAD src0_sel:DWORD src1_sel:DWORD
	v_min_i32_e32 v47, 0x100, v3
	v_or_b32_sdwa v49, v45, v46 dst_sel:DWORD dst_unused:UNUSED_PAD src0_sel:WORD_0 src1_sel:DWORD
	v_sub_u32_e64 v46, v3, v2 clamp
	v_add_u32_e32 v45, v26, v15
	v_cmp_lt_i32_e64 s[10:11], v46, v47
	v_add_u32_e32 v48, 0x100, v3
	s_mov_b32 s28, 0xffff0000
	s_movk_i32 s29, 0x200
	s_branch .LBB96_2
.LBB96_1:                               ;   in Loop: Header=BB96_2 Depth=1
	s_or_b64 exec, exec, s[18:19]
	v_cndmask_b32_e64 v51, v52, v51, s[14:15]
	v_cndmask_b32_e64 v52, v53, v54, s[16:17]
	v_cmp_ge_i32_e64 s[14:15], v57, v2
	s_waitcnt lgkmcnt(0)
	v_cmp_lt_u16_sdwa s[16:17], v59, v56 src0_sel:BYTE_0 src1_sel:BYTE_0
	v_cndmask_b32_e64 v50, v49, v50, s[12:13]
	v_cmp_gt_i32_e64 s[12:13], s29, v55
	s_or_b64 s[14:15], s[14:15], s[16:17]
	s_and_b64 s[12:13], s[12:13], s[14:15]
	v_cndmask_b32_e64 v53, v56, v59, s[12:13]
	v_lshlrev_b16_e32 v49, 8, v51
	v_lshlrev_b16_e32 v54, 8, v53
	v_or_b32_sdwa v49, v50, v49 dst_sel:DWORD dst_unused:UNUSED_PAD src0_sel:BYTE_0 src1_sel:DWORD
	v_or_b32_sdwa v54, v52, v54 dst_sel:WORD_1 dst_unused:UNUSED_PAD src0_sel:BYTE_0 src1_sel:DWORD
	s_add_i32 s20, s20, 1
	s_cmp_eq_u32 s20, 10
	v_or_b32_sdwa v49, v49, v54 dst_sel:DWORD dst_unused:UNUSED_PAD src0_sel:WORD_0 src1_sel:DWORD
	s_cbranch_scc1 .LBB96_114
.LBB96_2:                               ; =>This Loop Header: Depth=1
                                        ;     Child Loop BB96_4 Depth 2
                                        ;     Child Loop BB96_20 Depth 2
                                        ;     Child Loop BB96_36 Depth 2
                                        ;     Child Loop BB96_52 Depth 2
                                        ;     Child Loop BB96_68 Depth 2
                                        ;     Child Loop BB96_84 Depth 2
                                        ;     Child Loop BB96_100 Depth 2
	v_lshrrev_b32_e32 v51, 8, v49
	v_perm_b32 v50, v49, v49, s25
	v_cmp_lt_u16_sdwa s[12:13], v51, v49 src0_sel:BYTE_0 src1_sel:BYTE_0
	v_min_u16_sdwa v54, v51, v49 dst_sel:DWORD dst_unused:UNUSED_PAD src0_sel:BYTE_0 src1_sel:BYTE_0
	s_nop 0
	v_cndmask_b32_e64 v50, v49, v50, s[12:13]
	v_lshrrev_b32_e32 v52, 16, v50
	v_perm_b32 v53, 0, v52, s26
	v_max_u16_sdwa v49, v51, v49 dst_sel:DWORD dst_unused:UNUSED_PAD src0_sel:BYTE_0 src1_sel:BYTE_0
	v_lshlrev_b32_e32 v51, 16, v53
	v_and_or_b32 v51, v50, s21, v51
	v_cmp_lt_u16_sdwa s[12:13], v50, v52 src0_sel:BYTE_3 src1_sel:BYTE_0
	v_max_u16_sdwa v55, v50, v52 dst_sel:DWORD dst_unused:UNUSED_PAD src0_sel:BYTE_3 src1_sel:BYTE_0
	s_barrier
	v_cndmask_b32_e64 v51, v50, v51, s[12:13]
	v_min_u16_sdwa v50, v50, v52 dst_sel:DWORD dst_unused:UNUSED_PAD src0_sel:BYTE_3 src1_sel:BYTE_0
	v_and_b32_sdwa v53, v51, s27 dst_sel:DWORD dst_unused:UNUSED_PAD src0_sel:WORD_1 src1_sel:DWORD
	v_lshlrev_b16_e32 v52, 8, v50
	v_or_b32_sdwa v53, v49, v53 dst_sel:WORD_1 dst_unused:UNUSED_PAD src0_sel:DWORD src1_sel:DWORD
	v_or_b32_sdwa v52, v51, v52 dst_sel:DWORD dst_unused:UNUSED_PAD src0_sel:BYTE_0 src1_sel:DWORD
	v_or_b32_sdwa v52, v52, v53 dst_sel:DWORD dst_unused:UNUSED_PAD src0_sel:WORD_0 src1_sel:DWORD
	v_cmp_lt_u16_e64 s[12:13], v50, v49
	v_lshlrev_b16_e32 v53, 8, v54
	v_max_u16_e32 v56, v50, v49
	v_cndmask_b32_e64 v51, v51, v52, s[12:13]
	v_min_u16_e32 v52, v50, v49
	v_or_b32_e32 v53, v52, v53
	v_and_b32_e32 v53, 0xffff, v53
	v_and_or_b32 v53, v51, s28, v53
	v_cmp_lt_u16_e64 s[12:13], v50, v54
	s_nop 1
	v_cndmask_b32_e64 v50, v51, v53, s[12:13]
	v_cndmask_b32_e64 v51, v52, v54, s[12:13]
	v_lshlrev_b16_e32 v52, 8, v56
	v_or_b32_sdwa v52, v55, v52 dst_sel:WORD_1 dst_unused:UNUSED_PAD src0_sel:DWORD src1_sel:DWORD
	v_cmp_gt_u16_e64 s[12:13], v49, v55
	v_and_or_b32 v52, v50, s21, v52
	s_nop 0
	v_cndmask_b32_e64 v49, v50, v52, s[12:13]
	v_cndmask_b32_e64 v52, v56, v55, s[12:13]
	v_and_b32_sdwa v50, v49, s27 dst_sel:DWORD dst_unused:UNUSED_PAD src0_sel:WORD_1 src1_sel:DWORD
	v_lshlrev_b16_e32 v53, 8, v52
	v_or_b32_sdwa v50, v51, v50 dst_sel:WORD_1 dst_unused:UNUSED_PAD src0_sel:DWORD src1_sel:DWORD
	v_or_b32_sdwa v53, v49, v53 dst_sel:DWORD dst_unused:UNUSED_PAD src0_sel:BYTE_0 src1_sel:DWORD
	v_or_b32_sdwa v50, v53, v50 dst_sel:DWORD dst_unused:UNUSED_PAD src0_sel:WORD_0 src1_sel:DWORD
	v_cmp_lt_u16_e64 s[12:13], v52, v51
	s_nop 1
	v_cndmask_b32_e64 v49, v49, v50, s[12:13]
	ds_write_b32 v3, v49
	v_mov_b32_e32 v49, v39
	s_waitcnt lgkmcnt(0)
	s_barrier
	s_and_saveexec_b64 s[14:15], vcc
	s_cbranch_execz .LBB96_6
; %bb.3:                                ;   in Loop: Header=BB96_2 Depth=1
	s_mov_b64 s[16:17], 0
	v_mov_b32_e32 v49, v39
	v_mov_b32_e32 v50, v33
.LBB96_4:                               ;   Parent Loop BB96_2 Depth=1
                                        ; =>  This Inner Loop Header: Depth=2
	v_sub_u32_e32 v51, v50, v49
	v_lshrrev_b32_e32 v52, 31, v51
	v_add_u32_e32 v51, v51, v52
	v_ashrrev_i32_e32 v51, 1, v51
	v_add_u32_e32 v51, v51, v49
	v_not_b32_e32 v53, v51
	v_add_u32_e32 v52, v4, v51
	v_add3_u32 v53, v5, v53, v16
	ds_read_u8 v52, v52
	ds_read_u8 v53, v53
	v_add_u32_e32 v54, 1, v51
	s_waitcnt lgkmcnt(0)
	v_cmp_lt_u16_e64 s[12:13], v53, v52
	s_nop 1
	v_cndmask_b32_e64 v50, v50, v51, s[12:13]
	v_cndmask_b32_e64 v49, v54, v49, s[12:13]
	v_cmp_ge_i32_e64 s[12:13], v49, v50
	s_or_b64 s[16:17], s[12:13], s[16:17]
	s_andn2_b64 exec, exec, s[16:17]
	s_cbranch_execnz .LBB96_4
; %bb.5:                                ;   in Loop: Header=BB96_2 Depth=1
	s_or_b64 exec, exec, s[16:17]
.LBB96_6:                               ;   in Loop: Header=BB96_2 Depth=1
	s_or_b64 exec, exec, s[14:15]
	v_add_u32_e32 v53, v49, v4
	v_sub_u32_e32 v54, v28, v49
	ds_read_u8 v49, v53
	ds_read_u8 v50, v54
	v_cmp_le_i32_e64 s[14:15], v16, v53
	v_cmp_gt_i32_e64 s[12:13], v17, v54
                                        ; implicit-def: $vgpr51
                                        ; implicit-def: $vgpr52
	s_waitcnt lgkmcnt(0)
	v_cmp_lt_u16_sdwa s[16:17], v50, v49 src0_sel:BYTE_0 src1_sel:BYTE_0
	s_or_b64 s[14:15], s[14:15], s[16:17]
	s_and_b64 s[12:13], s[12:13], s[14:15]
	s_xor_b64 s[14:15], s[12:13], -1
	s_and_saveexec_b64 s[16:17], s[14:15]
	s_xor_b64 s[14:15], exec, s[16:17]
	s_cbranch_execz .LBB96_8
; %bb.7:                                ;   in Loop: Header=BB96_2 Depth=1
	ds_read_u8 v52, v53 offset:1
	v_mov_b32_e32 v51, v50
.LBB96_8:                               ;   in Loop: Header=BB96_2 Depth=1
	s_andn2_saveexec_b64 s[14:15], s[14:15]
	s_cbranch_execz .LBB96_10
; %bb.9:                                ;   in Loop: Header=BB96_2 Depth=1
	ds_read_u8 v51, v54 offset:1
	s_waitcnt lgkmcnt(1)
	v_mov_b32_e32 v52, v49
.LBB96_10:                              ;   in Loop: Header=BB96_2 Depth=1
	s_or_b64 exec, exec, s[14:15]
	v_add_u32_e32 v56, 1, v53
	v_add_u32_e32 v55, 1, v54
	v_cndmask_b32_e64 v56, v56, v53, s[12:13]
	v_cndmask_b32_e64 v55, v54, v55, s[12:13]
	v_cmp_ge_i32_e64 s[16:17], v56, v16
	s_waitcnt lgkmcnt(0)
	v_cmp_lt_u16_sdwa s[18:19], v51, v52 src0_sel:BYTE_0 src1_sel:BYTE_0
	v_cmp_lt_i32_e64 s[14:15], v55, v17
	s_or_b64 s[16:17], s[16:17], s[18:19]
	s_and_b64 s[14:15], s[14:15], s[16:17]
	s_xor_b64 s[16:17], s[14:15], -1
                                        ; implicit-def: $vgpr53
	s_and_saveexec_b64 s[18:19], s[16:17]
	s_xor_b64 s[16:17], exec, s[18:19]
	s_cbranch_execz .LBB96_12
; %bb.11:                               ;   in Loop: Header=BB96_2 Depth=1
	ds_read_u8 v53, v56 offset:1
.LBB96_12:                              ;   in Loop: Header=BB96_2 Depth=1
	s_or_saveexec_b64 s[16:17], s[16:17]
	v_mov_b32_e32 v54, v51
	s_xor_b64 exec, exec, s[16:17]
	s_cbranch_execz .LBB96_14
; %bb.13:                               ;   in Loop: Header=BB96_2 Depth=1
	ds_read_u8 v54, v55 offset:1
	s_waitcnt lgkmcnt(1)
	v_mov_b32_e32 v53, v52
.LBB96_14:                              ;   in Loop: Header=BB96_2 Depth=1
	s_or_b64 exec, exec, s[16:17]
	v_add_u32_e32 v58, 1, v56
	v_add_u32_e32 v57, 1, v55
	v_cndmask_b32_e64 v56, v58, v56, s[14:15]
	v_cndmask_b32_e64 v55, v55, v57, s[14:15]
	v_cmp_ge_i32_e64 s[18:19], v56, v16
	s_waitcnt lgkmcnt(0)
	v_cmp_lt_u16_sdwa s[30:31], v54, v53 src0_sel:BYTE_0 src1_sel:BYTE_0
	v_cmp_lt_i32_e64 s[16:17], v55, v17
	s_or_b64 s[18:19], s[18:19], s[30:31]
	s_and_b64 s[16:17], s[16:17], s[18:19]
	s_xor_b64 s[18:19], s[16:17], -1
                                        ; implicit-def: $vgpr57
	s_and_saveexec_b64 s[30:31], s[18:19]
	s_xor_b64 s[18:19], exec, s[30:31]
	s_cbranch_execz .LBB96_16
; %bb.15:                               ;   in Loop: Header=BB96_2 Depth=1
	ds_read_u8 v57, v56 offset:1
.LBB96_16:                              ;   in Loop: Header=BB96_2 Depth=1
	s_or_saveexec_b64 s[18:19], s[18:19]
	v_mov_b32_e32 v58, v54
	s_xor_b64 exec, exec, s[18:19]
	s_cbranch_execz .LBB96_18
; %bb.17:                               ;   in Loop: Header=BB96_2 Depth=1
	ds_read_u8 v58, v55 offset:1
	s_waitcnt lgkmcnt(1)
	v_mov_b32_e32 v57, v53
.LBB96_18:                              ;   in Loop: Header=BB96_2 Depth=1
	s_or_b64 exec, exec, s[18:19]
	v_cndmask_b32_e64 v53, v53, v54, s[16:17]
	v_add_u32_e32 v54, 1, v55
	v_add_u32_e32 v59, 1, v56
	v_cndmask_b32_e64 v54, v55, v54, s[16:17]
	v_cndmask_b32_e64 v55, v59, v56, s[16:17]
	;; [unrolled: 1-line block ×3, first 2 shown]
	v_cmp_ge_i32_e64 s[14:15], v55, v16
	s_waitcnt lgkmcnt(0)
	v_cmp_lt_u16_sdwa s[16:17], v58, v57 src0_sel:BYTE_0 src1_sel:BYTE_0
	v_cndmask_b32_e64 v49, v49, v50, s[12:13]
	v_cmp_lt_i32_e64 s[12:13], v54, v17
	s_or_b64 s[14:15], s[14:15], s[16:17]
	s_and_b64 s[12:13], s[12:13], s[14:15]
	v_cndmask_b32_e64 v50, v57, v58, s[12:13]
	s_barrier
	ds_write_b8 v3, v49
	ds_write_b8 v3, v51 offset:1
	ds_write_b8 v3, v53 offset:2
	;; [unrolled: 1-line block ×3, first 2 shown]
	v_mov_b32_e32 v49, v40
	s_waitcnt lgkmcnt(0)
	s_barrier
	s_and_saveexec_b64 s[14:15], s[0:1]
	s_cbranch_execz .LBB96_22
; %bb.19:                               ;   in Loop: Header=BB96_2 Depth=1
	s_mov_b64 s[16:17], 0
	v_mov_b32_e32 v49, v40
	v_mov_b32_e32 v50, v34
.LBB96_20:                              ;   Parent Loop BB96_2 Depth=1
                                        ; =>  This Inner Loop Header: Depth=2
	v_sub_u32_e32 v51, v50, v49
	v_lshrrev_b32_e32 v52, 31, v51
	v_add_u32_e32 v51, v51, v52
	v_ashrrev_i32_e32 v51, 1, v51
	v_add_u32_e32 v51, v51, v49
	v_not_b32_e32 v53, v51
	v_add_u32_e32 v52, v6, v51
	v_add3_u32 v53, v7, v53, v18
	ds_read_u8 v52, v52
	ds_read_u8 v53, v53
	v_add_u32_e32 v54, 1, v51
	s_waitcnt lgkmcnt(0)
	v_cmp_lt_u16_e64 s[12:13], v53, v52
	s_nop 1
	v_cndmask_b32_e64 v50, v50, v51, s[12:13]
	v_cndmask_b32_e64 v49, v54, v49, s[12:13]
	v_cmp_ge_i32_e64 s[12:13], v49, v50
	s_or_b64 s[16:17], s[12:13], s[16:17]
	s_andn2_b64 exec, exec, s[16:17]
	s_cbranch_execnz .LBB96_20
; %bb.21:                               ;   in Loop: Header=BB96_2 Depth=1
	s_or_b64 exec, exec, s[16:17]
.LBB96_22:                              ;   in Loop: Header=BB96_2 Depth=1
	s_or_b64 exec, exec, s[14:15]
	v_add_u32_e32 v53, v49, v6
	v_sub_u32_e32 v54, v29, v49
	ds_read_u8 v49, v53
	ds_read_u8 v50, v54
	v_cmp_le_i32_e64 s[14:15], v18, v53
	v_cmp_gt_i32_e64 s[12:13], v19, v54
                                        ; implicit-def: $vgpr51
                                        ; implicit-def: $vgpr52
	s_waitcnt lgkmcnt(0)
	v_cmp_lt_u16_sdwa s[16:17], v50, v49 src0_sel:BYTE_0 src1_sel:BYTE_0
	s_or_b64 s[14:15], s[14:15], s[16:17]
	s_and_b64 s[12:13], s[12:13], s[14:15]
	s_xor_b64 s[14:15], s[12:13], -1
	s_and_saveexec_b64 s[16:17], s[14:15]
	s_xor_b64 s[14:15], exec, s[16:17]
	s_cbranch_execz .LBB96_24
; %bb.23:                               ;   in Loop: Header=BB96_2 Depth=1
	ds_read_u8 v52, v53 offset:1
	v_mov_b32_e32 v51, v50
.LBB96_24:                              ;   in Loop: Header=BB96_2 Depth=1
	s_andn2_saveexec_b64 s[14:15], s[14:15]
	s_cbranch_execz .LBB96_26
; %bb.25:                               ;   in Loop: Header=BB96_2 Depth=1
	ds_read_u8 v51, v54 offset:1
	s_waitcnt lgkmcnt(1)
	v_mov_b32_e32 v52, v49
.LBB96_26:                              ;   in Loop: Header=BB96_2 Depth=1
	s_or_b64 exec, exec, s[14:15]
	v_add_u32_e32 v56, 1, v53
	v_add_u32_e32 v55, 1, v54
	v_cndmask_b32_e64 v56, v56, v53, s[12:13]
	v_cndmask_b32_e64 v55, v54, v55, s[12:13]
	v_cmp_ge_i32_e64 s[16:17], v56, v18
	s_waitcnt lgkmcnt(0)
	v_cmp_lt_u16_sdwa s[18:19], v51, v52 src0_sel:BYTE_0 src1_sel:BYTE_0
	v_cmp_lt_i32_e64 s[14:15], v55, v19
	s_or_b64 s[16:17], s[16:17], s[18:19]
	s_and_b64 s[14:15], s[14:15], s[16:17]
	s_xor_b64 s[16:17], s[14:15], -1
                                        ; implicit-def: $vgpr53
	s_and_saveexec_b64 s[18:19], s[16:17]
	s_xor_b64 s[16:17], exec, s[18:19]
	s_cbranch_execz .LBB96_28
; %bb.27:                               ;   in Loop: Header=BB96_2 Depth=1
	ds_read_u8 v53, v56 offset:1
.LBB96_28:                              ;   in Loop: Header=BB96_2 Depth=1
	s_or_saveexec_b64 s[16:17], s[16:17]
	v_mov_b32_e32 v54, v51
	s_xor_b64 exec, exec, s[16:17]
	s_cbranch_execz .LBB96_30
; %bb.29:                               ;   in Loop: Header=BB96_2 Depth=1
	ds_read_u8 v54, v55 offset:1
	s_waitcnt lgkmcnt(1)
	v_mov_b32_e32 v53, v52
.LBB96_30:                              ;   in Loop: Header=BB96_2 Depth=1
	s_or_b64 exec, exec, s[16:17]
	v_add_u32_e32 v58, 1, v56
	v_add_u32_e32 v57, 1, v55
	v_cndmask_b32_e64 v56, v58, v56, s[14:15]
	v_cndmask_b32_e64 v55, v55, v57, s[14:15]
	v_cmp_ge_i32_e64 s[18:19], v56, v18
	s_waitcnt lgkmcnt(0)
	v_cmp_lt_u16_sdwa s[30:31], v54, v53 src0_sel:BYTE_0 src1_sel:BYTE_0
	v_cmp_lt_i32_e64 s[16:17], v55, v19
	s_or_b64 s[18:19], s[18:19], s[30:31]
	s_and_b64 s[16:17], s[16:17], s[18:19]
	s_xor_b64 s[18:19], s[16:17], -1
                                        ; implicit-def: $vgpr57
	s_and_saveexec_b64 s[30:31], s[18:19]
	s_xor_b64 s[18:19], exec, s[30:31]
	s_cbranch_execz .LBB96_32
; %bb.31:                               ;   in Loop: Header=BB96_2 Depth=1
	ds_read_u8 v57, v56 offset:1
.LBB96_32:                              ;   in Loop: Header=BB96_2 Depth=1
	s_or_saveexec_b64 s[18:19], s[18:19]
	v_mov_b32_e32 v58, v54
	s_xor_b64 exec, exec, s[18:19]
	s_cbranch_execz .LBB96_34
; %bb.33:                               ;   in Loop: Header=BB96_2 Depth=1
	ds_read_u8 v58, v55 offset:1
	s_waitcnt lgkmcnt(1)
	v_mov_b32_e32 v57, v53
.LBB96_34:                              ;   in Loop: Header=BB96_2 Depth=1
	s_or_b64 exec, exec, s[18:19]
	v_cndmask_b32_e64 v53, v53, v54, s[16:17]
	v_add_u32_e32 v54, 1, v55
	v_add_u32_e32 v59, 1, v56
	v_cndmask_b32_e64 v54, v55, v54, s[16:17]
	v_cndmask_b32_e64 v55, v59, v56, s[16:17]
	;; [unrolled: 1-line block ×3, first 2 shown]
	v_cmp_ge_i32_e64 s[14:15], v55, v18
	s_waitcnt lgkmcnt(0)
	v_cmp_lt_u16_sdwa s[16:17], v58, v57 src0_sel:BYTE_0 src1_sel:BYTE_0
	v_cndmask_b32_e64 v49, v49, v50, s[12:13]
	v_cmp_lt_i32_e64 s[12:13], v54, v19
	s_or_b64 s[14:15], s[14:15], s[16:17]
	s_and_b64 s[12:13], s[12:13], s[14:15]
	v_cndmask_b32_e64 v50, v57, v58, s[12:13]
	s_barrier
	ds_write_b8 v3, v49
	ds_write_b8 v3, v51 offset:1
	ds_write_b8 v3, v53 offset:2
	;; [unrolled: 1-line block ×3, first 2 shown]
	v_mov_b32_e32 v49, v41
	s_waitcnt lgkmcnt(0)
	s_barrier
	s_and_saveexec_b64 s[14:15], s[2:3]
	s_cbranch_execz .LBB96_38
; %bb.35:                               ;   in Loop: Header=BB96_2 Depth=1
	s_mov_b64 s[16:17], 0
	v_mov_b32_e32 v49, v41
	v_mov_b32_e32 v50, v35
.LBB96_36:                              ;   Parent Loop BB96_2 Depth=1
                                        ; =>  This Inner Loop Header: Depth=2
	v_sub_u32_e32 v51, v50, v49
	v_lshrrev_b32_e32 v52, 31, v51
	v_add_u32_e32 v51, v51, v52
	v_ashrrev_i32_e32 v51, 1, v51
	v_add_u32_e32 v51, v51, v49
	v_not_b32_e32 v53, v51
	v_add_u32_e32 v52, v8, v51
	v_add3_u32 v53, v9, v53, v20
	ds_read_u8 v52, v52
	ds_read_u8 v53, v53
	v_add_u32_e32 v54, 1, v51
	s_waitcnt lgkmcnt(0)
	v_cmp_lt_u16_e64 s[12:13], v53, v52
	s_nop 1
	v_cndmask_b32_e64 v50, v50, v51, s[12:13]
	v_cndmask_b32_e64 v49, v54, v49, s[12:13]
	v_cmp_ge_i32_e64 s[12:13], v49, v50
	s_or_b64 s[16:17], s[12:13], s[16:17]
	s_andn2_b64 exec, exec, s[16:17]
	s_cbranch_execnz .LBB96_36
; %bb.37:                               ;   in Loop: Header=BB96_2 Depth=1
	s_or_b64 exec, exec, s[16:17]
.LBB96_38:                              ;   in Loop: Header=BB96_2 Depth=1
	s_or_b64 exec, exec, s[14:15]
	v_add_u32_e32 v53, v49, v8
	v_sub_u32_e32 v54, v30, v49
	ds_read_u8 v49, v53
	ds_read_u8 v50, v54
	v_cmp_le_i32_e64 s[14:15], v20, v53
	v_cmp_gt_i32_e64 s[12:13], v21, v54
                                        ; implicit-def: $vgpr51
                                        ; implicit-def: $vgpr52
	s_waitcnt lgkmcnt(0)
	v_cmp_lt_u16_sdwa s[16:17], v50, v49 src0_sel:BYTE_0 src1_sel:BYTE_0
	s_or_b64 s[14:15], s[14:15], s[16:17]
	s_and_b64 s[12:13], s[12:13], s[14:15]
	s_xor_b64 s[14:15], s[12:13], -1
	s_and_saveexec_b64 s[16:17], s[14:15]
	s_xor_b64 s[14:15], exec, s[16:17]
	s_cbranch_execz .LBB96_40
; %bb.39:                               ;   in Loop: Header=BB96_2 Depth=1
	ds_read_u8 v52, v53 offset:1
	v_mov_b32_e32 v51, v50
.LBB96_40:                              ;   in Loop: Header=BB96_2 Depth=1
	s_andn2_saveexec_b64 s[14:15], s[14:15]
	s_cbranch_execz .LBB96_42
; %bb.41:                               ;   in Loop: Header=BB96_2 Depth=1
	ds_read_u8 v51, v54 offset:1
	s_waitcnt lgkmcnt(1)
	v_mov_b32_e32 v52, v49
.LBB96_42:                              ;   in Loop: Header=BB96_2 Depth=1
	s_or_b64 exec, exec, s[14:15]
	v_add_u32_e32 v56, 1, v53
	v_add_u32_e32 v55, 1, v54
	v_cndmask_b32_e64 v56, v56, v53, s[12:13]
	v_cndmask_b32_e64 v55, v54, v55, s[12:13]
	v_cmp_ge_i32_e64 s[16:17], v56, v20
	s_waitcnt lgkmcnt(0)
	v_cmp_lt_u16_sdwa s[18:19], v51, v52 src0_sel:BYTE_0 src1_sel:BYTE_0
	v_cmp_lt_i32_e64 s[14:15], v55, v21
	s_or_b64 s[16:17], s[16:17], s[18:19]
	s_and_b64 s[14:15], s[14:15], s[16:17]
	s_xor_b64 s[16:17], s[14:15], -1
                                        ; implicit-def: $vgpr53
	s_and_saveexec_b64 s[18:19], s[16:17]
	s_xor_b64 s[16:17], exec, s[18:19]
	s_cbranch_execz .LBB96_44
; %bb.43:                               ;   in Loop: Header=BB96_2 Depth=1
	ds_read_u8 v53, v56 offset:1
.LBB96_44:                              ;   in Loop: Header=BB96_2 Depth=1
	s_or_saveexec_b64 s[16:17], s[16:17]
	v_mov_b32_e32 v54, v51
	s_xor_b64 exec, exec, s[16:17]
	s_cbranch_execz .LBB96_46
; %bb.45:                               ;   in Loop: Header=BB96_2 Depth=1
	ds_read_u8 v54, v55 offset:1
	s_waitcnt lgkmcnt(1)
	v_mov_b32_e32 v53, v52
.LBB96_46:                              ;   in Loop: Header=BB96_2 Depth=1
	s_or_b64 exec, exec, s[16:17]
	v_add_u32_e32 v58, 1, v56
	v_add_u32_e32 v57, 1, v55
	v_cndmask_b32_e64 v56, v58, v56, s[14:15]
	v_cndmask_b32_e64 v55, v55, v57, s[14:15]
	v_cmp_ge_i32_e64 s[18:19], v56, v20
	s_waitcnt lgkmcnt(0)
	v_cmp_lt_u16_sdwa s[30:31], v54, v53 src0_sel:BYTE_0 src1_sel:BYTE_0
	v_cmp_lt_i32_e64 s[16:17], v55, v21
	s_or_b64 s[18:19], s[18:19], s[30:31]
	s_and_b64 s[16:17], s[16:17], s[18:19]
	s_xor_b64 s[18:19], s[16:17], -1
                                        ; implicit-def: $vgpr57
	s_and_saveexec_b64 s[30:31], s[18:19]
	s_xor_b64 s[18:19], exec, s[30:31]
	s_cbranch_execz .LBB96_48
; %bb.47:                               ;   in Loop: Header=BB96_2 Depth=1
	ds_read_u8 v57, v56 offset:1
.LBB96_48:                              ;   in Loop: Header=BB96_2 Depth=1
	s_or_saveexec_b64 s[18:19], s[18:19]
	v_mov_b32_e32 v58, v54
	s_xor_b64 exec, exec, s[18:19]
	s_cbranch_execz .LBB96_50
; %bb.49:                               ;   in Loop: Header=BB96_2 Depth=1
	ds_read_u8 v58, v55 offset:1
	s_waitcnt lgkmcnt(1)
	v_mov_b32_e32 v57, v53
.LBB96_50:                              ;   in Loop: Header=BB96_2 Depth=1
	s_or_b64 exec, exec, s[18:19]
	v_cndmask_b32_e64 v53, v53, v54, s[16:17]
	v_add_u32_e32 v54, 1, v55
	v_add_u32_e32 v59, 1, v56
	v_cndmask_b32_e64 v54, v55, v54, s[16:17]
	v_cndmask_b32_e64 v55, v59, v56, s[16:17]
	;; [unrolled: 1-line block ×3, first 2 shown]
	v_cmp_ge_i32_e64 s[14:15], v55, v20
	s_waitcnt lgkmcnt(0)
	v_cmp_lt_u16_sdwa s[16:17], v58, v57 src0_sel:BYTE_0 src1_sel:BYTE_0
	v_cndmask_b32_e64 v49, v49, v50, s[12:13]
	v_cmp_lt_i32_e64 s[12:13], v54, v21
	s_or_b64 s[14:15], s[14:15], s[16:17]
	s_and_b64 s[12:13], s[12:13], s[14:15]
	v_cndmask_b32_e64 v50, v57, v58, s[12:13]
	s_barrier
	ds_write_b8 v3, v49
	ds_write_b8 v3, v51 offset:1
	ds_write_b8 v3, v53 offset:2
	;; [unrolled: 1-line block ×3, first 2 shown]
	v_mov_b32_e32 v49, v42
	s_waitcnt lgkmcnt(0)
	s_barrier
	s_and_saveexec_b64 s[14:15], s[4:5]
	s_cbranch_execz .LBB96_54
; %bb.51:                               ;   in Loop: Header=BB96_2 Depth=1
	s_mov_b64 s[16:17], 0
	v_mov_b32_e32 v49, v42
	v_mov_b32_e32 v50, v36
.LBB96_52:                              ;   Parent Loop BB96_2 Depth=1
                                        ; =>  This Inner Loop Header: Depth=2
	v_sub_u32_e32 v51, v50, v49
	v_lshrrev_b32_e32 v52, 31, v51
	v_add_u32_e32 v51, v51, v52
	v_ashrrev_i32_e32 v51, 1, v51
	v_add_u32_e32 v51, v51, v49
	v_not_b32_e32 v53, v51
	v_add_u32_e32 v52, v10, v51
	v_add3_u32 v53, v11, v53, v22
	ds_read_u8 v52, v52
	ds_read_u8 v53, v53
	v_add_u32_e32 v54, 1, v51
	s_waitcnt lgkmcnt(0)
	v_cmp_lt_u16_e64 s[12:13], v53, v52
	s_nop 1
	v_cndmask_b32_e64 v50, v50, v51, s[12:13]
	v_cndmask_b32_e64 v49, v54, v49, s[12:13]
	v_cmp_ge_i32_e64 s[12:13], v49, v50
	s_or_b64 s[16:17], s[12:13], s[16:17]
	s_andn2_b64 exec, exec, s[16:17]
	s_cbranch_execnz .LBB96_52
; %bb.53:                               ;   in Loop: Header=BB96_2 Depth=1
	s_or_b64 exec, exec, s[16:17]
.LBB96_54:                              ;   in Loop: Header=BB96_2 Depth=1
	s_or_b64 exec, exec, s[14:15]
	v_add_u32_e32 v53, v49, v10
	v_sub_u32_e32 v54, v31, v49
	ds_read_u8 v49, v53
	ds_read_u8 v50, v54
	v_cmp_le_i32_e64 s[14:15], v22, v53
	v_cmp_gt_i32_e64 s[12:13], v23, v54
                                        ; implicit-def: $vgpr51
                                        ; implicit-def: $vgpr52
	s_waitcnt lgkmcnt(0)
	v_cmp_lt_u16_sdwa s[16:17], v50, v49 src0_sel:BYTE_0 src1_sel:BYTE_0
	s_or_b64 s[14:15], s[14:15], s[16:17]
	s_and_b64 s[12:13], s[12:13], s[14:15]
	s_xor_b64 s[14:15], s[12:13], -1
	s_and_saveexec_b64 s[16:17], s[14:15]
	s_xor_b64 s[14:15], exec, s[16:17]
	s_cbranch_execz .LBB96_56
; %bb.55:                               ;   in Loop: Header=BB96_2 Depth=1
	ds_read_u8 v52, v53 offset:1
	v_mov_b32_e32 v51, v50
.LBB96_56:                              ;   in Loop: Header=BB96_2 Depth=1
	s_andn2_saveexec_b64 s[14:15], s[14:15]
	s_cbranch_execz .LBB96_58
; %bb.57:                               ;   in Loop: Header=BB96_2 Depth=1
	ds_read_u8 v51, v54 offset:1
	s_waitcnt lgkmcnt(1)
	v_mov_b32_e32 v52, v49
.LBB96_58:                              ;   in Loop: Header=BB96_2 Depth=1
	s_or_b64 exec, exec, s[14:15]
	v_add_u32_e32 v56, 1, v53
	v_add_u32_e32 v55, 1, v54
	v_cndmask_b32_e64 v56, v56, v53, s[12:13]
	v_cndmask_b32_e64 v55, v54, v55, s[12:13]
	v_cmp_ge_i32_e64 s[16:17], v56, v22
	s_waitcnt lgkmcnt(0)
	v_cmp_lt_u16_sdwa s[18:19], v51, v52 src0_sel:BYTE_0 src1_sel:BYTE_0
	v_cmp_lt_i32_e64 s[14:15], v55, v23
	s_or_b64 s[16:17], s[16:17], s[18:19]
	s_and_b64 s[14:15], s[14:15], s[16:17]
	s_xor_b64 s[16:17], s[14:15], -1
                                        ; implicit-def: $vgpr53
	s_and_saveexec_b64 s[18:19], s[16:17]
	s_xor_b64 s[16:17], exec, s[18:19]
	s_cbranch_execz .LBB96_60
; %bb.59:                               ;   in Loop: Header=BB96_2 Depth=1
	ds_read_u8 v53, v56 offset:1
.LBB96_60:                              ;   in Loop: Header=BB96_2 Depth=1
	s_or_saveexec_b64 s[16:17], s[16:17]
	v_mov_b32_e32 v54, v51
	s_xor_b64 exec, exec, s[16:17]
	s_cbranch_execz .LBB96_62
; %bb.61:                               ;   in Loop: Header=BB96_2 Depth=1
	ds_read_u8 v54, v55 offset:1
	s_waitcnt lgkmcnt(1)
	v_mov_b32_e32 v53, v52
.LBB96_62:                              ;   in Loop: Header=BB96_2 Depth=1
	s_or_b64 exec, exec, s[16:17]
	v_add_u32_e32 v58, 1, v56
	v_add_u32_e32 v57, 1, v55
	v_cndmask_b32_e64 v56, v58, v56, s[14:15]
	v_cndmask_b32_e64 v55, v55, v57, s[14:15]
	v_cmp_ge_i32_e64 s[18:19], v56, v22
	s_waitcnt lgkmcnt(0)
	v_cmp_lt_u16_sdwa s[30:31], v54, v53 src0_sel:BYTE_0 src1_sel:BYTE_0
	v_cmp_lt_i32_e64 s[16:17], v55, v23
	s_or_b64 s[18:19], s[18:19], s[30:31]
	s_and_b64 s[16:17], s[16:17], s[18:19]
	s_xor_b64 s[18:19], s[16:17], -1
                                        ; implicit-def: $vgpr57
	s_and_saveexec_b64 s[30:31], s[18:19]
	s_xor_b64 s[18:19], exec, s[30:31]
	s_cbranch_execz .LBB96_64
; %bb.63:                               ;   in Loop: Header=BB96_2 Depth=1
	ds_read_u8 v57, v56 offset:1
.LBB96_64:                              ;   in Loop: Header=BB96_2 Depth=1
	s_or_saveexec_b64 s[18:19], s[18:19]
	v_mov_b32_e32 v58, v54
	s_xor_b64 exec, exec, s[18:19]
	s_cbranch_execz .LBB96_66
; %bb.65:                               ;   in Loop: Header=BB96_2 Depth=1
	ds_read_u8 v58, v55 offset:1
	s_waitcnt lgkmcnt(1)
	v_mov_b32_e32 v57, v53
.LBB96_66:                              ;   in Loop: Header=BB96_2 Depth=1
	s_or_b64 exec, exec, s[18:19]
	v_cndmask_b32_e64 v53, v53, v54, s[16:17]
	v_add_u32_e32 v54, 1, v55
	v_add_u32_e32 v59, 1, v56
	v_cndmask_b32_e64 v54, v55, v54, s[16:17]
	v_cndmask_b32_e64 v55, v59, v56, s[16:17]
	;; [unrolled: 1-line block ×3, first 2 shown]
	v_cmp_ge_i32_e64 s[14:15], v55, v22
	s_waitcnt lgkmcnt(0)
	v_cmp_lt_u16_sdwa s[16:17], v58, v57 src0_sel:BYTE_0 src1_sel:BYTE_0
	v_cndmask_b32_e64 v49, v49, v50, s[12:13]
	v_cmp_lt_i32_e64 s[12:13], v54, v23
	s_or_b64 s[14:15], s[14:15], s[16:17]
	s_and_b64 s[12:13], s[12:13], s[14:15]
	v_cndmask_b32_e64 v50, v57, v58, s[12:13]
	s_barrier
	ds_write_b8 v3, v49
	ds_write_b8 v3, v51 offset:1
	ds_write_b8 v3, v53 offset:2
	;; [unrolled: 1-line block ×3, first 2 shown]
	v_mov_b32_e32 v49, v43
	s_waitcnt lgkmcnt(0)
	s_barrier
	s_and_saveexec_b64 s[14:15], s[6:7]
	s_cbranch_execz .LBB96_70
; %bb.67:                               ;   in Loop: Header=BB96_2 Depth=1
	s_mov_b64 s[16:17], 0
	v_mov_b32_e32 v49, v43
	v_mov_b32_e32 v50, v37
.LBB96_68:                              ;   Parent Loop BB96_2 Depth=1
                                        ; =>  This Inner Loop Header: Depth=2
	v_sub_u32_e32 v51, v50, v49
	v_lshrrev_b32_e32 v52, 31, v51
	v_add_u32_e32 v51, v51, v52
	v_ashrrev_i32_e32 v51, 1, v51
	v_add_u32_e32 v51, v51, v49
	v_not_b32_e32 v53, v51
	v_add_u32_e32 v52, v12, v51
	v_add3_u32 v53, v13, v53, v24
	ds_read_u8 v52, v52
	ds_read_u8 v53, v53
	v_add_u32_e32 v54, 1, v51
	s_waitcnt lgkmcnt(0)
	v_cmp_lt_u16_e64 s[12:13], v53, v52
	s_nop 1
	v_cndmask_b32_e64 v50, v50, v51, s[12:13]
	v_cndmask_b32_e64 v49, v54, v49, s[12:13]
	v_cmp_ge_i32_e64 s[12:13], v49, v50
	s_or_b64 s[16:17], s[12:13], s[16:17]
	s_andn2_b64 exec, exec, s[16:17]
	s_cbranch_execnz .LBB96_68
; %bb.69:                               ;   in Loop: Header=BB96_2 Depth=1
	s_or_b64 exec, exec, s[16:17]
.LBB96_70:                              ;   in Loop: Header=BB96_2 Depth=1
	s_or_b64 exec, exec, s[14:15]
	v_add_u32_e32 v53, v49, v12
	v_sub_u32_e32 v54, v32, v49
	ds_read_u8 v49, v53
	ds_read_u8 v50, v54
	v_cmp_le_i32_e64 s[14:15], v24, v53
	v_cmp_gt_i32_e64 s[12:13], v25, v54
                                        ; implicit-def: $vgpr51
                                        ; implicit-def: $vgpr52
	s_waitcnt lgkmcnt(0)
	v_cmp_lt_u16_sdwa s[16:17], v50, v49 src0_sel:BYTE_0 src1_sel:BYTE_0
	s_or_b64 s[14:15], s[14:15], s[16:17]
	s_and_b64 s[12:13], s[12:13], s[14:15]
	s_xor_b64 s[14:15], s[12:13], -1
	s_and_saveexec_b64 s[16:17], s[14:15]
	s_xor_b64 s[14:15], exec, s[16:17]
	s_cbranch_execz .LBB96_72
; %bb.71:                               ;   in Loop: Header=BB96_2 Depth=1
	ds_read_u8 v52, v53 offset:1
	v_mov_b32_e32 v51, v50
.LBB96_72:                              ;   in Loop: Header=BB96_2 Depth=1
	s_andn2_saveexec_b64 s[14:15], s[14:15]
	s_cbranch_execz .LBB96_74
; %bb.73:                               ;   in Loop: Header=BB96_2 Depth=1
	ds_read_u8 v51, v54 offset:1
	s_waitcnt lgkmcnt(1)
	v_mov_b32_e32 v52, v49
.LBB96_74:                              ;   in Loop: Header=BB96_2 Depth=1
	s_or_b64 exec, exec, s[14:15]
	v_add_u32_e32 v56, 1, v53
	v_add_u32_e32 v55, 1, v54
	v_cndmask_b32_e64 v56, v56, v53, s[12:13]
	v_cndmask_b32_e64 v55, v54, v55, s[12:13]
	v_cmp_ge_i32_e64 s[16:17], v56, v24
	s_waitcnt lgkmcnt(0)
	v_cmp_lt_u16_sdwa s[18:19], v51, v52 src0_sel:BYTE_0 src1_sel:BYTE_0
	v_cmp_lt_i32_e64 s[14:15], v55, v25
	s_or_b64 s[16:17], s[16:17], s[18:19]
	s_and_b64 s[14:15], s[14:15], s[16:17]
	s_xor_b64 s[16:17], s[14:15], -1
                                        ; implicit-def: $vgpr53
	s_and_saveexec_b64 s[18:19], s[16:17]
	s_xor_b64 s[16:17], exec, s[18:19]
	s_cbranch_execz .LBB96_76
; %bb.75:                               ;   in Loop: Header=BB96_2 Depth=1
	ds_read_u8 v53, v56 offset:1
.LBB96_76:                              ;   in Loop: Header=BB96_2 Depth=1
	s_or_saveexec_b64 s[16:17], s[16:17]
	v_mov_b32_e32 v54, v51
	s_xor_b64 exec, exec, s[16:17]
	s_cbranch_execz .LBB96_78
; %bb.77:                               ;   in Loop: Header=BB96_2 Depth=1
	ds_read_u8 v54, v55 offset:1
	s_waitcnt lgkmcnt(1)
	v_mov_b32_e32 v53, v52
.LBB96_78:                              ;   in Loop: Header=BB96_2 Depth=1
	s_or_b64 exec, exec, s[16:17]
	v_add_u32_e32 v58, 1, v56
	v_add_u32_e32 v57, 1, v55
	v_cndmask_b32_e64 v56, v58, v56, s[14:15]
	v_cndmask_b32_e64 v55, v55, v57, s[14:15]
	v_cmp_ge_i32_e64 s[18:19], v56, v24
	s_waitcnt lgkmcnt(0)
	v_cmp_lt_u16_sdwa s[30:31], v54, v53 src0_sel:BYTE_0 src1_sel:BYTE_0
	v_cmp_lt_i32_e64 s[16:17], v55, v25
	s_or_b64 s[18:19], s[18:19], s[30:31]
	s_and_b64 s[16:17], s[16:17], s[18:19]
	s_xor_b64 s[18:19], s[16:17], -1
                                        ; implicit-def: $vgpr57
	s_and_saveexec_b64 s[30:31], s[18:19]
	s_xor_b64 s[18:19], exec, s[30:31]
	s_cbranch_execz .LBB96_80
; %bb.79:                               ;   in Loop: Header=BB96_2 Depth=1
	ds_read_u8 v57, v56 offset:1
.LBB96_80:                              ;   in Loop: Header=BB96_2 Depth=1
	s_or_saveexec_b64 s[18:19], s[18:19]
	v_mov_b32_e32 v58, v54
	s_xor_b64 exec, exec, s[18:19]
	s_cbranch_execz .LBB96_82
; %bb.81:                               ;   in Loop: Header=BB96_2 Depth=1
	ds_read_u8 v58, v55 offset:1
	s_waitcnt lgkmcnt(1)
	v_mov_b32_e32 v57, v53
.LBB96_82:                              ;   in Loop: Header=BB96_2 Depth=1
	s_or_b64 exec, exec, s[18:19]
	v_cndmask_b32_e64 v53, v53, v54, s[16:17]
	v_add_u32_e32 v54, 1, v55
	v_add_u32_e32 v59, 1, v56
	v_cndmask_b32_e64 v54, v55, v54, s[16:17]
	v_cndmask_b32_e64 v55, v59, v56, s[16:17]
	;; [unrolled: 1-line block ×3, first 2 shown]
	v_cmp_ge_i32_e64 s[14:15], v55, v24
	s_waitcnt lgkmcnt(0)
	v_cmp_lt_u16_sdwa s[16:17], v58, v57 src0_sel:BYTE_0 src1_sel:BYTE_0
	v_cndmask_b32_e64 v49, v49, v50, s[12:13]
	v_cmp_lt_i32_e64 s[12:13], v54, v25
	s_or_b64 s[14:15], s[14:15], s[16:17]
	s_and_b64 s[12:13], s[12:13], s[14:15]
	v_cndmask_b32_e64 v50, v57, v58, s[12:13]
	s_barrier
	ds_write_b8 v3, v49
	ds_write_b8 v3, v51 offset:1
	ds_write_b8 v3, v53 offset:2
	;; [unrolled: 1-line block ×3, first 2 shown]
	v_mov_b32_e32 v49, v44
	s_waitcnt lgkmcnt(0)
	s_barrier
	s_and_saveexec_b64 s[14:15], s[8:9]
	s_cbranch_execz .LBB96_86
; %bb.83:                               ;   in Loop: Header=BB96_2 Depth=1
	s_mov_b64 s[16:17], 0
	v_mov_b32_e32 v49, v44
	v_mov_b32_e32 v50, v38
.LBB96_84:                              ;   Parent Loop BB96_2 Depth=1
                                        ; =>  This Inner Loop Header: Depth=2
	v_sub_u32_e32 v51, v50, v49
	v_lshrrev_b32_e32 v52, 31, v51
	v_add_u32_e32 v51, v51, v52
	v_ashrrev_i32_e32 v51, 1, v51
	v_add_u32_e32 v51, v51, v49
	v_not_b32_e32 v53, v51
	v_add_u32_e32 v52, v14, v51
	v_add3_u32 v53, v15, v53, v26
	ds_read_u8 v52, v52
	ds_read_u8 v53, v53
	v_add_u32_e32 v54, 1, v51
	s_waitcnt lgkmcnt(0)
	v_cmp_lt_u16_e64 s[12:13], v53, v52
	s_nop 1
	v_cndmask_b32_e64 v50, v50, v51, s[12:13]
	v_cndmask_b32_e64 v49, v54, v49, s[12:13]
	v_cmp_ge_i32_e64 s[12:13], v49, v50
	s_or_b64 s[16:17], s[12:13], s[16:17]
	s_andn2_b64 exec, exec, s[16:17]
	s_cbranch_execnz .LBB96_84
; %bb.85:                               ;   in Loop: Header=BB96_2 Depth=1
	s_or_b64 exec, exec, s[16:17]
.LBB96_86:                              ;   in Loop: Header=BB96_2 Depth=1
	s_or_b64 exec, exec, s[14:15]
	v_add_u32_e32 v53, v49, v14
	v_sub_u32_e32 v54, v45, v49
	ds_read_u8 v49, v53
	ds_read_u8 v50, v54
	v_cmp_le_i32_e64 s[14:15], v26, v53
	v_cmp_gt_i32_e64 s[12:13], v27, v54
                                        ; implicit-def: $vgpr51
                                        ; implicit-def: $vgpr52
	s_waitcnt lgkmcnt(0)
	v_cmp_lt_u16_sdwa s[16:17], v50, v49 src0_sel:BYTE_0 src1_sel:BYTE_0
	s_or_b64 s[14:15], s[14:15], s[16:17]
	s_and_b64 s[12:13], s[12:13], s[14:15]
	s_xor_b64 s[14:15], s[12:13], -1
	s_and_saveexec_b64 s[16:17], s[14:15]
	s_xor_b64 s[14:15], exec, s[16:17]
	s_cbranch_execz .LBB96_88
; %bb.87:                               ;   in Loop: Header=BB96_2 Depth=1
	ds_read_u8 v52, v53 offset:1
	v_mov_b32_e32 v51, v50
.LBB96_88:                              ;   in Loop: Header=BB96_2 Depth=1
	s_andn2_saveexec_b64 s[14:15], s[14:15]
	s_cbranch_execz .LBB96_90
; %bb.89:                               ;   in Loop: Header=BB96_2 Depth=1
	ds_read_u8 v51, v54 offset:1
	s_waitcnt lgkmcnt(1)
	v_mov_b32_e32 v52, v49
.LBB96_90:                              ;   in Loop: Header=BB96_2 Depth=1
	s_or_b64 exec, exec, s[14:15]
	v_add_u32_e32 v56, 1, v53
	v_add_u32_e32 v55, 1, v54
	v_cndmask_b32_e64 v56, v56, v53, s[12:13]
	v_cndmask_b32_e64 v55, v54, v55, s[12:13]
	v_cmp_ge_i32_e64 s[16:17], v56, v26
	s_waitcnt lgkmcnt(0)
	v_cmp_lt_u16_sdwa s[18:19], v51, v52 src0_sel:BYTE_0 src1_sel:BYTE_0
	v_cmp_lt_i32_e64 s[14:15], v55, v27
	s_or_b64 s[16:17], s[16:17], s[18:19]
	s_and_b64 s[14:15], s[14:15], s[16:17]
	s_xor_b64 s[16:17], s[14:15], -1
                                        ; implicit-def: $vgpr53
	s_and_saveexec_b64 s[18:19], s[16:17]
	s_xor_b64 s[16:17], exec, s[18:19]
	s_cbranch_execz .LBB96_92
; %bb.91:                               ;   in Loop: Header=BB96_2 Depth=1
	ds_read_u8 v53, v56 offset:1
.LBB96_92:                              ;   in Loop: Header=BB96_2 Depth=1
	s_or_saveexec_b64 s[16:17], s[16:17]
	v_mov_b32_e32 v54, v51
	s_xor_b64 exec, exec, s[16:17]
	s_cbranch_execz .LBB96_94
; %bb.93:                               ;   in Loop: Header=BB96_2 Depth=1
	ds_read_u8 v54, v55 offset:1
	s_waitcnt lgkmcnt(1)
	v_mov_b32_e32 v53, v52
.LBB96_94:                              ;   in Loop: Header=BB96_2 Depth=1
	s_or_b64 exec, exec, s[16:17]
	v_add_u32_e32 v58, 1, v56
	v_add_u32_e32 v57, 1, v55
	v_cndmask_b32_e64 v56, v58, v56, s[14:15]
	v_cndmask_b32_e64 v55, v55, v57, s[14:15]
	v_cmp_ge_i32_e64 s[18:19], v56, v26
	s_waitcnt lgkmcnt(0)
	v_cmp_lt_u16_sdwa s[30:31], v54, v53 src0_sel:BYTE_0 src1_sel:BYTE_0
	v_cmp_lt_i32_e64 s[16:17], v55, v27
	s_or_b64 s[18:19], s[18:19], s[30:31]
	s_and_b64 s[16:17], s[16:17], s[18:19]
	s_xor_b64 s[18:19], s[16:17], -1
                                        ; implicit-def: $vgpr57
	s_and_saveexec_b64 s[30:31], s[18:19]
	s_xor_b64 s[18:19], exec, s[30:31]
	s_cbranch_execz .LBB96_96
; %bb.95:                               ;   in Loop: Header=BB96_2 Depth=1
	ds_read_u8 v57, v56 offset:1
.LBB96_96:                              ;   in Loop: Header=BB96_2 Depth=1
	s_or_saveexec_b64 s[18:19], s[18:19]
	v_mov_b32_e32 v58, v54
	s_xor_b64 exec, exec, s[18:19]
	s_cbranch_execz .LBB96_98
; %bb.97:                               ;   in Loop: Header=BB96_2 Depth=1
	ds_read_u8 v58, v55 offset:1
	s_waitcnt lgkmcnt(1)
	v_mov_b32_e32 v57, v53
.LBB96_98:                              ;   in Loop: Header=BB96_2 Depth=1
	s_or_b64 exec, exec, s[18:19]
	v_cndmask_b32_e64 v53, v53, v54, s[16:17]
	v_add_u32_e32 v54, 1, v55
	v_add_u32_e32 v59, 1, v56
	v_cndmask_b32_e64 v54, v55, v54, s[16:17]
	v_cndmask_b32_e64 v55, v59, v56, s[16:17]
	;; [unrolled: 1-line block ×3, first 2 shown]
	v_cmp_ge_i32_e64 s[14:15], v55, v26
	s_waitcnt lgkmcnt(0)
	v_cmp_lt_u16_sdwa s[16:17], v58, v57 src0_sel:BYTE_0 src1_sel:BYTE_0
	v_cndmask_b32_e64 v49, v49, v50, s[12:13]
	v_cmp_lt_i32_e64 s[12:13], v54, v27
	s_or_b64 s[14:15], s[14:15], s[16:17]
	s_and_b64 s[12:13], s[12:13], s[14:15]
	v_cndmask_b32_e64 v50, v57, v58, s[12:13]
	s_barrier
	ds_write_b8 v3, v49
	ds_write_b8 v3, v51 offset:1
	ds_write_b8 v3, v53 offset:2
	;; [unrolled: 1-line block ×3, first 2 shown]
	v_mov_b32_e32 v53, v46
	s_waitcnt lgkmcnt(0)
	s_barrier
	s_and_saveexec_b64 s[14:15], s[10:11]
	s_cbranch_execz .LBB96_102
; %bb.99:                               ;   in Loop: Header=BB96_2 Depth=1
	s_mov_b64 s[16:17], 0
	v_mov_b32_e32 v53, v46
	v_mov_b32_e32 v49, v47
.LBB96_100:                             ;   Parent Loop BB96_2 Depth=1
                                        ; =>  This Inner Loop Header: Depth=2
	v_sub_u32_e32 v50, v49, v53
	v_lshrrev_b32_e32 v51, 31, v50
	v_add_u32_e32 v50, v50, v51
	v_ashrrev_i32_e32 v50, 1, v50
	v_add_u32_e32 v50, v50, v53
	v_not_b32_e32 v51, v50
	v_add3_u32 v51, v3, v51, v2
	ds_read_u8 v52, v50
	ds_read_u8 v51, v51
	v_add_u32_e32 v54, 1, v50
	s_waitcnt lgkmcnt(0)
	v_cmp_lt_u16_e64 s[12:13], v51, v52
	s_nop 1
	v_cndmask_b32_e64 v49, v49, v50, s[12:13]
	v_cndmask_b32_e64 v53, v54, v53, s[12:13]
	v_cmp_ge_i32_e64 s[12:13], v53, v49
	s_or_b64 s[16:17], s[12:13], s[16:17]
	s_andn2_b64 exec, exec, s[16:17]
	s_cbranch_execnz .LBB96_100
; %bb.101:                              ;   in Loop: Header=BB96_2 Depth=1
	s_or_b64 exec, exec, s[16:17]
.LBB96_102:                             ;   in Loop: Header=BB96_2 Depth=1
	s_or_b64 exec, exec, s[14:15]
	v_sub_u32_e32 v54, v48, v53
	ds_read_u8 v49, v53
	ds_read_u8 v50, v54
	v_cmp_le_i32_e64 s[14:15], v2, v53
	v_cmp_gt_i32_e64 s[12:13], s29, v54
                                        ; implicit-def: $vgpr51
                                        ; implicit-def: $vgpr52
	s_waitcnt lgkmcnt(0)
	v_cmp_lt_u16_sdwa s[16:17], v50, v49 src0_sel:BYTE_0 src1_sel:BYTE_0
	s_or_b64 s[14:15], s[14:15], s[16:17]
	s_and_b64 s[12:13], s[12:13], s[14:15]
	s_xor_b64 s[14:15], s[12:13], -1
	s_and_saveexec_b64 s[16:17], s[14:15]
	s_xor_b64 s[14:15], exec, s[16:17]
	s_cbranch_execz .LBB96_104
; %bb.103:                              ;   in Loop: Header=BB96_2 Depth=1
	ds_read_u8 v52, v53 offset:1
	v_mov_b32_e32 v51, v50
.LBB96_104:                             ;   in Loop: Header=BB96_2 Depth=1
	s_andn2_saveexec_b64 s[14:15], s[14:15]
	s_cbranch_execz .LBB96_106
; %bb.105:                              ;   in Loop: Header=BB96_2 Depth=1
	ds_read_u8 v51, v54 offset:1
	s_waitcnt lgkmcnt(1)
	v_mov_b32_e32 v52, v49
.LBB96_106:                             ;   in Loop: Header=BB96_2 Depth=1
	s_or_b64 exec, exec, s[14:15]
	v_add_u32_e32 v56, 1, v53
	v_add_u32_e32 v55, 1, v54
	v_cndmask_b32_e64 v56, v56, v53, s[12:13]
	v_cndmask_b32_e64 v55, v54, v55, s[12:13]
	v_cmp_ge_i32_e64 s[16:17], v56, v2
	s_waitcnt lgkmcnt(0)
	v_cmp_lt_u16_sdwa s[18:19], v51, v52 src0_sel:BYTE_0 src1_sel:BYTE_0
	v_cmp_gt_i32_e64 s[14:15], s29, v55
	s_or_b64 s[16:17], s[16:17], s[18:19]
	s_and_b64 s[14:15], s[14:15], s[16:17]
	s_xor_b64 s[16:17], s[14:15], -1
                                        ; implicit-def: $vgpr53
	s_and_saveexec_b64 s[18:19], s[16:17]
	s_xor_b64 s[16:17], exec, s[18:19]
	s_cbranch_execz .LBB96_108
; %bb.107:                              ;   in Loop: Header=BB96_2 Depth=1
	ds_read_u8 v53, v56 offset:1
.LBB96_108:                             ;   in Loop: Header=BB96_2 Depth=1
	s_or_saveexec_b64 s[16:17], s[16:17]
	v_mov_b32_e32 v54, v51
	s_xor_b64 exec, exec, s[16:17]
	s_cbranch_execz .LBB96_110
; %bb.109:                              ;   in Loop: Header=BB96_2 Depth=1
	ds_read_u8 v54, v55 offset:1
	s_waitcnt lgkmcnt(1)
	v_mov_b32_e32 v53, v52
.LBB96_110:                             ;   in Loop: Header=BB96_2 Depth=1
	s_or_b64 exec, exec, s[16:17]
	v_add_u32_e32 v58, 1, v56
	v_add_u32_e32 v57, 1, v55
	v_cndmask_b32_e64 v58, v58, v56, s[14:15]
	v_cndmask_b32_e64 v55, v55, v57, s[14:15]
	v_cmp_ge_i32_e64 s[18:19], v58, v2
	s_waitcnt lgkmcnt(0)
	v_cmp_lt_u16_sdwa s[30:31], v54, v53 src0_sel:BYTE_0 src1_sel:BYTE_0
	v_cmp_gt_i32_e64 s[16:17], s29, v55
	s_or_b64 s[18:19], s[18:19], s[30:31]
	s_and_b64 s[16:17], s[16:17], s[18:19]
	s_xor_b64 s[18:19], s[16:17], -1
                                        ; implicit-def: $vgpr56
                                        ; implicit-def: $vgpr57
	s_and_saveexec_b64 s[30:31], s[18:19]
	s_xor_b64 s[18:19], exec, s[30:31]
	s_cbranch_execz .LBB96_112
; %bb.111:                              ;   in Loop: Header=BB96_2 Depth=1
	ds_read_u8 v56, v58 offset:1
	v_add_u32_e32 v57, 1, v58
                                        ; implicit-def: $vgpr58
.LBB96_112:                             ;   in Loop: Header=BB96_2 Depth=1
	s_or_saveexec_b64 s[18:19], s[18:19]
	v_mov_b32_e32 v59, v54
	s_xor_b64 exec, exec, s[18:19]
	s_cbranch_execz .LBB96_1
; %bb.113:                              ;   in Loop: Header=BB96_2 Depth=1
	ds_read_u8 v59, v55 offset:1
	v_add_u32_e32 v55, 1, v55
	v_mov_b32_e32 v57, v58
	s_waitcnt lgkmcnt(1)
	v_mov_b32_e32 v56, v53
	s_branch .LBB96_1
.LBB96_114:
	s_add_u32 s0, s22, s24
	s_addc_u32 s1, s23, 0
	v_lshl_add_u64 v[0:1], s[0:1], 0, v[0:1]
	global_store_byte v[0:1], v50, off
	global_store_byte v[0:1], v51, off offset:128
	global_store_byte v[0:1], v52, off offset:256
	;; [unrolled: 1-line block ×3, first 2 shown]
	s_endpgm
	.section	.rodata,"a",@progbits
	.p2align	6, 0x0
	.amdhsa_kernel _Z16sort_keys_kernelIhLj128ELj4EN10test_utils4lessELj10EEvPKT_PS2_T2_
		.amdhsa_group_segment_fixed_size 513
		.amdhsa_private_segment_fixed_size 0
		.amdhsa_kernarg_size 20
		.amdhsa_user_sgpr_count 2
		.amdhsa_user_sgpr_dispatch_ptr 0
		.amdhsa_user_sgpr_queue_ptr 0
		.amdhsa_user_sgpr_kernarg_segment_ptr 1
		.amdhsa_user_sgpr_dispatch_id 0
		.amdhsa_user_sgpr_kernarg_preload_length 0
		.amdhsa_user_sgpr_kernarg_preload_offset 0
		.amdhsa_user_sgpr_private_segment_size 0
		.amdhsa_uses_dynamic_stack 0
		.amdhsa_enable_private_segment 0
		.amdhsa_system_sgpr_workgroup_id_x 1
		.amdhsa_system_sgpr_workgroup_id_y 0
		.amdhsa_system_sgpr_workgroup_id_z 0
		.amdhsa_system_sgpr_workgroup_info 0
		.amdhsa_system_vgpr_workitem_id 0
		.amdhsa_next_free_vgpr 60
		.amdhsa_next_free_sgpr 32
		.amdhsa_accum_offset 60
		.amdhsa_reserve_vcc 1
		.amdhsa_float_round_mode_32 0
		.amdhsa_float_round_mode_16_64 0
		.amdhsa_float_denorm_mode_32 3
		.amdhsa_float_denorm_mode_16_64 3
		.amdhsa_dx10_clamp 1
		.amdhsa_ieee_mode 1
		.amdhsa_fp16_overflow 0
		.amdhsa_tg_split 0
		.amdhsa_exception_fp_ieee_invalid_op 0
		.amdhsa_exception_fp_denorm_src 0
		.amdhsa_exception_fp_ieee_div_zero 0
		.amdhsa_exception_fp_ieee_overflow 0
		.amdhsa_exception_fp_ieee_underflow 0
		.amdhsa_exception_fp_ieee_inexact 0
		.amdhsa_exception_int_div_zero 0
	.end_amdhsa_kernel
	.section	.text._Z16sort_keys_kernelIhLj128ELj4EN10test_utils4lessELj10EEvPKT_PS2_T2_,"axG",@progbits,_Z16sort_keys_kernelIhLj128ELj4EN10test_utils4lessELj10EEvPKT_PS2_T2_,comdat
.Lfunc_end96:
	.size	_Z16sort_keys_kernelIhLj128ELj4EN10test_utils4lessELj10EEvPKT_PS2_T2_, .Lfunc_end96-_Z16sort_keys_kernelIhLj128ELj4EN10test_utils4lessELj10EEvPKT_PS2_T2_
                                        ; -- End function
	.section	.AMDGPU.csdata,"",@progbits
; Kernel info:
; codeLenInByte = 5348
; NumSgprs: 38
; NumVgprs: 60
; NumAgprs: 0
; TotalNumVgprs: 60
; ScratchSize: 0
; MemoryBound: 0
; FloatMode: 240
; IeeeMode: 1
; LDSByteSize: 513 bytes/workgroup (compile time only)
; SGPRBlocks: 4
; VGPRBlocks: 7
; NumSGPRsForWavesPerEU: 38
; NumVGPRsForWavesPerEU: 60
; AccumOffset: 60
; Occupancy: 8
; WaveLimiterHint : 1
; COMPUTE_PGM_RSRC2:SCRATCH_EN: 0
; COMPUTE_PGM_RSRC2:USER_SGPR: 2
; COMPUTE_PGM_RSRC2:TRAP_HANDLER: 0
; COMPUTE_PGM_RSRC2:TGID_X_EN: 1
; COMPUTE_PGM_RSRC2:TGID_Y_EN: 0
; COMPUTE_PGM_RSRC2:TGID_Z_EN: 0
; COMPUTE_PGM_RSRC2:TIDIG_COMP_CNT: 0
; COMPUTE_PGM_RSRC3_GFX90A:ACCUM_OFFSET: 14
; COMPUTE_PGM_RSRC3_GFX90A:TG_SPLIT: 0
	.section	.text._Z17sort_pairs_kernelIhLj128ELj4EN10test_utils4lessELj10EEvPKT_PS2_T2_,"axG",@progbits,_Z17sort_pairs_kernelIhLj128ELj4EN10test_utils4lessELj10EEvPKT_PS2_T2_,comdat
	.protected	_Z17sort_pairs_kernelIhLj128ELj4EN10test_utils4lessELj10EEvPKT_PS2_T2_ ; -- Begin function _Z17sort_pairs_kernelIhLj128ELj4EN10test_utils4lessELj10EEvPKT_PS2_T2_
	.globl	_Z17sort_pairs_kernelIhLj128ELj4EN10test_utils4lessELj10EEvPKT_PS2_T2_
	.p2align	8
	.type	_Z17sort_pairs_kernelIhLj128ELj4EN10test_utils4lessELj10EEvPKT_PS2_T2_,@function
_Z17sort_pairs_kernelIhLj128ELj4EN10test_utils4lessELj10EEvPKT_PS2_T2_: ; @_Z17sort_pairs_kernelIhLj128ELj4EN10test_utils4lessELj10EEvPKT_PS2_T2_
; %bb.0:
	s_load_dwordx4 s[36:39], s[0:1], 0x0
	s_lshl_b32 s33, s2, 9
	v_lshlrev_b32_e32 v3, 2, v0
	v_and_b32_e32 v4, 0x1f8, v3
	v_and_b32_e32 v6, 0x1f0, v3
	s_waitcnt lgkmcnt(0)
	s_add_u32 s0, s36, s33
	s_addc_u32 s1, s37, 0
	global_load_ubyte v42, v0, s[0:1] offset:128
	global_load_ubyte v43, v0, s[0:1] offset:384
	global_load_ubyte v44, v0, s[0:1]
	global_load_ubyte v45, v0, s[0:1] offset:256
	v_or_b32_e32 v16, 4, v4
	v_add_u32_e32 v17, 8, v4
	v_and_b32_e32 v5, 4, v3
	v_or_b32_e32 v18, 8, v6
	v_add_u32_e32 v19, 16, v6
	v_sub_u32_e32 v37, v17, v16
	v_and_b32_e32 v7, 12, v3
	v_and_b32_e32 v8, 0x1e0, v3
	v_sub_u32_e32 v38, v19, v18
	v_sub_u32_e32 v46, v5, v37
	v_cmp_ge_i32_e32 vcc, v5, v37
	v_and_b32_e32 v10, 0x1c0, v3
	v_or_b32_e32 v20, 16, v8
	v_add_u32_e32 v21, 32, v8
	v_sub_u32_e32 v47, v7, v38
	v_cndmask_b32_e32 v37, 0, v46, vcc
	v_cmp_ge_i32_e32 vcc, v7, v38
	v_and_b32_e32 v9, 28, v3
	v_or_b32_e32 v22, 32, v10
	v_add_u32_e32 v23, 64, v10
	v_sub_u32_e32 v39, v21, v20
	v_cndmask_b32_e32 v38, 0, v47, vcc
	s_movk_i32 s8, 0x100
	v_and_b32_e32 v11, 60, v3
	v_and_b32_e32 v12, 0x180, v3
	v_sub_u32_e32 v40, v23, v22
	v_sub_u32_e32 v48, v9, v39
	v_cmp_ge_i32_e32 vcc, v9, v39
	v_and_b32_e32 v14, 0x100, v3
	v_or_b32_e32 v24, 64, v12
	v_add_u32_e32 v25, 0x80, v12
	v_sub_u32_e32 v49, v11, v40
	v_cndmask_b32_e32 v39, 0, v48, vcc
	v_cmp_ge_i32_e32 vcc, v11, v40
	v_and_b32_e32 v13, 0x7c, v3
	v_or_b32_e32 v26, 0x80, v14
	v_sub_u32_e32 v41, v25, v24
	v_cndmask_b32_e32 v40, 0, v49, vcc
	v_and_b32_e32 v15, 0xfc, v3
	v_sub_u32_e32 v50, v13, v41
	v_cmp_ge_i32_e32 vcc, v13, v41
	v_mov_b32_e32 v2, 0x100
	v_sub_u32_e32 v32, v16, v4
	v_sub_u32_e32 v33, v18, v6
	;; [unrolled: 1-line block ×5, first 2 shown]
	v_cndmask_b32_e32 v41, 0, v50, vcc
	v_min_i32_e32 v32, v5, v32
	v_min_i32_e32 v33, v7, v33
	;; [unrolled: 1-line block ×5, first 2 shown]
	s_mov_b32 s34, 0
	v_mov_b32_e32 v1, 0
	s_mov_b32 s35, 0xffff
	v_add_u32_e32 v27, v16, v5
	v_add_u32_e32 v28, v18, v7
	;; [unrolled: 1-line block ×5, first 2 shown]
	v_cmp_lt_i32_e32 vcc, v37, v32
	v_cmp_lt_i32_e64 s[0:1], v38, v33
	v_cmp_lt_i32_e64 s[2:3], v39, v34
	;; [unrolled: 1-line block ×4, first 2 shown]
	v_add_u32_e32 v48, 0x100, v3
	s_mov_b32 s36, 0x7060405
	s_mov_b32 s37, 0xc0c0001
	s_movk_i32 s40, 0xff00
	s_mov_b32 s41, 0xffff0000
	s_mov_b32 s42, 0x7050604
	s_movk_i32 s43, 0x200
	s_waitcnt vmcnt(3)
	v_lshlrev_b16_e32 v42, 8, v42
	s_waitcnt vmcnt(2)
	v_lshlrev_b16_e32 v43, 8, v43
	s_waitcnt vmcnt(1)
	v_add_u16_e32 v46, 1, v44
	s_waitcnt vmcnt(0)
	v_add_u16_e32 v47, 1, v45
	v_or_b32_e32 v44, v44, v42
	v_or_b32_sdwa v45, v45, v43 dst_sel:WORD_1 dst_unused:UNUSED_PAD src0_sel:DWORD src1_sel:DWORD
	v_or_b32_sdwa v42, v42, v46 dst_sel:DWORD dst_unused:UNUSED_PAD src0_sel:DWORD src1_sel:BYTE_0
	v_or_b32_sdwa v43, v43, v47 dst_sel:DWORD dst_unused:UNUSED_PAD src0_sel:DWORD src1_sel:BYTE_0
	v_add_u16_e32 v42, 0x100, v42
	v_add_u16_sdwa v43, v43, s8 dst_sel:WORD_1 dst_unused:UNUSED_PAD src0_sel:DWORD src1_sel:DWORD
	v_or_b32_sdwa v50, v44, v45 dst_sel:DWORD dst_unused:UNUSED_PAD src0_sel:WORD_0 src1_sel:DWORD
	v_or_b32_e32 v49, v42, v43
	v_add_u32_e32 v42, 0x100, v14
	v_sub_u32_e32 v43, v42, v26
	v_sub_u32_e32 v44, v26, v14
	;; [unrolled: 1-line block ×3, first 2 shown]
	v_cmp_ge_i32_e64 s[8:9], v15, v43
	v_min_i32_e32 v44, v15, v44
	v_sub_u32_e64 v46, v3, v2 clamp
	v_cndmask_b32_e64 v43, 0, v45, s[8:9]
	v_min_i32_e32 v47, 0x100, v3
	v_cmp_lt_i32_e64 s[8:9], v43, v44
	v_add_u32_e32 v45, v26, v15
	v_cmp_lt_i32_e64 s[10:11], v46, v47
	s_branch .LBB97_2
.LBB97_1:                               ;   in Loop: Header=BB97_2 Depth=1
	s_or_b64 exec, exec, s[18:19]
	v_cndmask_b32_e64 v55, v55, v56, s[12:13]
	v_cndmask_b32_e64 v56, v58, v57, s[14:15]
	;; [unrolled: 1-line block ×4, first 2 shown]
	v_cmp_ge_i32_e64 s[14:15], v64, v2
	s_waitcnt lgkmcnt(0)
	v_cmp_lt_u16_sdwa s[16:17], v68, v65 src0_sel:BYTE_0 src1_sel:BYTE_0
	v_cndmask_b32_e64 v54, v53, v54, s[12:13]
	v_cmp_gt_i32_e64 s[12:13], s43, v63
	s_or_b64 s[14:15], s[14:15], s[16:17]
	s_and_b64 s[12:13], s[12:13], s[14:15]
	v_cndmask_b32_e64 v60, v64, v63, s[12:13]
	s_barrier
	ds_write_b8 v3, v50
	ds_write_b8 v3, v51 offset:1
	ds_write_b8 v3, v52 offset:2
	;; [unrolled: 1-line block ×3, first 2 shown]
	s_waitcnt lgkmcnt(0)
	s_barrier
	ds_read_u8 v51, v66
	ds_read_u8 v52, v60
	;; [unrolled: 1-line block ×4, first 2 shown]
	v_cndmask_b32_e64 v53, v65, v68, s[12:13]
	v_lshlrev_b16_e32 v59, 8, v56
	v_lshlrev_b16_e32 v50, 8, v53
	v_or_b32_sdwa v49, v55, v59 dst_sel:DWORD dst_unused:UNUSED_PAD src0_sel:BYTE_0 src1_sel:DWORD
	v_or_b32_sdwa v50, v57, v50 dst_sel:WORD_1 dst_unused:UNUSED_PAD src0_sel:BYTE_0 src1_sel:DWORD
	s_waitcnt lgkmcnt(2)
	v_lshlrev_b16_e32 v59, 8, v52
	v_or_b32_sdwa v50, v49, v50 dst_sel:DWORD dst_unused:UNUSED_PAD src0_sel:WORD_0 src1_sel:DWORD
	s_waitcnt lgkmcnt(0)
	v_lshlrev_b16_e32 v49, 8, v58
	v_or_b32_e32 v49, v54, v49
	v_or_b32_sdwa v59, v51, v59 dst_sel:WORD_1 dst_unused:UNUSED_PAD src0_sel:DWORD src1_sel:DWORD
	s_add_i32 s34, s34, 1
	s_cmp_eq_u32 s34, 10
	v_or_b32_sdwa v49, v49, v59 dst_sel:DWORD dst_unused:UNUSED_PAD src0_sel:WORD_0 src1_sel:DWORD
	s_cbranch_scc1 .LBB97_114
.LBB97_2:                               ; =>This Loop Header: Depth=1
                                        ;     Child Loop BB97_4 Depth 2
                                        ;     Child Loop BB97_20 Depth 2
	;; [unrolled: 1-line block ×7, first 2 shown]
	v_lshrrev_b32_e32 v52, 8, v50
	v_perm_b32 v51, v50, v50, s36
	v_cmp_lt_u16_sdwa s[12:13], v52, v50 src0_sel:BYTE_0 src1_sel:BYTE_0
	s_barrier
	s_nop 0
	v_cndmask_b32_e64 v50, v50, v51, s[12:13]
	v_lshrrev_b32_e32 v51, 16, v50
	v_perm_b32 v52, 0, v51, s37
	v_lshlrev_b32_e32 v52, 16, v52
	v_and_or_b32 v52, v50, s35, v52
	v_cmp_lt_u16_sdwa s[14:15], v50, v51 src0_sel:BYTE_3 src1_sel:BYTE_0
	s_nop 1
	v_cndmask_b32_e64 v52, v50, v52, s[14:15]
	v_min_u16_sdwa v50, v50, v51 dst_sel:DWORD dst_unused:UNUSED_PAD src0_sel:BYTE_3 src1_sel:BYTE_0
	v_and_b32_sdwa v53, v52, s40 dst_sel:DWORD dst_unused:UNUSED_PAD src0_sel:WORD_1 src1_sel:DWORD
	v_lshlrev_b16_e32 v54, 8, v50
	v_or_b32_sdwa v53, v52, v53 dst_sel:WORD_1 dst_unused:UNUSED_PAD src0_sel:BYTE_1 src1_sel:DWORD
	v_lshrrev_b32_e32 v51, 8, v52
	v_or_b32_sdwa v54, v52, v54 dst_sel:DWORD dst_unused:UNUSED_PAD src0_sel:BYTE_0 src1_sel:DWORD
	v_or_b32_sdwa v53, v54, v53 dst_sel:DWORD dst_unused:UNUSED_PAD src0_sel:WORD_0 src1_sel:DWORD
	v_cmp_lt_u16_sdwa s[16:17], v50, v51 src0_sel:DWORD src1_sel:BYTE_0
	v_min_u16_sdwa v50, v50, v51 dst_sel:DWORD dst_unused:UNUSED_PAD src0_sel:DWORD src1_sel:BYTE_0
	s_nop 0
	v_cndmask_b32_e64 v52, v52, v53, s[16:17]
	v_lshlrev_b16_e32 v53, 8, v52
	v_or_b32_e32 v51, v50, v53
	v_and_b32_e32 v51, 0xffff, v51
	v_and_or_b32 v51, v52, s41, v51
	v_cmp_lt_u16_sdwa s[18:19], v50, v52 src0_sel:DWORD src1_sel:BYTE_0
	s_nop 1
	v_cndmask_b32_e64 v50, v52, v51, s[18:19]
	v_lshrrev_b32_e32 v51, 16, v50
	v_perm_b32 v52, 0, v51, s37
	v_lshlrev_b32_e32 v52, 16, v52
	v_and_or_b32 v52, v50, s35, v52
	v_cmp_lt_u16_sdwa s[20:21], v50, v51 src0_sel:BYTE_3 src1_sel:BYTE_0
	s_nop 1
	v_cndmask_b32_e64 v52, v50, v52, s[20:21]
	v_min_u16_sdwa v50, v50, v51 dst_sel:DWORD dst_unused:UNUSED_PAD src0_sel:BYTE_3 src1_sel:BYTE_0
	v_and_b32_sdwa v53, v52, s40 dst_sel:DWORD dst_unused:UNUSED_PAD src0_sel:WORD_1 src1_sel:DWORD
	v_lshlrev_b16_e32 v54, 8, v50
	v_or_b32_sdwa v53, v52, v53 dst_sel:WORD_1 dst_unused:UNUSED_PAD src0_sel:BYTE_1 src1_sel:DWORD
	v_lshrrev_b32_e32 v51, 8, v52
	v_or_b32_sdwa v54, v52, v54 dst_sel:DWORD dst_unused:UNUSED_PAD src0_sel:BYTE_0 src1_sel:DWORD
	v_or_b32_sdwa v53, v54, v53 dst_sel:DWORD dst_unused:UNUSED_PAD src0_sel:WORD_0 src1_sel:DWORD
	v_cmp_lt_u16_sdwa s[22:23], v50, v51 src0_sel:DWORD src1_sel:BYTE_0
	v_mov_b32_e32 v51, v37
	s_nop 0
	v_cndmask_b32_e64 v50, v52, v53, s[22:23]
	ds_write_b32 v3, v50
	s_waitcnt lgkmcnt(0)
	s_barrier
	s_and_saveexec_b64 s[26:27], vcc
	s_cbranch_execz .LBB97_6
; %bb.3:                                ;   in Loop: Header=BB97_2 Depth=1
	s_mov_b64 s[28:29], 0
	v_mov_b32_e32 v51, v37
	v_mov_b32_e32 v50, v32
.LBB97_4:                               ;   Parent Loop BB97_2 Depth=1
                                        ; =>  This Inner Loop Header: Depth=2
	v_sub_u32_e32 v52, v50, v51
	v_lshrrev_b32_e32 v53, 31, v52
	v_add_u32_e32 v52, v52, v53
	v_ashrrev_i32_e32 v52, 1, v52
	v_add_u32_e32 v52, v52, v51
	v_not_b32_e32 v54, v52
	v_add_u32_e32 v53, v4, v52
	v_add3_u32 v54, v5, v54, v16
	ds_read_u8 v53, v53
	ds_read_u8 v54, v54
	v_add_u32_e32 v55, 1, v52
	s_waitcnt lgkmcnt(0)
	v_cmp_lt_u16_e64 s[24:25], v54, v53
	s_nop 1
	v_cndmask_b32_e64 v50, v50, v52, s[24:25]
	v_cndmask_b32_e64 v51, v55, v51, s[24:25]
	v_cmp_ge_i32_e64 s[24:25], v51, v50
	s_or_b64 s[28:29], s[24:25], s[28:29]
	s_andn2_b64 exec, exec, s[28:29]
	s_cbranch_execnz .LBB97_4
; %bb.5:                                ;   in Loop: Header=BB97_2 Depth=1
	s_or_b64 exec, exec, s[28:29]
.LBB97_6:                               ;   in Loop: Header=BB97_2 Depth=1
	s_or_b64 exec, exec, s[26:27]
	v_add_u32_e32 v50, v51, v4
	v_sub_u32_e32 v51, v27, v51
	ds_read_u8 v52, v50
	ds_read_u8 v53, v51
	v_cmp_le_i32_e64 s[26:27], v16, v50
	v_cmp_gt_i32_e64 s[24:25], v17, v51
                                        ; implicit-def: $vgpr54
                                        ; implicit-def: $vgpr55
	s_waitcnt lgkmcnt(0)
	v_cmp_lt_u16_sdwa s[28:29], v53, v52 src0_sel:BYTE_0 src1_sel:BYTE_0
	s_or_b64 s[26:27], s[26:27], s[28:29]
	s_and_b64 s[24:25], s[24:25], s[26:27]
	s_xor_b64 s[26:27], s[24:25], -1
	s_and_saveexec_b64 s[28:29], s[26:27]
	s_xor_b64 s[26:27], exec, s[28:29]
	s_cbranch_execz .LBB97_8
; %bb.7:                                ;   in Loop: Header=BB97_2 Depth=1
	ds_read_u8 v55, v50 offset:1
	v_mov_b32_e32 v54, v53
.LBB97_8:                               ;   in Loop: Header=BB97_2 Depth=1
	s_andn2_saveexec_b64 s[26:27], s[26:27]
	s_cbranch_execz .LBB97_10
; %bb.9:                                ;   in Loop: Header=BB97_2 Depth=1
	ds_read_u8 v54, v51 offset:1
	s_waitcnt lgkmcnt(1)
	v_mov_b32_e32 v55, v52
.LBB97_10:                              ;   in Loop: Header=BB97_2 Depth=1
	s_or_b64 exec, exec, s[26:27]
	v_add_u32_e32 v57, 1, v50
	v_add_u32_e32 v56, 1, v51
	v_cndmask_b32_e64 v57, v57, v50, s[24:25]
	v_cndmask_b32_e64 v56, v51, v56, s[24:25]
	v_cmp_ge_i32_e64 s[28:29], v57, v16
	s_waitcnt lgkmcnt(0)
	v_cmp_lt_u16_sdwa s[30:31], v54, v55 src0_sel:BYTE_0 src1_sel:BYTE_0
	v_cmp_lt_i32_e64 s[26:27], v56, v17
	s_or_b64 s[28:29], s[28:29], s[30:31]
	s_and_b64 s[26:27], s[26:27], s[28:29]
	s_xor_b64 s[28:29], s[26:27], -1
                                        ; implicit-def: $vgpr58
	s_and_saveexec_b64 s[30:31], s[28:29]
	s_xor_b64 s[28:29], exec, s[30:31]
	s_cbranch_execz .LBB97_12
; %bb.11:                               ;   in Loop: Header=BB97_2 Depth=1
	ds_read_u8 v58, v57 offset:1
.LBB97_12:                              ;   in Loop: Header=BB97_2 Depth=1
	s_or_saveexec_b64 s[28:29], s[28:29]
	v_mov_b32_e32 v60, v54
	s_xor_b64 exec, exec, s[28:29]
	s_cbranch_execz .LBB97_14
; %bb.13:                               ;   in Loop: Header=BB97_2 Depth=1
	ds_read_u8 v60, v56 offset:1
	s_waitcnt lgkmcnt(1)
	v_mov_b32_e32 v58, v55
.LBB97_14:                              ;   in Loop: Header=BB97_2 Depth=1
	s_or_b64 exec, exec, s[28:29]
	v_add_u32_e32 v62, 1, v57
	v_add_u32_e32 v59, 1, v56
	v_cndmask_b32_e64 v63, v62, v57, s[26:27]
	v_cndmask_b32_e64 v61, v56, v59, s[26:27]
	v_cmp_ge_i32_e64 s[30:31], v63, v16
	s_waitcnt lgkmcnt(0)
	v_cmp_lt_u16_sdwa s[44:45], v60, v58 src0_sel:BYTE_0 src1_sel:BYTE_0
	v_cmp_lt_i32_e64 s[28:29], v61, v17
	s_or_b64 s[30:31], s[30:31], s[44:45]
	s_and_b64 s[28:29], s[28:29], s[30:31]
	s_xor_b64 s[30:31], s[28:29], -1
                                        ; implicit-def: $vgpr59
	s_and_saveexec_b64 s[44:45], s[30:31]
	s_xor_b64 s[30:31], exec, s[44:45]
	s_cbranch_execz .LBB97_16
; %bb.15:                               ;   in Loop: Header=BB97_2 Depth=1
	ds_read_u8 v59, v63 offset:1
.LBB97_16:                              ;   in Loop: Header=BB97_2 Depth=1
	s_or_saveexec_b64 s[30:31], s[30:31]
	v_mov_b32_e32 v62, v60
	s_xor_b64 exec, exec, s[30:31]
	s_cbranch_execz .LBB97_18
; %bb.17:                               ;   in Loop: Header=BB97_2 Depth=1
	ds_read_u8 v62, v61 offset:1
	s_waitcnt lgkmcnt(1)
	v_mov_b32_e32 v59, v58
.LBB97_18:                              ;   in Loop: Header=BB97_2 Depth=1
	s_or_b64 exec, exec, s[30:31]
	v_perm_b32 v64, v49, v49, s36
	v_cndmask_b32_e64 v49, v49, v64, s[12:13]
	v_cndmask_b32_e64 v50, v50, v51, s[24:25]
	v_lshrrev_b32_e32 v51, 16, v49
	v_perm_b32 v51, 0, v51, s37
	v_lshlrev_b32_e32 v51, 16, v51
	v_and_or_b32 v51, v49, s35, v51
	v_cndmask_b32_e64 v49, v49, v51, s[14:15]
	v_perm_b32 v51, v49, v49, s42
	v_cndmask_b32_e64 v49, v49, v51, s[16:17]
	v_perm_b32 v51, 0, v49, s37
	v_and_or_b32 v51, v49, s41, v51
	v_cndmask_b32_e64 v49, v49, v51, s[18:19]
	v_lshrrev_b32_e32 v51, 16, v49
	v_add_u32_e32 v65, 1, v63
	v_perm_b32 v51, 0, v51, s37
	v_cndmask_b32_e64 v58, v58, v60, s[28:29]
	v_add_u32_e32 v60, 1, v61
	v_cndmask_b32_e64 v65, v65, v63, s[28:29]
	v_lshlrev_b32_e32 v51, 16, v51
	v_cndmask_b32_e64 v60, v61, v60, s[28:29]
	v_and_or_b32 v51, v49, s35, v51
	v_cmp_ge_i32_e64 s[14:15], v65, v16
	s_waitcnt lgkmcnt(0)
	v_cmp_lt_u16_sdwa s[16:17], v62, v59 src0_sel:BYTE_0 src1_sel:BYTE_0
	v_cndmask_b32_e64 v49, v49, v51, s[20:21]
	v_cmp_lt_i32_e64 s[12:13], v60, v17
	s_or_b64 s[14:15], s[14:15], s[16:17]
	v_perm_b32 v51, v49, v49, s42
	s_and_b64 s[12:13], s[12:13], s[14:15]
	v_cndmask_b32_e64 v49, v49, v51, s[22:23]
	v_cndmask_b32_e64 v51, v65, v60, s[12:13]
	;; [unrolled: 1-line block ×6, first 2 shown]
	s_barrier
	ds_write_b32 v3, v49
	s_waitcnt lgkmcnt(0)
	s_barrier
	ds_read_u8 v49, v51
	ds_read_u8 v50, v50
	;; [unrolled: 1-line block ×4, first 2 shown]
	v_cndmask_b32_e64 v56, v59, v62, s[12:13]
	s_waitcnt lgkmcnt(0)
	s_barrier
	ds_write_b8 v3, v53
	ds_write_b8 v3, v54 offset:1
	ds_write_b8 v3, v58 offset:2
	;; [unrolled: 1-line block ×3, first 2 shown]
	v_mov_b32_e32 v54, v38
	s_waitcnt lgkmcnt(0)
	s_barrier
	s_and_saveexec_b64 s[14:15], s[0:1]
	s_cbranch_execz .LBB97_22
; %bb.19:                               ;   in Loop: Header=BB97_2 Depth=1
	s_mov_b64 s[16:17], 0
	v_mov_b32_e32 v54, v38
	v_mov_b32_e32 v53, v33
.LBB97_20:                              ;   Parent Loop BB97_2 Depth=1
                                        ; =>  This Inner Loop Header: Depth=2
	v_sub_u32_e32 v55, v53, v54
	v_lshrrev_b32_e32 v56, 31, v55
	v_add_u32_e32 v55, v55, v56
	v_ashrrev_i32_e32 v55, 1, v55
	v_add_u32_e32 v55, v55, v54
	v_not_b32_e32 v57, v55
	v_add_u32_e32 v56, v6, v55
	v_add3_u32 v57, v7, v57, v18
	ds_read_u8 v56, v56
	ds_read_u8 v57, v57
	v_add_u32_e32 v58, 1, v55
	s_waitcnt lgkmcnt(0)
	v_cmp_lt_u16_e64 s[12:13], v57, v56
	s_nop 1
	v_cndmask_b32_e64 v53, v53, v55, s[12:13]
	v_cndmask_b32_e64 v54, v58, v54, s[12:13]
	v_cmp_ge_i32_e64 s[12:13], v54, v53
	s_or_b64 s[16:17], s[12:13], s[16:17]
	s_andn2_b64 exec, exec, s[16:17]
	s_cbranch_execnz .LBB97_20
; %bb.21:                               ;   in Loop: Header=BB97_2 Depth=1
	s_or_b64 exec, exec, s[16:17]
.LBB97_22:                              ;   in Loop: Header=BB97_2 Depth=1
	s_or_b64 exec, exec, s[14:15]
	v_add_u32_e32 v53, v54, v6
	v_sub_u32_e32 v54, v28, v54
	ds_read_u8 v55, v53
	ds_read_u8 v56, v54
	v_cmp_le_i32_e64 s[14:15], v18, v53
	v_cmp_gt_i32_e64 s[12:13], v19, v54
                                        ; implicit-def: $vgpr57
                                        ; implicit-def: $vgpr58
	s_waitcnt lgkmcnt(0)
	v_cmp_lt_u16_sdwa s[16:17], v56, v55 src0_sel:BYTE_0 src1_sel:BYTE_0
	s_or_b64 s[14:15], s[14:15], s[16:17]
	s_and_b64 s[12:13], s[12:13], s[14:15]
	s_xor_b64 s[14:15], s[12:13], -1
	s_and_saveexec_b64 s[16:17], s[14:15]
	s_xor_b64 s[14:15], exec, s[16:17]
	s_cbranch_execz .LBB97_24
; %bb.23:                               ;   in Loop: Header=BB97_2 Depth=1
	ds_read_u8 v58, v53 offset:1
	v_mov_b32_e32 v57, v56
.LBB97_24:                              ;   in Loop: Header=BB97_2 Depth=1
	s_andn2_saveexec_b64 s[14:15], s[14:15]
	s_cbranch_execz .LBB97_26
; %bb.25:                               ;   in Loop: Header=BB97_2 Depth=1
	ds_read_u8 v57, v54 offset:1
	s_waitcnt lgkmcnt(1)
	v_mov_b32_e32 v58, v55
.LBB97_26:                              ;   in Loop: Header=BB97_2 Depth=1
	s_or_b64 exec, exec, s[14:15]
	v_add_u32_e32 v60, 1, v53
	v_add_u32_e32 v59, 1, v54
	v_cndmask_b32_e64 v60, v60, v53, s[12:13]
	v_cndmask_b32_e64 v59, v54, v59, s[12:13]
	v_cmp_ge_i32_e64 s[16:17], v60, v18
	s_waitcnt lgkmcnt(0)
	v_cmp_lt_u16_sdwa s[18:19], v57, v58 src0_sel:BYTE_0 src1_sel:BYTE_0
	v_cmp_lt_i32_e64 s[14:15], v59, v19
	s_or_b64 s[16:17], s[16:17], s[18:19]
	s_and_b64 s[14:15], s[14:15], s[16:17]
	s_xor_b64 s[16:17], s[14:15], -1
                                        ; implicit-def: $vgpr61
	s_and_saveexec_b64 s[18:19], s[16:17]
	s_xor_b64 s[16:17], exec, s[18:19]
	s_cbranch_execz .LBB97_28
; %bb.27:                               ;   in Loop: Header=BB97_2 Depth=1
	ds_read_u8 v61, v60 offset:1
.LBB97_28:                              ;   in Loop: Header=BB97_2 Depth=1
	s_or_saveexec_b64 s[16:17], s[16:17]
	v_mov_b32_e32 v62, v57
	s_xor_b64 exec, exec, s[16:17]
	s_cbranch_execz .LBB97_30
; %bb.29:                               ;   in Loop: Header=BB97_2 Depth=1
	ds_read_u8 v62, v59 offset:1
	s_waitcnt lgkmcnt(1)
	v_mov_b32_e32 v61, v58
.LBB97_30:                              ;   in Loop: Header=BB97_2 Depth=1
	s_or_b64 exec, exec, s[16:17]
	v_add_u32_e32 v64, 1, v60
	v_add_u32_e32 v63, 1, v59
	v_cndmask_b32_e64 v64, v64, v60, s[14:15]
	v_cndmask_b32_e64 v63, v59, v63, s[14:15]
	v_cmp_ge_i32_e64 s[18:19], v64, v18
	s_waitcnt lgkmcnt(0)
	v_cmp_lt_u16_sdwa s[20:21], v62, v61 src0_sel:BYTE_0 src1_sel:BYTE_0
	v_cmp_lt_i32_e64 s[16:17], v63, v19
	s_or_b64 s[18:19], s[18:19], s[20:21]
	s_and_b64 s[16:17], s[16:17], s[18:19]
	s_xor_b64 s[18:19], s[16:17], -1
                                        ; implicit-def: $vgpr65
	s_and_saveexec_b64 s[20:21], s[18:19]
	s_xor_b64 s[18:19], exec, s[20:21]
	s_cbranch_execz .LBB97_32
; %bb.31:                               ;   in Loop: Header=BB97_2 Depth=1
	ds_read_u8 v65, v64 offset:1
.LBB97_32:                              ;   in Loop: Header=BB97_2 Depth=1
	s_or_saveexec_b64 s[18:19], s[18:19]
	v_mov_b32_e32 v66, v62
	s_xor_b64 exec, exec, s[18:19]
	s_cbranch_execz .LBB97_34
; %bb.33:                               ;   in Loop: Header=BB97_2 Depth=1
	ds_read_u8 v66, v63 offset:1
	s_waitcnt lgkmcnt(1)
	v_mov_b32_e32 v65, v61
.LBB97_34:                              ;   in Loop: Header=BB97_2 Depth=1
	s_or_b64 exec, exec, s[18:19]
	v_add_u32_e32 v67, 1, v64
	v_cndmask_b32_e64 v61, v61, v62, s[16:17]
	v_add_u32_e32 v62, 1, v63
	v_cndmask_b32_e64 v67, v67, v64, s[16:17]
	v_cndmask_b32_e64 v62, v63, v62, s[16:17]
	;; [unrolled: 1-line block ×5, first 2 shown]
	v_cmp_ge_i32_e64 s[14:15], v67, v18
	s_waitcnt lgkmcnt(0)
	v_cmp_lt_u16_sdwa s[16:17], v66, v65 src0_sel:BYTE_0 src1_sel:BYTE_0
	v_cndmask_b32_e64 v55, v55, v56, s[12:13]
	v_cndmask_b32_e64 v53, v53, v54, s[12:13]
	v_cmp_lt_i32_e64 s[12:13], v62, v19
	s_or_b64 s[14:15], s[14:15], s[16:17]
	s_and_b64 s[12:13], s[12:13], s[14:15]
	v_cndmask_b32_e64 v56, v67, v62, s[12:13]
	s_barrier
	ds_write_b8 v3, v50
	ds_write_b8 v3, v51 offset:1
	ds_write_b8 v3, v52 offset:2
	;; [unrolled: 1-line block ×3, first 2 shown]
	s_waitcnt lgkmcnt(0)
	s_barrier
	ds_read_u8 v49, v56
	ds_read_u8 v50, v53
	;; [unrolled: 1-line block ×4, first 2 shown]
	v_cndmask_b32_e64 v54, v65, v66, s[12:13]
	s_waitcnt lgkmcnt(0)
	s_barrier
	ds_write_b8 v3, v55
	ds_write_b8 v3, v57 offset:1
	ds_write_b8 v3, v61 offset:2
	;; [unrolled: 1-line block ×3, first 2 shown]
	v_mov_b32_e32 v54, v39
	s_waitcnt lgkmcnt(0)
	s_barrier
	s_and_saveexec_b64 s[14:15], s[2:3]
	s_cbranch_execz .LBB97_38
; %bb.35:                               ;   in Loop: Header=BB97_2 Depth=1
	s_mov_b64 s[16:17], 0
	v_mov_b32_e32 v54, v39
	v_mov_b32_e32 v53, v34
.LBB97_36:                              ;   Parent Loop BB97_2 Depth=1
                                        ; =>  This Inner Loop Header: Depth=2
	v_sub_u32_e32 v55, v53, v54
	v_lshrrev_b32_e32 v56, 31, v55
	v_add_u32_e32 v55, v55, v56
	v_ashrrev_i32_e32 v55, 1, v55
	v_add_u32_e32 v55, v55, v54
	v_not_b32_e32 v57, v55
	v_add_u32_e32 v56, v8, v55
	v_add3_u32 v57, v9, v57, v20
	ds_read_u8 v56, v56
	ds_read_u8 v57, v57
	v_add_u32_e32 v58, 1, v55
	s_waitcnt lgkmcnt(0)
	v_cmp_lt_u16_e64 s[12:13], v57, v56
	s_nop 1
	v_cndmask_b32_e64 v53, v53, v55, s[12:13]
	v_cndmask_b32_e64 v54, v58, v54, s[12:13]
	v_cmp_ge_i32_e64 s[12:13], v54, v53
	s_or_b64 s[16:17], s[12:13], s[16:17]
	s_andn2_b64 exec, exec, s[16:17]
	s_cbranch_execnz .LBB97_36
; %bb.37:                               ;   in Loop: Header=BB97_2 Depth=1
	s_or_b64 exec, exec, s[16:17]
.LBB97_38:                              ;   in Loop: Header=BB97_2 Depth=1
	s_or_b64 exec, exec, s[14:15]
	v_add_u32_e32 v53, v54, v8
	v_sub_u32_e32 v54, v29, v54
	ds_read_u8 v55, v53
	ds_read_u8 v56, v54
	v_cmp_le_i32_e64 s[14:15], v20, v53
	v_cmp_gt_i32_e64 s[12:13], v21, v54
                                        ; implicit-def: $vgpr57
                                        ; implicit-def: $vgpr58
	s_waitcnt lgkmcnt(0)
	v_cmp_lt_u16_sdwa s[16:17], v56, v55 src0_sel:BYTE_0 src1_sel:BYTE_0
	s_or_b64 s[14:15], s[14:15], s[16:17]
	s_and_b64 s[12:13], s[12:13], s[14:15]
	s_xor_b64 s[14:15], s[12:13], -1
	s_and_saveexec_b64 s[16:17], s[14:15]
	s_xor_b64 s[14:15], exec, s[16:17]
	s_cbranch_execz .LBB97_40
; %bb.39:                               ;   in Loop: Header=BB97_2 Depth=1
	ds_read_u8 v58, v53 offset:1
	v_mov_b32_e32 v57, v56
.LBB97_40:                              ;   in Loop: Header=BB97_2 Depth=1
	s_andn2_saveexec_b64 s[14:15], s[14:15]
	s_cbranch_execz .LBB97_42
; %bb.41:                               ;   in Loop: Header=BB97_2 Depth=1
	ds_read_u8 v57, v54 offset:1
	s_waitcnt lgkmcnt(1)
	v_mov_b32_e32 v58, v55
.LBB97_42:                              ;   in Loop: Header=BB97_2 Depth=1
	s_or_b64 exec, exec, s[14:15]
	v_add_u32_e32 v60, 1, v53
	v_add_u32_e32 v59, 1, v54
	v_cndmask_b32_e64 v60, v60, v53, s[12:13]
	v_cndmask_b32_e64 v59, v54, v59, s[12:13]
	v_cmp_ge_i32_e64 s[16:17], v60, v20
	s_waitcnt lgkmcnt(0)
	v_cmp_lt_u16_sdwa s[18:19], v57, v58 src0_sel:BYTE_0 src1_sel:BYTE_0
	v_cmp_lt_i32_e64 s[14:15], v59, v21
	s_or_b64 s[16:17], s[16:17], s[18:19]
	s_and_b64 s[14:15], s[14:15], s[16:17]
	s_xor_b64 s[16:17], s[14:15], -1
                                        ; implicit-def: $vgpr61
	s_and_saveexec_b64 s[18:19], s[16:17]
	s_xor_b64 s[16:17], exec, s[18:19]
	s_cbranch_execz .LBB97_44
; %bb.43:                               ;   in Loop: Header=BB97_2 Depth=1
	ds_read_u8 v61, v60 offset:1
.LBB97_44:                              ;   in Loop: Header=BB97_2 Depth=1
	s_or_saveexec_b64 s[16:17], s[16:17]
	v_mov_b32_e32 v62, v57
	s_xor_b64 exec, exec, s[16:17]
	s_cbranch_execz .LBB97_46
; %bb.45:                               ;   in Loop: Header=BB97_2 Depth=1
	ds_read_u8 v62, v59 offset:1
	s_waitcnt lgkmcnt(1)
	v_mov_b32_e32 v61, v58
.LBB97_46:                              ;   in Loop: Header=BB97_2 Depth=1
	s_or_b64 exec, exec, s[16:17]
	v_add_u32_e32 v64, 1, v60
	v_add_u32_e32 v63, 1, v59
	v_cndmask_b32_e64 v64, v64, v60, s[14:15]
	v_cndmask_b32_e64 v63, v59, v63, s[14:15]
	v_cmp_ge_i32_e64 s[18:19], v64, v20
	s_waitcnt lgkmcnt(0)
	v_cmp_lt_u16_sdwa s[20:21], v62, v61 src0_sel:BYTE_0 src1_sel:BYTE_0
	v_cmp_lt_i32_e64 s[16:17], v63, v21
	s_or_b64 s[18:19], s[18:19], s[20:21]
	s_and_b64 s[16:17], s[16:17], s[18:19]
	s_xor_b64 s[18:19], s[16:17], -1
                                        ; implicit-def: $vgpr65
	s_and_saveexec_b64 s[20:21], s[18:19]
	s_xor_b64 s[18:19], exec, s[20:21]
	s_cbranch_execz .LBB97_48
; %bb.47:                               ;   in Loop: Header=BB97_2 Depth=1
	ds_read_u8 v65, v64 offset:1
.LBB97_48:                              ;   in Loop: Header=BB97_2 Depth=1
	s_or_saveexec_b64 s[18:19], s[18:19]
	v_mov_b32_e32 v66, v62
	s_xor_b64 exec, exec, s[18:19]
	s_cbranch_execz .LBB97_50
; %bb.49:                               ;   in Loop: Header=BB97_2 Depth=1
	ds_read_u8 v66, v63 offset:1
	s_waitcnt lgkmcnt(1)
	v_mov_b32_e32 v65, v61
.LBB97_50:                              ;   in Loop: Header=BB97_2 Depth=1
	s_or_b64 exec, exec, s[18:19]
	v_add_u32_e32 v67, 1, v64
	v_cndmask_b32_e64 v61, v61, v62, s[16:17]
	v_add_u32_e32 v62, 1, v63
	v_cndmask_b32_e64 v67, v67, v64, s[16:17]
	v_cndmask_b32_e64 v62, v63, v62, s[16:17]
	;; [unrolled: 1-line block ×5, first 2 shown]
	v_cmp_ge_i32_e64 s[14:15], v67, v20
	s_waitcnt lgkmcnt(0)
	v_cmp_lt_u16_sdwa s[16:17], v66, v65 src0_sel:BYTE_0 src1_sel:BYTE_0
	v_cndmask_b32_e64 v55, v55, v56, s[12:13]
	v_cndmask_b32_e64 v53, v53, v54, s[12:13]
	v_cmp_lt_i32_e64 s[12:13], v62, v21
	s_or_b64 s[14:15], s[14:15], s[16:17]
	s_and_b64 s[12:13], s[12:13], s[14:15]
	v_cndmask_b32_e64 v56, v67, v62, s[12:13]
	s_barrier
	ds_write_b8 v3, v50
	ds_write_b8 v3, v51 offset:1
	ds_write_b8 v3, v52 offset:2
	;; [unrolled: 1-line block ×3, first 2 shown]
	s_waitcnt lgkmcnt(0)
	s_barrier
	ds_read_u8 v49, v56
	ds_read_u8 v50, v53
	;; [unrolled: 1-line block ×4, first 2 shown]
	v_cndmask_b32_e64 v54, v65, v66, s[12:13]
	s_waitcnt lgkmcnt(0)
	s_barrier
	ds_write_b8 v3, v55
	ds_write_b8 v3, v57 offset:1
	ds_write_b8 v3, v61 offset:2
	;; [unrolled: 1-line block ×3, first 2 shown]
	v_mov_b32_e32 v54, v40
	s_waitcnt lgkmcnt(0)
	s_barrier
	s_and_saveexec_b64 s[14:15], s[4:5]
	s_cbranch_execz .LBB97_54
; %bb.51:                               ;   in Loop: Header=BB97_2 Depth=1
	s_mov_b64 s[16:17], 0
	v_mov_b32_e32 v54, v40
	v_mov_b32_e32 v53, v35
.LBB97_52:                              ;   Parent Loop BB97_2 Depth=1
                                        ; =>  This Inner Loop Header: Depth=2
	v_sub_u32_e32 v55, v53, v54
	v_lshrrev_b32_e32 v56, 31, v55
	v_add_u32_e32 v55, v55, v56
	v_ashrrev_i32_e32 v55, 1, v55
	v_add_u32_e32 v55, v55, v54
	v_not_b32_e32 v57, v55
	v_add_u32_e32 v56, v10, v55
	v_add3_u32 v57, v11, v57, v22
	ds_read_u8 v56, v56
	ds_read_u8 v57, v57
	v_add_u32_e32 v58, 1, v55
	s_waitcnt lgkmcnt(0)
	v_cmp_lt_u16_e64 s[12:13], v57, v56
	s_nop 1
	v_cndmask_b32_e64 v53, v53, v55, s[12:13]
	v_cndmask_b32_e64 v54, v58, v54, s[12:13]
	v_cmp_ge_i32_e64 s[12:13], v54, v53
	s_or_b64 s[16:17], s[12:13], s[16:17]
	s_andn2_b64 exec, exec, s[16:17]
	s_cbranch_execnz .LBB97_52
; %bb.53:                               ;   in Loop: Header=BB97_2 Depth=1
	s_or_b64 exec, exec, s[16:17]
.LBB97_54:                              ;   in Loop: Header=BB97_2 Depth=1
	s_or_b64 exec, exec, s[14:15]
	v_add_u32_e32 v53, v54, v10
	v_sub_u32_e32 v54, v30, v54
	ds_read_u8 v55, v53
	ds_read_u8 v56, v54
	v_cmp_le_i32_e64 s[14:15], v22, v53
	v_cmp_gt_i32_e64 s[12:13], v23, v54
                                        ; implicit-def: $vgpr57
                                        ; implicit-def: $vgpr58
	s_waitcnt lgkmcnt(0)
	v_cmp_lt_u16_sdwa s[16:17], v56, v55 src0_sel:BYTE_0 src1_sel:BYTE_0
	s_or_b64 s[14:15], s[14:15], s[16:17]
	s_and_b64 s[12:13], s[12:13], s[14:15]
	s_xor_b64 s[14:15], s[12:13], -1
	s_and_saveexec_b64 s[16:17], s[14:15]
	s_xor_b64 s[14:15], exec, s[16:17]
	s_cbranch_execz .LBB97_56
; %bb.55:                               ;   in Loop: Header=BB97_2 Depth=1
	ds_read_u8 v58, v53 offset:1
	v_mov_b32_e32 v57, v56
.LBB97_56:                              ;   in Loop: Header=BB97_2 Depth=1
	s_andn2_saveexec_b64 s[14:15], s[14:15]
	s_cbranch_execz .LBB97_58
; %bb.57:                               ;   in Loop: Header=BB97_2 Depth=1
	ds_read_u8 v57, v54 offset:1
	s_waitcnt lgkmcnt(1)
	v_mov_b32_e32 v58, v55
.LBB97_58:                              ;   in Loop: Header=BB97_2 Depth=1
	s_or_b64 exec, exec, s[14:15]
	v_add_u32_e32 v60, 1, v53
	v_add_u32_e32 v59, 1, v54
	v_cndmask_b32_e64 v60, v60, v53, s[12:13]
	v_cndmask_b32_e64 v59, v54, v59, s[12:13]
	v_cmp_ge_i32_e64 s[16:17], v60, v22
	s_waitcnt lgkmcnt(0)
	v_cmp_lt_u16_sdwa s[18:19], v57, v58 src0_sel:BYTE_0 src1_sel:BYTE_0
	v_cmp_lt_i32_e64 s[14:15], v59, v23
	s_or_b64 s[16:17], s[16:17], s[18:19]
	s_and_b64 s[14:15], s[14:15], s[16:17]
	s_xor_b64 s[16:17], s[14:15], -1
                                        ; implicit-def: $vgpr61
	s_and_saveexec_b64 s[18:19], s[16:17]
	s_xor_b64 s[16:17], exec, s[18:19]
	s_cbranch_execz .LBB97_60
; %bb.59:                               ;   in Loop: Header=BB97_2 Depth=1
	ds_read_u8 v61, v60 offset:1
.LBB97_60:                              ;   in Loop: Header=BB97_2 Depth=1
	s_or_saveexec_b64 s[16:17], s[16:17]
	v_mov_b32_e32 v62, v57
	s_xor_b64 exec, exec, s[16:17]
	s_cbranch_execz .LBB97_62
; %bb.61:                               ;   in Loop: Header=BB97_2 Depth=1
	ds_read_u8 v62, v59 offset:1
	s_waitcnt lgkmcnt(1)
	v_mov_b32_e32 v61, v58
.LBB97_62:                              ;   in Loop: Header=BB97_2 Depth=1
	s_or_b64 exec, exec, s[16:17]
	v_add_u32_e32 v64, 1, v60
	v_add_u32_e32 v63, 1, v59
	v_cndmask_b32_e64 v64, v64, v60, s[14:15]
	v_cndmask_b32_e64 v63, v59, v63, s[14:15]
	v_cmp_ge_i32_e64 s[18:19], v64, v22
	s_waitcnt lgkmcnt(0)
	v_cmp_lt_u16_sdwa s[20:21], v62, v61 src0_sel:BYTE_0 src1_sel:BYTE_0
	v_cmp_lt_i32_e64 s[16:17], v63, v23
	s_or_b64 s[18:19], s[18:19], s[20:21]
	s_and_b64 s[16:17], s[16:17], s[18:19]
	s_xor_b64 s[18:19], s[16:17], -1
                                        ; implicit-def: $vgpr65
	s_and_saveexec_b64 s[20:21], s[18:19]
	s_xor_b64 s[18:19], exec, s[20:21]
	s_cbranch_execz .LBB97_64
; %bb.63:                               ;   in Loop: Header=BB97_2 Depth=1
	ds_read_u8 v65, v64 offset:1
.LBB97_64:                              ;   in Loop: Header=BB97_2 Depth=1
	s_or_saveexec_b64 s[18:19], s[18:19]
	v_mov_b32_e32 v66, v62
	s_xor_b64 exec, exec, s[18:19]
	s_cbranch_execz .LBB97_66
; %bb.65:                               ;   in Loop: Header=BB97_2 Depth=1
	ds_read_u8 v66, v63 offset:1
	s_waitcnt lgkmcnt(1)
	v_mov_b32_e32 v65, v61
.LBB97_66:                              ;   in Loop: Header=BB97_2 Depth=1
	s_or_b64 exec, exec, s[18:19]
	v_add_u32_e32 v67, 1, v64
	v_cndmask_b32_e64 v61, v61, v62, s[16:17]
	v_add_u32_e32 v62, 1, v63
	v_cndmask_b32_e64 v67, v67, v64, s[16:17]
	v_cndmask_b32_e64 v62, v63, v62, s[16:17]
	;; [unrolled: 1-line block ×5, first 2 shown]
	v_cmp_ge_i32_e64 s[14:15], v67, v22
	s_waitcnt lgkmcnt(0)
	v_cmp_lt_u16_sdwa s[16:17], v66, v65 src0_sel:BYTE_0 src1_sel:BYTE_0
	v_cndmask_b32_e64 v55, v55, v56, s[12:13]
	v_cndmask_b32_e64 v53, v53, v54, s[12:13]
	v_cmp_lt_i32_e64 s[12:13], v62, v23
	s_or_b64 s[14:15], s[14:15], s[16:17]
	s_and_b64 s[12:13], s[12:13], s[14:15]
	v_cndmask_b32_e64 v56, v67, v62, s[12:13]
	s_barrier
	ds_write_b8 v3, v50
	ds_write_b8 v3, v51 offset:1
	ds_write_b8 v3, v52 offset:2
	;; [unrolled: 1-line block ×3, first 2 shown]
	s_waitcnt lgkmcnt(0)
	s_barrier
	ds_read_u8 v49, v56
	ds_read_u8 v50, v53
	ds_read_u8 v51, v58
	ds_read_u8 v52, v63
	v_cndmask_b32_e64 v54, v65, v66, s[12:13]
	s_waitcnt lgkmcnt(0)
	s_barrier
	ds_write_b8 v3, v55
	ds_write_b8 v3, v57 offset:1
	ds_write_b8 v3, v61 offset:2
	;; [unrolled: 1-line block ×3, first 2 shown]
	v_mov_b32_e32 v54, v41
	s_waitcnt lgkmcnt(0)
	s_barrier
	s_and_saveexec_b64 s[14:15], s[6:7]
	s_cbranch_execz .LBB97_70
; %bb.67:                               ;   in Loop: Header=BB97_2 Depth=1
	s_mov_b64 s[16:17], 0
	v_mov_b32_e32 v54, v41
	v_mov_b32_e32 v53, v36
.LBB97_68:                              ;   Parent Loop BB97_2 Depth=1
                                        ; =>  This Inner Loop Header: Depth=2
	v_sub_u32_e32 v55, v53, v54
	v_lshrrev_b32_e32 v56, 31, v55
	v_add_u32_e32 v55, v55, v56
	v_ashrrev_i32_e32 v55, 1, v55
	v_add_u32_e32 v55, v55, v54
	v_not_b32_e32 v57, v55
	v_add_u32_e32 v56, v12, v55
	v_add3_u32 v57, v13, v57, v24
	ds_read_u8 v56, v56
	ds_read_u8 v57, v57
	v_add_u32_e32 v58, 1, v55
	s_waitcnt lgkmcnt(0)
	v_cmp_lt_u16_e64 s[12:13], v57, v56
	s_nop 1
	v_cndmask_b32_e64 v53, v53, v55, s[12:13]
	v_cndmask_b32_e64 v54, v58, v54, s[12:13]
	v_cmp_ge_i32_e64 s[12:13], v54, v53
	s_or_b64 s[16:17], s[12:13], s[16:17]
	s_andn2_b64 exec, exec, s[16:17]
	s_cbranch_execnz .LBB97_68
; %bb.69:                               ;   in Loop: Header=BB97_2 Depth=1
	s_or_b64 exec, exec, s[16:17]
.LBB97_70:                              ;   in Loop: Header=BB97_2 Depth=1
	s_or_b64 exec, exec, s[14:15]
	v_add_u32_e32 v53, v54, v12
	v_sub_u32_e32 v54, v31, v54
	ds_read_u8 v55, v53
	ds_read_u8 v56, v54
	v_cmp_le_i32_e64 s[14:15], v24, v53
	v_cmp_gt_i32_e64 s[12:13], v25, v54
                                        ; implicit-def: $vgpr57
                                        ; implicit-def: $vgpr58
	s_waitcnt lgkmcnt(0)
	v_cmp_lt_u16_sdwa s[16:17], v56, v55 src0_sel:BYTE_0 src1_sel:BYTE_0
	s_or_b64 s[14:15], s[14:15], s[16:17]
	s_and_b64 s[12:13], s[12:13], s[14:15]
	s_xor_b64 s[14:15], s[12:13], -1
	s_and_saveexec_b64 s[16:17], s[14:15]
	s_xor_b64 s[14:15], exec, s[16:17]
	s_cbranch_execz .LBB97_72
; %bb.71:                               ;   in Loop: Header=BB97_2 Depth=1
	ds_read_u8 v58, v53 offset:1
	v_mov_b32_e32 v57, v56
.LBB97_72:                              ;   in Loop: Header=BB97_2 Depth=1
	s_andn2_saveexec_b64 s[14:15], s[14:15]
	s_cbranch_execz .LBB97_74
; %bb.73:                               ;   in Loop: Header=BB97_2 Depth=1
	ds_read_u8 v57, v54 offset:1
	s_waitcnt lgkmcnt(1)
	v_mov_b32_e32 v58, v55
.LBB97_74:                              ;   in Loop: Header=BB97_2 Depth=1
	s_or_b64 exec, exec, s[14:15]
	v_add_u32_e32 v60, 1, v53
	v_add_u32_e32 v59, 1, v54
	v_cndmask_b32_e64 v60, v60, v53, s[12:13]
	v_cndmask_b32_e64 v59, v54, v59, s[12:13]
	v_cmp_ge_i32_e64 s[16:17], v60, v24
	s_waitcnt lgkmcnt(0)
	v_cmp_lt_u16_sdwa s[18:19], v57, v58 src0_sel:BYTE_0 src1_sel:BYTE_0
	v_cmp_lt_i32_e64 s[14:15], v59, v25
	s_or_b64 s[16:17], s[16:17], s[18:19]
	s_and_b64 s[14:15], s[14:15], s[16:17]
	s_xor_b64 s[16:17], s[14:15], -1
                                        ; implicit-def: $vgpr61
	s_and_saveexec_b64 s[18:19], s[16:17]
	s_xor_b64 s[16:17], exec, s[18:19]
	s_cbranch_execz .LBB97_76
; %bb.75:                               ;   in Loop: Header=BB97_2 Depth=1
	ds_read_u8 v61, v60 offset:1
.LBB97_76:                              ;   in Loop: Header=BB97_2 Depth=1
	s_or_saveexec_b64 s[16:17], s[16:17]
	v_mov_b32_e32 v62, v57
	s_xor_b64 exec, exec, s[16:17]
	s_cbranch_execz .LBB97_78
; %bb.77:                               ;   in Loop: Header=BB97_2 Depth=1
	ds_read_u8 v62, v59 offset:1
	s_waitcnt lgkmcnt(1)
	v_mov_b32_e32 v61, v58
.LBB97_78:                              ;   in Loop: Header=BB97_2 Depth=1
	s_or_b64 exec, exec, s[16:17]
	v_add_u32_e32 v64, 1, v60
	v_add_u32_e32 v63, 1, v59
	v_cndmask_b32_e64 v64, v64, v60, s[14:15]
	v_cndmask_b32_e64 v63, v59, v63, s[14:15]
	v_cmp_ge_i32_e64 s[18:19], v64, v24
	s_waitcnt lgkmcnt(0)
	v_cmp_lt_u16_sdwa s[20:21], v62, v61 src0_sel:BYTE_0 src1_sel:BYTE_0
	v_cmp_lt_i32_e64 s[16:17], v63, v25
	s_or_b64 s[18:19], s[18:19], s[20:21]
	s_and_b64 s[16:17], s[16:17], s[18:19]
	s_xor_b64 s[18:19], s[16:17], -1
                                        ; implicit-def: $vgpr65
	s_and_saveexec_b64 s[20:21], s[18:19]
	s_xor_b64 s[18:19], exec, s[20:21]
	s_cbranch_execz .LBB97_80
; %bb.79:                               ;   in Loop: Header=BB97_2 Depth=1
	ds_read_u8 v65, v64 offset:1
.LBB97_80:                              ;   in Loop: Header=BB97_2 Depth=1
	s_or_saveexec_b64 s[18:19], s[18:19]
	v_mov_b32_e32 v66, v62
	s_xor_b64 exec, exec, s[18:19]
	s_cbranch_execz .LBB97_82
; %bb.81:                               ;   in Loop: Header=BB97_2 Depth=1
	ds_read_u8 v66, v63 offset:1
	s_waitcnt lgkmcnt(1)
	v_mov_b32_e32 v65, v61
.LBB97_82:                              ;   in Loop: Header=BB97_2 Depth=1
	s_or_b64 exec, exec, s[18:19]
	v_add_u32_e32 v67, 1, v64
	v_cndmask_b32_e64 v61, v61, v62, s[16:17]
	v_add_u32_e32 v62, 1, v63
	v_cndmask_b32_e64 v67, v67, v64, s[16:17]
	v_cndmask_b32_e64 v62, v63, v62, s[16:17]
	;; [unrolled: 1-line block ×5, first 2 shown]
	v_cmp_ge_i32_e64 s[14:15], v67, v24
	s_waitcnt lgkmcnt(0)
	v_cmp_lt_u16_sdwa s[16:17], v66, v65 src0_sel:BYTE_0 src1_sel:BYTE_0
	v_cndmask_b32_e64 v55, v55, v56, s[12:13]
	v_cndmask_b32_e64 v53, v53, v54, s[12:13]
	v_cmp_lt_i32_e64 s[12:13], v62, v25
	s_or_b64 s[14:15], s[14:15], s[16:17]
	s_and_b64 s[12:13], s[12:13], s[14:15]
	v_cndmask_b32_e64 v56, v67, v62, s[12:13]
	s_barrier
	ds_write_b8 v3, v50
	ds_write_b8 v3, v51 offset:1
	ds_write_b8 v3, v52 offset:2
	;; [unrolled: 1-line block ×3, first 2 shown]
	s_waitcnt lgkmcnt(0)
	s_barrier
	ds_read_u8 v49, v56
	ds_read_u8 v50, v53
	;; [unrolled: 1-line block ×4, first 2 shown]
	v_cndmask_b32_e64 v54, v65, v66, s[12:13]
	s_waitcnt lgkmcnt(0)
	s_barrier
	ds_write_b8 v3, v55
	ds_write_b8 v3, v57 offset:1
	ds_write_b8 v3, v61 offset:2
	;; [unrolled: 1-line block ×3, first 2 shown]
	v_mov_b32_e32 v54, v43
	s_waitcnt lgkmcnt(0)
	s_barrier
	s_and_saveexec_b64 s[14:15], s[8:9]
	s_cbranch_execz .LBB97_86
; %bb.83:                               ;   in Loop: Header=BB97_2 Depth=1
	s_mov_b64 s[16:17], 0
	v_mov_b32_e32 v54, v43
	v_mov_b32_e32 v53, v44
.LBB97_84:                              ;   Parent Loop BB97_2 Depth=1
                                        ; =>  This Inner Loop Header: Depth=2
	v_sub_u32_e32 v55, v53, v54
	v_lshrrev_b32_e32 v56, 31, v55
	v_add_u32_e32 v55, v55, v56
	v_ashrrev_i32_e32 v55, 1, v55
	v_add_u32_e32 v55, v55, v54
	v_not_b32_e32 v57, v55
	v_add_u32_e32 v56, v14, v55
	v_add3_u32 v57, v15, v57, v26
	ds_read_u8 v56, v56
	ds_read_u8 v57, v57
	v_add_u32_e32 v58, 1, v55
	s_waitcnt lgkmcnt(0)
	v_cmp_lt_u16_e64 s[12:13], v57, v56
	s_nop 1
	v_cndmask_b32_e64 v53, v53, v55, s[12:13]
	v_cndmask_b32_e64 v54, v58, v54, s[12:13]
	v_cmp_ge_i32_e64 s[12:13], v54, v53
	s_or_b64 s[16:17], s[12:13], s[16:17]
	s_andn2_b64 exec, exec, s[16:17]
	s_cbranch_execnz .LBB97_84
; %bb.85:                               ;   in Loop: Header=BB97_2 Depth=1
	s_or_b64 exec, exec, s[16:17]
.LBB97_86:                              ;   in Loop: Header=BB97_2 Depth=1
	s_or_b64 exec, exec, s[14:15]
	v_add_u32_e32 v53, v54, v14
	v_sub_u32_e32 v54, v45, v54
	ds_read_u8 v55, v53
	ds_read_u8 v56, v54
	v_cmp_le_i32_e64 s[14:15], v26, v53
	v_cmp_gt_i32_e64 s[12:13], v42, v54
                                        ; implicit-def: $vgpr57
                                        ; implicit-def: $vgpr58
	s_waitcnt lgkmcnt(0)
	v_cmp_lt_u16_sdwa s[16:17], v56, v55 src0_sel:BYTE_0 src1_sel:BYTE_0
	s_or_b64 s[14:15], s[14:15], s[16:17]
	s_and_b64 s[12:13], s[12:13], s[14:15]
	s_xor_b64 s[14:15], s[12:13], -1
	s_and_saveexec_b64 s[16:17], s[14:15]
	s_xor_b64 s[14:15], exec, s[16:17]
	s_cbranch_execz .LBB97_88
; %bb.87:                               ;   in Loop: Header=BB97_2 Depth=1
	ds_read_u8 v58, v53 offset:1
	v_mov_b32_e32 v57, v56
.LBB97_88:                              ;   in Loop: Header=BB97_2 Depth=1
	s_andn2_saveexec_b64 s[14:15], s[14:15]
	s_cbranch_execz .LBB97_90
; %bb.89:                               ;   in Loop: Header=BB97_2 Depth=1
	ds_read_u8 v57, v54 offset:1
	s_waitcnt lgkmcnt(1)
	v_mov_b32_e32 v58, v55
.LBB97_90:                              ;   in Loop: Header=BB97_2 Depth=1
	s_or_b64 exec, exec, s[14:15]
	v_add_u32_e32 v60, 1, v53
	v_add_u32_e32 v59, 1, v54
	v_cndmask_b32_e64 v60, v60, v53, s[12:13]
	v_cndmask_b32_e64 v59, v54, v59, s[12:13]
	v_cmp_ge_i32_e64 s[16:17], v60, v26
	s_waitcnt lgkmcnt(0)
	v_cmp_lt_u16_sdwa s[18:19], v57, v58 src0_sel:BYTE_0 src1_sel:BYTE_0
	v_cmp_lt_i32_e64 s[14:15], v59, v42
	s_or_b64 s[16:17], s[16:17], s[18:19]
	s_and_b64 s[14:15], s[14:15], s[16:17]
	s_xor_b64 s[16:17], s[14:15], -1
                                        ; implicit-def: $vgpr61
	s_and_saveexec_b64 s[18:19], s[16:17]
	s_xor_b64 s[16:17], exec, s[18:19]
	s_cbranch_execz .LBB97_92
; %bb.91:                               ;   in Loop: Header=BB97_2 Depth=1
	ds_read_u8 v61, v60 offset:1
.LBB97_92:                              ;   in Loop: Header=BB97_2 Depth=1
	s_or_saveexec_b64 s[16:17], s[16:17]
	v_mov_b32_e32 v62, v57
	s_xor_b64 exec, exec, s[16:17]
	s_cbranch_execz .LBB97_94
; %bb.93:                               ;   in Loop: Header=BB97_2 Depth=1
	ds_read_u8 v62, v59 offset:1
	s_waitcnt lgkmcnt(1)
	v_mov_b32_e32 v61, v58
.LBB97_94:                              ;   in Loop: Header=BB97_2 Depth=1
	s_or_b64 exec, exec, s[16:17]
	v_add_u32_e32 v64, 1, v60
	v_add_u32_e32 v63, 1, v59
	v_cndmask_b32_e64 v64, v64, v60, s[14:15]
	v_cndmask_b32_e64 v63, v59, v63, s[14:15]
	v_cmp_ge_i32_e64 s[18:19], v64, v26
	s_waitcnt lgkmcnt(0)
	v_cmp_lt_u16_sdwa s[20:21], v62, v61 src0_sel:BYTE_0 src1_sel:BYTE_0
	v_cmp_lt_i32_e64 s[16:17], v63, v42
	s_or_b64 s[18:19], s[18:19], s[20:21]
	s_and_b64 s[16:17], s[16:17], s[18:19]
	s_xor_b64 s[18:19], s[16:17], -1
                                        ; implicit-def: $vgpr65
	s_and_saveexec_b64 s[20:21], s[18:19]
	s_xor_b64 s[18:19], exec, s[20:21]
	s_cbranch_execz .LBB97_96
; %bb.95:                               ;   in Loop: Header=BB97_2 Depth=1
	ds_read_u8 v65, v64 offset:1
.LBB97_96:                              ;   in Loop: Header=BB97_2 Depth=1
	s_or_saveexec_b64 s[18:19], s[18:19]
	v_mov_b32_e32 v66, v62
	s_xor_b64 exec, exec, s[18:19]
	s_cbranch_execz .LBB97_98
; %bb.97:                               ;   in Loop: Header=BB97_2 Depth=1
	ds_read_u8 v66, v63 offset:1
	s_waitcnt lgkmcnt(1)
	v_mov_b32_e32 v65, v61
.LBB97_98:                              ;   in Loop: Header=BB97_2 Depth=1
	s_or_b64 exec, exec, s[18:19]
	v_add_u32_e32 v67, 1, v64
	v_cndmask_b32_e64 v61, v61, v62, s[16:17]
	v_add_u32_e32 v62, 1, v63
	v_cndmask_b32_e64 v67, v67, v64, s[16:17]
	v_cndmask_b32_e64 v62, v63, v62, s[16:17]
	;; [unrolled: 1-line block ×5, first 2 shown]
	v_cmp_ge_i32_e64 s[14:15], v67, v26
	s_waitcnt lgkmcnt(0)
	v_cmp_lt_u16_sdwa s[16:17], v66, v65 src0_sel:BYTE_0 src1_sel:BYTE_0
	v_cndmask_b32_e64 v55, v55, v56, s[12:13]
	v_cndmask_b32_e64 v53, v53, v54, s[12:13]
	v_cmp_lt_i32_e64 s[12:13], v62, v42
	s_or_b64 s[14:15], s[14:15], s[16:17]
	s_and_b64 s[12:13], s[12:13], s[14:15]
	v_cndmask_b32_e64 v56, v67, v62, s[12:13]
	s_barrier
	ds_write_b8 v3, v50
	ds_write_b8 v3, v51 offset:1
	ds_write_b8 v3, v52 offset:2
	;; [unrolled: 1-line block ×3, first 2 shown]
	s_waitcnt lgkmcnt(0)
	s_barrier
	ds_read_u8 v49, v56
	ds_read_u8 v50, v53
	;; [unrolled: 1-line block ×4, first 2 shown]
	v_mov_b32_e32 v53, v46
	v_cndmask_b32_e64 v54, v65, v66, s[12:13]
	s_waitcnt lgkmcnt(0)
	s_barrier
	ds_write_b8 v3, v55
	ds_write_b8 v3, v57 offset:1
	ds_write_b8 v3, v61 offset:2
	;; [unrolled: 1-line block ×3, first 2 shown]
	s_waitcnt lgkmcnt(0)
	s_barrier
	s_and_saveexec_b64 s[14:15], s[10:11]
	s_cbranch_execz .LBB97_102
; %bb.99:                               ;   in Loop: Header=BB97_2 Depth=1
	s_mov_b64 s[16:17], 0
	v_mov_b32_e32 v53, v46
	v_mov_b32_e32 v54, v47
.LBB97_100:                             ;   Parent Loop BB97_2 Depth=1
                                        ; =>  This Inner Loop Header: Depth=2
	v_sub_u32_e32 v55, v54, v53
	v_lshrrev_b32_e32 v56, 31, v55
	v_add_u32_e32 v55, v55, v56
	v_ashrrev_i32_e32 v55, 1, v55
	v_add_u32_e32 v55, v55, v53
	v_not_b32_e32 v56, v55
	v_add3_u32 v56, v3, v56, v2
	ds_read_u8 v57, v55
	ds_read_u8 v56, v56
	v_add_u32_e32 v58, 1, v55
	s_waitcnt lgkmcnt(0)
	v_cmp_lt_u16_e64 s[12:13], v56, v57
	s_nop 1
	v_cndmask_b32_e64 v54, v54, v55, s[12:13]
	v_cndmask_b32_e64 v53, v58, v53, s[12:13]
	v_cmp_ge_i32_e64 s[12:13], v53, v54
	s_or_b64 s[16:17], s[12:13], s[16:17]
	s_andn2_b64 exec, exec, s[16:17]
	s_cbranch_execnz .LBB97_100
; %bb.101:                              ;   in Loop: Header=BB97_2 Depth=1
	s_or_b64 exec, exec, s[16:17]
.LBB97_102:                             ;   in Loop: Header=BB97_2 Depth=1
	s_or_b64 exec, exec, s[14:15]
	v_sub_u32_e32 v54, v48, v53
	ds_read_u8 v55, v53
	ds_read_u8 v56, v54
	v_cmp_le_i32_e64 s[14:15], v2, v53
	v_cmp_gt_i32_e64 s[12:13], s43, v54
                                        ; implicit-def: $vgpr57
                                        ; implicit-def: $vgpr58
	s_waitcnt lgkmcnt(0)
	v_cmp_lt_u16_sdwa s[16:17], v56, v55 src0_sel:BYTE_0 src1_sel:BYTE_0
	s_or_b64 s[14:15], s[14:15], s[16:17]
	s_and_b64 s[12:13], s[12:13], s[14:15]
	s_xor_b64 s[14:15], s[12:13], -1
	s_and_saveexec_b64 s[16:17], s[14:15]
	s_xor_b64 s[14:15], exec, s[16:17]
	s_cbranch_execz .LBB97_104
; %bb.103:                              ;   in Loop: Header=BB97_2 Depth=1
	ds_read_u8 v58, v53 offset:1
	v_mov_b32_e32 v57, v56
.LBB97_104:                             ;   in Loop: Header=BB97_2 Depth=1
	s_andn2_saveexec_b64 s[14:15], s[14:15]
	s_cbranch_execz .LBB97_106
; %bb.105:                              ;   in Loop: Header=BB97_2 Depth=1
	ds_read_u8 v57, v54 offset:1
	s_waitcnt lgkmcnt(1)
	v_mov_b32_e32 v58, v55
.LBB97_106:                             ;   in Loop: Header=BB97_2 Depth=1
	s_or_b64 exec, exec, s[14:15]
	v_add_u32_e32 v60, 1, v53
	v_add_u32_e32 v59, 1, v54
	v_cndmask_b32_e64 v60, v60, v53, s[12:13]
	v_cndmask_b32_e64 v59, v54, v59, s[12:13]
	v_cmp_ge_i32_e64 s[16:17], v60, v2
	s_waitcnt lgkmcnt(0)
	v_cmp_lt_u16_sdwa s[18:19], v57, v58 src0_sel:BYTE_0 src1_sel:BYTE_0
	v_cmp_gt_i32_e64 s[14:15], s43, v59
	s_or_b64 s[16:17], s[16:17], s[18:19]
	s_and_b64 s[14:15], s[14:15], s[16:17]
	s_xor_b64 s[16:17], s[14:15], -1
                                        ; implicit-def: $vgpr61
	s_and_saveexec_b64 s[18:19], s[16:17]
	s_xor_b64 s[16:17], exec, s[18:19]
	s_cbranch_execz .LBB97_108
; %bb.107:                              ;   in Loop: Header=BB97_2 Depth=1
	ds_read_u8 v61, v60 offset:1
.LBB97_108:                             ;   in Loop: Header=BB97_2 Depth=1
	s_or_saveexec_b64 s[16:17], s[16:17]
	v_mov_b32_e32 v62, v57
	s_xor_b64 exec, exec, s[16:17]
	s_cbranch_execz .LBB97_110
; %bb.109:                              ;   in Loop: Header=BB97_2 Depth=1
	ds_read_u8 v62, v59 offset:1
	s_waitcnt lgkmcnt(1)
	v_mov_b32_e32 v61, v58
.LBB97_110:                             ;   in Loop: Header=BB97_2 Depth=1
	s_or_b64 exec, exec, s[16:17]
	v_add_u32_e32 v64, 1, v60
	v_add_u32_e32 v63, 1, v59
	v_cndmask_b32_e64 v67, v64, v60, s[14:15]
	v_cndmask_b32_e64 v63, v59, v63, s[14:15]
	v_cmp_ge_i32_e64 s[18:19], v67, v2
	s_waitcnt lgkmcnt(0)
	v_cmp_lt_u16_sdwa s[20:21], v62, v61 src0_sel:BYTE_0 src1_sel:BYTE_0
	v_cmp_gt_i32_e64 s[16:17], s43, v63
	s_or_b64 s[18:19], s[18:19], s[20:21]
	s_and_b64 s[16:17], s[16:17], s[18:19]
	s_xor_b64 s[18:19], s[16:17], -1
                                        ; implicit-def: $vgpr65
                                        ; implicit-def: $vgpr64
	s_and_saveexec_b64 s[20:21], s[18:19]
	s_xor_b64 s[18:19], exec, s[20:21]
	s_cbranch_execz .LBB97_112
; %bb.111:                              ;   in Loop: Header=BB97_2 Depth=1
	ds_read_u8 v65, v67 offset:1
	v_add_u32_e32 v64, 1, v67
.LBB97_112:                             ;   in Loop: Header=BB97_2 Depth=1
	s_or_saveexec_b64 s[18:19], s[18:19]
	v_mov_b32_e32 v66, v67
	v_mov_b32_e32 v68, v62
	s_xor_b64 exec, exec, s[18:19]
	s_cbranch_execz .LBB97_1
; %bb.113:                              ;   in Loop: Header=BB97_2 Depth=1
	ds_read_u8 v68, v63 offset:1
	s_waitcnt lgkmcnt(1)
	v_add_u32_e32 v65, 1, v63
	v_mov_b32_e32 v66, v63
	v_mov_b32_e32 v64, v67
	;; [unrolled: 1-line block ×4, first 2 shown]
	s_branch .LBB97_1
.LBB97_114:
	s_add_u32 s0, s38, s33
	s_addc_u32 s1, s39, 0
	v_add_u16_e32 v2, v55, v54
	v_lshl_add_u64 v[0:1], s[0:1], 0, v[0:1]
	v_add_u16_e32 v3, v56, v58
	v_add_u16_e32 v4, v57, v51
	;; [unrolled: 1-line block ×3, first 2 shown]
	global_store_byte v[0:1], v2, off
	global_store_byte v[0:1], v3, off offset:128
	global_store_byte v[0:1], v4, off offset:256
	;; [unrolled: 1-line block ×3, first 2 shown]
	s_endpgm
	.section	.rodata,"a",@progbits
	.p2align	6, 0x0
	.amdhsa_kernel _Z17sort_pairs_kernelIhLj128ELj4EN10test_utils4lessELj10EEvPKT_PS2_T2_
		.amdhsa_group_segment_fixed_size 513
		.amdhsa_private_segment_fixed_size 0
		.amdhsa_kernarg_size 20
		.amdhsa_user_sgpr_count 2
		.amdhsa_user_sgpr_dispatch_ptr 0
		.amdhsa_user_sgpr_queue_ptr 0
		.amdhsa_user_sgpr_kernarg_segment_ptr 1
		.amdhsa_user_sgpr_dispatch_id 0
		.amdhsa_user_sgpr_kernarg_preload_length 0
		.amdhsa_user_sgpr_kernarg_preload_offset 0
		.amdhsa_user_sgpr_private_segment_size 0
		.amdhsa_uses_dynamic_stack 0
		.amdhsa_enable_private_segment 0
		.amdhsa_system_sgpr_workgroup_id_x 1
		.amdhsa_system_sgpr_workgroup_id_y 0
		.amdhsa_system_sgpr_workgroup_id_z 0
		.amdhsa_system_sgpr_workgroup_info 0
		.amdhsa_system_vgpr_workitem_id 0
		.amdhsa_next_free_vgpr 69
		.amdhsa_next_free_sgpr 46
		.amdhsa_accum_offset 72
		.amdhsa_reserve_vcc 1
		.amdhsa_float_round_mode_32 0
		.amdhsa_float_round_mode_16_64 0
		.amdhsa_float_denorm_mode_32 3
		.amdhsa_float_denorm_mode_16_64 3
		.amdhsa_dx10_clamp 1
		.amdhsa_ieee_mode 1
		.amdhsa_fp16_overflow 0
		.amdhsa_tg_split 0
		.amdhsa_exception_fp_ieee_invalid_op 0
		.amdhsa_exception_fp_denorm_src 0
		.amdhsa_exception_fp_ieee_div_zero 0
		.amdhsa_exception_fp_ieee_overflow 0
		.amdhsa_exception_fp_ieee_underflow 0
		.amdhsa_exception_fp_ieee_inexact 0
		.amdhsa_exception_int_div_zero 0
	.end_amdhsa_kernel
	.section	.text._Z17sort_pairs_kernelIhLj128ELj4EN10test_utils4lessELj10EEvPKT_PS2_T2_,"axG",@progbits,_Z17sort_pairs_kernelIhLj128ELj4EN10test_utils4lessELj10EEvPKT_PS2_T2_,comdat
.Lfunc_end97:
	.size	_Z17sort_pairs_kernelIhLj128ELj4EN10test_utils4lessELj10EEvPKT_PS2_T2_, .Lfunc_end97-_Z17sort_pairs_kernelIhLj128ELj4EN10test_utils4lessELj10EEvPKT_PS2_T2_
                                        ; -- End function
	.section	.AMDGPU.csdata,"",@progbits
; Kernel info:
; codeLenInByte = 6348
; NumSgprs: 52
; NumVgprs: 69
; NumAgprs: 0
; TotalNumVgprs: 69
; ScratchSize: 0
; MemoryBound: 0
; FloatMode: 240
; IeeeMode: 1
; LDSByteSize: 513 bytes/workgroup (compile time only)
; SGPRBlocks: 6
; VGPRBlocks: 8
; NumSGPRsForWavesPerEU: 52
; NumVGPRsForWavesPerEU: 69
; AccumOffset: 72
; Occupancy: 7
; WaveLimiterHint : 1
; COMPUTE_PGM_RSRC2:SCRATCH_EN: 0
; COMPUTE_PGM_RSRC2:USER_SGPR: 2
; COMPUTE_PGM_RSRC2:TRAP_HANDLER: 0
; COMPUTE_PGM_RSRC2:TGID_X_EN: 1
; COMPUTE_PGM_RSRC2:TGID_Y_EN: 0
; COMPUTE_PGM_RSRC2:TGID_Z_EN: 0
; COMPUTE_PGM_RSRC2:TIDIG_COMP_CNT: 0
; COMPUTE_PGM_RSRC3_GFX90A:ACCUM_OFFSET: 17
; COMPUTE_PGM_RSRC3_GFX90A:TG_SPLIT: 0
	.section	.text._Z16sort_keys_kernelIhLj128ELj8EN10test_utils4lessELj10EEvPKT_PS2_T2_,"axG",@progbits,_Z16sort_keys_kernelIhLj128ELj8EN10test_utils4lessELj10EEvPKT_PS2_T2_,comdat
	.protected	_Z16sort_keys_kernelIhLj128ELj8EN10test_utils4lessELj10EEvPKT_PS2_T2_ ; -- Begin function _Z16sort_keys_kernelIhLj128ELj8EN10test_utils4lessELj10EEvPKT_PS2_T2_
	.globl	_Z16sort_keys_kernelIhLj128ELj8EN10test_utils4lessELj10EEvPKT_PS2_T2_
	.p2align	8
	.type	_Z16sort_keys_kernelIhLj128ELj8EN10test_utils4lessELj10EEvPKT_PS2_T2_,@function
_Z16sort_keys_kernelIhLj128ELj8EN10test_utils4lessELj10EEvPKT_PS2_T2_: ; @_Z16sort_keys_kernelIhLj128ELj8EN10test_utils4lessELj10EEvPKT_PS2_T2_
; %bb.0:
	s_load_dwordx4 s[28:31], s[0:1], 0x0
	s_lshl_b32 s33, s2, 10
	v_lshlrev_b32_e32 v2, 3, v0
	v_and_b32_e32 v3, 0x3f0, v2
	v_and_b32_e32 v10, 0x3e0, v2
	s_waitcnt lgkmcnt(0)
	s_add_u32 s0, s28, s33
	s_addc_u32 s1, s29, 0
	global_load_ubyte v49, v0, s[0:1]
	global_load_ubyte v50, v0, s[0:1] offset:128
	global_load_ubyte v51, v0, s[0:1] offset:256
	;; [unrolled: 1-line block ×7, first 2 shown]
	v_and_b32_e32 v17, 0x3c0, v2
	v_and_b32_e32 v24, 0x380, v2
	;; [unrolled: 1-line block ×4, first 2 shown]
	v_or_b32_e32 v5, 8, v3
	v_add_u32_e32 v6, 16, v3
	v_or_b32_e32 v12, 16, v10
	v_add_u32_e32 v13, 32, v10
	v_or_b32_e32 v19, 32, v17
	v_add_u32_e32 v20, 64, v17
	v_or_b32_e32 v26, 64, v24
	v_add_u32_e32 v27, 0x80, v24
	v_or_b32_e32 v33, 0x80, v31
	v_add_u32_e32 v34, 0x100, v31
	v_or_b32_e32 v41, 0x100, v39
	v_add_u32_e32 v42, 0x200, v39
	v_and_b32_e32 v4, 8, v2
	v_sub_u32_e32 v7, v6, v5
	v_and_b32_e32 v11, 24, v2
	v_sub_u32_e32 v14, v13, v12
	;; [unrolled: 2-line block ×6, first 2 shown]
	v_sub_u32_e32 v8, v5, v3
	v_sub_u32_e32 v9, v4, v7
	v_cmp_ge_i32_e32 vcc, v4, v7
	v_sub_u32_e32 v15, v12, v10
	v_sub_u32_e32 v16, v11, v14
	v_cmp_ge_i32_e64 s[0:1], v11, v14
	v_sub_u32_e32 v22, v19, v17
	v_sub_u32_e32 v23, v18, v21
	v_cmp_ge_i32_e64 s[2:3], v18, v21
	;; [unrolled: 3-line block ×4, first 2 shown]
	v_mov_b32_e32 v38, 0x200
	v_sub_u32_e32 v44, v41, v39
	v_sub_u32_e32 v45, v40, v43
	v_cmp_ge_i32_e64 s[8:9], v40, v43
	v_cndmask_b32_e32 v7, 0, v9, vcc
	v_min_i32_e32 v8, v4, v8
	v_cndmask_b32_e64 v14, 0, v16, s[0:1]
	v_min_i32_e32 v15, v11, v15
	v_cndmask_b32_e64 v21, 0, v23, s[2:3]
	;; [unrolled: 2-line block ×5, first 2 shown]
	v_min_i32_e32 v44, v40, v44
	v_sub_u32_e64 v46, v2, v38 clamp
	v_min_i32_e32 v47, 0x200, v2
	s_mov_b32 s34, 0
	v_mov_b32_e32 v1, 0
	v_cmp_lt_i32_e32 vcc, v7, v8
	v_add_u32_e32 v9, v5, v4
	v_cmp_lt_i32_e64 s[0:1], v14, v15
	v_add_u32_e32 v16, v12, v11
	v_cmp_lt_i32_e64 s[2:3], v21, v22
	;; [unrolled: 2-line block ×4, first 2 shown]
	v_add_u32_e32 v37, v33, v32
	s_waitcnt vmcnt(6)
	v_lshlrev_b16_e32 v50, 8, v50
	v_or_b32_e32 v49, v49, v50
	s_waitcnt vmcnt(4)
	v_lshlrev_b16_e32 v50, 8, v52
	v_or_b32_sdwa v50, v51, v50 dst_sel:WORD_1 dst_unused:UNUSED_PAD src0_sel:DWORD src1_sel:DWORD
	v_cmp_lt_i32_e64 s[8:9], v43, v44
	v_or_b32_sdwa v50, v49, v50 dst_sel:DWORD dst_unused:UNUSED_PAD src0_sel:WORD_0 src1_sel:DWORD
	s_waitcnt vmcnt(2)
	v_lshlrev_b16_e32 v49, 8, v54
	s_waitcnt vmcnt(0)
	v_lshlrev_b16_e32 v51, 8, v56
	v_or_b32_e32 v49, v53, v49
	v_or_b32_sdwa v51, v55, v51 dst_sel:WORD_1 dst_unused:UNUSED_PAD src0_sel:DWORD src1_sel:DWORD
	v_add_u32_e32 v45, v41, v40
	v_cmp_lt_i32_e64 s[10:11], v46, v47
	v_add_u32_e32 v48, 0x200, v2
	s_mov_b32 s28, 0xffff
	v_or_b32_sdwa v49, v49, v51 dst_sel:DWORD dst_unused:UNUSED_PAD src0_sel:WORD_0 src1_sel:DWORD
	s_mov_b32 s29, 0x7060405
	s_movk_i32 s35, 0xff
	s_mov_b32 s36, 0xc0c0001
	s_mov_b32 s37, 0x6070504
	s_movk_i32 s38, 0xff00
	s_mov_b32 s39, 0xffff0000
	s_movk_i32 s40, 0x400
	s_branch .LBB98_2
.LBB98_1:                               ;   in Loop: Header=BB98_2 Depth=1
	s_or_b64 exec, exec, s[26:27]
	v_cndmask_b32_e64 v51, v52, v51, s[14:15]
	v_cndmask_b32_e64 v52, v53, v54, s[16:17]
	v_cmp_ge_i32_e64 s[14:15], v65, v38
	s_waitcnt lgkmcnt(0)
	v_cmp_lt_u16_sdwa s[16:17], v67, v64 src0_sel:BYTE_0 src1_sel:BYTE_0
	v_cndmask_b32_e64 v66, v49, v50, s[12:13]
	v_cndmask_b32_e64 v53, v55, v56, s[18:19]
	v_cmp_gt_i32_e64 s[12:13], s40, v63
	s_or_b64 s[14:15], s[14:15], s[16:17]
	s_and_b64 s[12:13], s[12:13], s[14:15]
	v_lshlrev_b16_e32 v49, 8, v51
	v_lshlrev_b16_e32 v50, 8, v53
	v_cndmask_b32_e64 v54, v57, v58, s[20:21]
	v_cndmask_b32_e64 v55, v59, v60, s[22:23]
	;; [unrolled: 1-line block ×3, first 2 shown]
	v_or_b32_sdwa v49, v66, v49 dst_sel:DWORD dst_unused:UNUSED_PAD src0_sel:BYTE_0 src1_sel:DWORD
	v_or_b32_sdwa v50, v52, v50 dst_sel:WORD_1 dst_unused:UNUSED_PAD src0_sel:BYTE_0 src1_sel:DWORD
	v_cndmask_b32_e64 v56, v61, v62, s[24:25]
	v_or_b32_sdwa v50, v49, v50 dst_sel:DWORD dst_unused:UNUSED_PAD src0_sel:WORD_0 src1_sel:DWORD
	v_lshlrev_b16_e32 v49, 8, v55
	v_lshlrev_b16_e32 v58, 8, v57
	s_add_i32 s34, s34, 1
	v_or_b32_sdwa v49, v54, v49 dst_sel:DWORD dst_unused:UNUSED_PAD src0_sel:BYTE_0 src1_sel:DWORD
	v_or_b32_sdwa v58, v56, v58 dst_sel:WORD_1 dst_unused:UNUSED_PAD src0_sel:BYTE_0 src1_sel:DWORD
	s_cmp_eq_u32 s34, 10
	v_or_b32_sdwa v49, v49, v58 dst_sel:DWORD dst_unused:UNUSED_PAD src0_sel:WORD_0 src1_sel:DWORD
	s_cbranch_scc1 .LBB98_226
.LBB98_2:                               ; =>This Loop Header: Depth=1
                                        ;     Child Loop BB98_4 Depth 2
                                        ;     Child Loop BB98_36 Depth 2
	;; [unrolled: 1-line block ×7, first 2 shown]
	v_lshrrev_b32_e32 v52, 8, v50
	v_perm_b32 v51, v50, v50, s29
	v_cmp_lt_u16_sdwa s[12:13], v52, v50 src0_sel:BYTE_0 src1_sel:BYTE_0
	v_min_u16_sdwa v55, v52, v50 dst_sel:DWORD dst_unused:UNUSED_PAD src0_sel:BYTE_0 src1_sel:BYTE_0
	s_nop 0
	v_cndmask_b32_e64 v51, v50, v51, s[12:13]
	v_lshrrev_b32_e32 v53, 16, v51
	v_perm_b32 v54, 0, v53, s36
	v_max_u16_sdwa v50, v52, v50 dst_sel:DWORD dst_unused:UNUSED_PAD src0_sel:BYTE_0 src1_sel:BYTE_0
	v_lshlrev_b32_e32 v52, 16, v54
	v_and_or_b32 v52, v51, s28, v52
	v_cmp_lt_u16_sdwa s[12:13], v51, v53 src0_sel:BYTE_3 src1_sel:BYTE_0
	v_max_u16_sdwa v56, v51, v53 dst_sel:DWORD dst_unused:UNUSED_PAD src0_sel:BYTE_3 src1_sel:BYTE_0
	v_perm_b32 v54, v49, v49, s29
	v_cndmask_b32_e64 v52, v51, v52, s[12:13]
	v_min_u16_sdwa v51, v51, v53 dst_sel:DWORD dst_unused:UNUSED_PAD src0_sel:BYTE_3 src1_sel:BYTE_0
	v_lshrrev_b32_e32 v53, 8, v49
	v_cmp_lt_u16_sdwa s[12:13], v53, v49 src0_sel:BYTE_0 src1_sel:BYTE_0
	v_max_u16_sdwa v57, v53, v49 dst_sel:DWORD dst_unused:UNUSED_PAD src0_sel:BYTE_0 src1_sel:BYTE_0
	v_and_b32_sdwa v59, v52, s38 dst_sel:DWORD dst_unused:UNUSED_PAD src0_sel:WORD_1 src1_sel:DWORD
	v_cndmask_b32_e64 v54, v49, v54, s[12:13]
	v_min_u16_sdwa v49, v53, v49 dst_sel:DWORD dst_unused:UNUSED_PAD src0_sel:BYTE_0 src1_sel:BYTE_0
	v_and_b32_sdwa v53, v54, s35 dst_sel:DWORD dst_unused:UNUSED_PAD src0_sel:WORD_1 src1_sel:DWORD
	v_perm_b32 v58, v54, v54, s37
	v_cmp_lt_u16_sdwa s[12:13], v54, v53 src0_sel:BYTE_3 src1_sel:DWORD
	v_max_u16_sdwa v60, v54, v53 dst_sel:DWORD dst_unused:UNUSED_PAD src0_sel:BYTE_3 src1_sel:DWORD
	v_min_u16_sdwa v53, v54, v53 dst_sel:DWORD dst_unused:UNUSED_PAD src0_sel:BYTE_3 src1_sel:DWORD
	v_cndmask_b32_e64 v58, v54, v58, s[12:13]
	v_lshlrev_b16_e32 v54, 8, v51
	v_or_b32_sdwa v59, v50, v59 dst_sel:WORD_1 dst_unused:UNUSED_PAD src0_sel:DWORD src1_sel:DWORD
	v_or_b32_sdwa v54, v52, v54 dst_sel:DWORD dst_unused:UNUSED_PAD src0_sel:BYTE_0 src1_sel:DWORD
	v_or_b32_sdwa v54, v54, v59 dst_sel:DWORD dst_unused:UNUSED_PAD src0_sel:WORD_0 src1_sel:DWORD
	v_cmp_lt_u16_e64 s[12:13], v51, v50
	v_and_b32_e32 v59, 0xffffff00, v58
	v_or_b32_e32 v59, v56, v59
	v_cndmask_b32_e64 v52, v52, v54, s[12:13]
	v_and_b32_sdwa v54, v52, s35 dst_sel:DWORD dst_unused:UNUSED_PAD src0_sel:WORD_1 src1_sel:DWORD
	v_lshlrev_b16_e32 v62, 8, v49
	v_and_b32_e32 v59, 0xffff, v59
	v_or_b32_sdwa v54, v54, v62 dst_sel:WORD_1 dst_unused:UNUSED_PAD src0_sel:DWORD src1_sel:DWORD
	v_and_or_b32 v59, v58, s39, v59
	v_and_or_b32 v54, v52, s28, v54
	v_cmp_lt_u16_e64 s[12:13], v49, v56
	v_max_u16_e32 v61, v51, v50
	v_min_u16_e32 v50, v51, v50
	v_cndmask_b32_e64 v52, v52, v54, s[12:13]
	v_cndmask_b32_e64 v54, v58, v59, s[12:13]
	v_and_b32_sdwa v58, v54, s38 dst_sel:DWORD dst_unused:UNUSED_PAD src0_sel:WORD_1 src1_sel:DWORD
	v_max_u16_e32 v59, v49, v56
	v_min_u16_e32 v49, v49, v56
	v_lshlrev_b16_e32 v56, 8, v53
	v_or_b32_sdwa v58, v57, v58 dst_sel:WORD_1 dst_unused:UNUSED_PAD src0_sel:DWORD src1_sel:DWORD
	v_or_b32_sdwa v56, v54, v56 dst_sel:DWORD dst_unused:UNUSED_PAD src0_sel:BYTE_0 src1_sel:DWORD
	v_or_b32_sdwa v56, v56, v58 dst_sel:DWORD dst_unused:UNUSED_PAD src0_sel:WORD_0 src1_sel:DWORD
	v_lshlrev_b16_e32 v58, 8, v55
	v_or_b32_e32 v58, v50, v58
	v_and_b32_e32 v58, 0xffff, v58
	v_cmp_lt_u16_e64 s[12:13], v53, v57
	v_and_or_b32 v58, v52, s39, v58
	s_barrier
	v_cndmask_b32_e64 v54, v54, v56, s[12:13]
	v_cmp_lt_u16_e64 s[12:13], v51, v55
	v_max_u16_e32 v56, v53, v57
	v_min_u16_e32 v53, v53, v57
	v_cndmask_b32_e64 v51, v52, v58, s[12:13]
	v_cndmask_b32_e64 v52, v55, v50, s[12:13]
	;; [unrolled: 1-line block ×3, first 2 shown]
	v_lshlrev_b16_e32 v55, 8, v61
	v_or_b32_sdwa v55, v49, v55 dst_sel:WORD_1 dst_unused:UNUSED_PAD src0_sel:DWORD src1_sel:DWORD
	v_cmp_lt_u16_e64 s[12:13], v49, v61
	v_and_or_b32 v55, v51, s28, v55
	v_max_u16_e32 v58, v49, v61
	v_cndmask_b32_e64 v51, v51, v55, s[12:13]
	v_lshlrev_b16_e32 v55, 8, v59
	v_or_b32_e32 v55, v53, v55
	v_and_b32_e32 v55, 0xffff, v55
	v_and_or_b32 v55, v54, s39, v55
	v_cmp_lt_u16_e64 s[12:13], v53, v59
	v_min_u16_e32 v49, v49, v61
	v_and_b32_sdwa v61, v51, s38 dst_sel:DWORD dst_unused:UNUSED_PAD src0_sel:WORD_1 src1_sel:DWORD
	v_cndmask_b32_e64 v54, v54, v55, s[12:13]
	v_max_u16_e32 v55, v53, v59
	v_min_u16_e32 v53, v53, v59
	v_lshlrev_b16_e32 v59, 8, v56
	v_or_b32_sdwa v59, v60, v59 dst_sel:WORD_1 dst_unused:UNUSED_PAD src0_sel:DWORD src1_sel:DWORD
	v_cmp_gt_u16_e64 s[12:13], v57, v60
	v_and_or_b32 v59, v54, s28, v59
	v_or_b32_sdwa v61, v50, v61 dst_sel:WORD_1 dst_unused:UNUSED_PAD src0_sel:DWORD src1_sel:DWORD
	v_cndmask_b32_e64 v54, v54, v59, s[12:13]
	v_lshlrev_b16_e32 v59, 8, v49
	v_or_b32_sdwa v59, v51, v59 dst_sel:DWORD dst_unused:UNUSED_PAD src0_sel:BYTE_0 src1_sel:DWORD
	v_cndmask_b32_e64 v57, v60, v56, s[12:13]
	v_cndmask_b32_e64 v56, v56, v60, s[12:13]
	v_or_b32_sdwa v59, v59, v61 dst_sel:DWORD dst_unused:UNUSED_PAD src0_sel:WORD_0 src1_sel:DWORD
	v_cmp_lt_u16_e64 s[12:13], v49, v50
	v_and_b32_e32 v60, 0xffffff00, v54
	v_or_b32_e32 v60, v58, v60
	v_cndmask_b32_e64 v51, v51, v59, s[12:13]
	v_and_b32_sdwa v59, v51, s35 dst_sel:DWORD dst_unused:UNUSED_PAD src0_sel:WORD_1 src1_sel:DWORD
	v_max_u16_e32 v61, v49, v50
	v_min_u16_e32 v49, v49, v50
	v_lshlrev_b16_e32 v50, 8, v53
	v_and_b32_e32 v60, 0xffff, v60
	v_or_b32_sdwa v50, v59, v50 dst_sel:WORD_1 dst_unused:UNUSED_PAD src0_sel:DWORD src1_sel:DWORD
	v_and_or_b32 v60, v54, s39, v60
	v_and_or_b32 v50, v51, s28, v50
	v_cmp_lt_u16_e64 s[12:13], v53, v58
	v_max_u16_e32 v59, v53, v58
	v_min_u16_e32 v53, v53, v58
	v_cndmask_b32_e64 v50, v51, v50, s[12:13]
	v_cndmask_b32_e64 v51, v54, v60, s[12:13]
	v_and_b32_sdwa v54, v51, s38 dst_sel:DWORD dst_unused:UNUSED_PAD src0_sel:WORD_1 src1_sel:DWORD
	v_lshlrev_b16_e32 v58, 8, v56
	v_or_b32_sdwa v54, v55, v54 dst_sel:WORD_1 dst_unused:UNUSED_PAD src0_sel:DWORD src1_sel:DWORD
	v_or_b32_sdwa v58, v51, v58 dst_sel:DWORD dst_unused:UNUSED_PAD src0_sel:BYTE_0 src1_sel:DWORD
	v_or_b32_sdwa v54, v58, v54 dst_sel:DWORD dst_unused:UNUSED_PAD src0_sel:WORD_0 src1_sel:DWORD
	v_lshlrev_b16_e32 v58, 8, v52
	v_or_b32_e32 v58, v49, v58
	v_and_b32_e32 v58, 0xffff, v58
	v_cmp_lt_u16_e64 s[12:13], v56, v55
	v_and_or_b32 v58, v50, s39, v58
	s_nop 0
	v_cndmask_b32_e64 v51, v51, v54, s[12:13]
	v_max_u16_e32 v54, v56, v55
	v_min_u16_e32 v55, v56, v55
	v_cmp_lt_u16_e64 s[12:13], v49, v52
	v_min_u16_e32 v56, v49, v52
	v_max_u16_e32 v49, v49, v52
	v_lshlrev_b16_e32 v52, 8, v61
	v_cndmask_b32_e64 v50, v50, v58, s[12:13]
	v_or_b32_sdwa v52, v53, v52 dst_sel:WORD_1 dst_unused:UNUSED_PAD src0_sel:DWORD src1_sel:DWORD
	v_cmp_lt_u16_e64 s[12:13], v53, v61
	v_and_or_b32 v52, v50, s28, v52
	v_max_u16_e32 v58, v53, v61
	v_cndmask_b32_e64 v50, v50, v52, s[12:13]
	v_lshlrev_b16_e32 v52, 8, v59
	v_or_b32_e32 v52, v55, v52
	v_and_b32_e32 v52, 0xffff, v52
	v_and_or_b32 v52, v51, s39, v52
	v_cmp_lt_u16_e64 s[12:13], v55, v59
	v_min_u16_e32 v53, v53, v61
	v_and_b32_sdwa v60, v50, s38 dst_sel:DWORD dst_unused:UNUSED_PAD src0_sel:WORD_1 src1_sel:DWORD
	v_cndmask_b32_e64 v51, v51, v52, s[12:13]
	v_max_u16_e32 v52, v55, v59
	v_min_u16_e32 v55, v55, v59
	v_lshlrev_b16_e32 v59, 8, v54
	v_or_b32_sdwa v59, v57, v59 dst_sel:WORD_1 dst_unused:UNUSED_PAD src0_sel:DWORD src1_sel:DWORD
	v_cmp_lt_u16_e64 s[12:13], v57, v54
	v_and_or_b32 v59, v51, s28, v59
	v_or_b32_sdwa v60, v49, v60 dst_sel:WORD_1 dst_unused:UNUSED_PAD src0_sel:DWORD src1_sel:DWORD
	v_cndmask_b32_e64 v51, v51, v59, s[12:13]
	v_max_u16_e32 v59, v57, v54
	v_min_u16_e32 v54, v57, v54
	v_lshlrev_b16_e32 v57, 8, v53
	v_or_b32_sdwa v57, v50, v57 dst_sel:DWORD dst_unused:UNUSED_PAD src0_sel:BYTE_0 src1_sel:DWORD
	v_or_b32_sdwa v57, v57, v60 dst_sel:DWORD dst_unused:UNUSED_PAD src0_sel:WORD_0 src1_sel:DWORD
	v_cmp_lt_u16_e64 s[12:13], v53, v49
	v_and_b32_e32 v60, 0xffffff00, v51
	v_or_b32_e32 v60, v58, v60
	v_cndmask_b32_e64 v50, v50, v57, s[12:13]
	v_and_b32_sdwa v57, v50, s35 dst_sel:DWORD dst_unused:UNUSED_PAD src0_sel:WORD_1 src1_sel:DWORD
	v_and_b32_e32 v60, 0xffff, v60
	v_lshlrev_b16_e32 v62, 8, v55
	v_and_or_b32 v60, v51, s39, v60
	v_or_b32_sdwa v57, v57, v62 dst_sel:WORD_1 dst_unused:UNUSED_PAD src0_sel:DWORD src1_sel:DWORD
	v_cmp_lt_u16_e64 s[12:13], v55, v58
	v_and_or_b32 v57, v50, s28, v57
	v_max_u16_e32 v61, v53, v49
	v_cndmask_b32_e64 v51, v51, v60, s[12:13]
	v_cndmask_b32_e64 v50, v50, v57, s[12:13]
	v_and_b32_sdwa v57, v51, s38 dst_sel:DWORD dst_unused:UNUSED_PAD src0_sel:WORD_1 src1_sel:DWORD
	v_max_u16_e32 v60, v55, v58
	v_min_u16_e32 v55, v55, v58
	v_lshlrev_b16_e32 v58, 8, v54
	v_or_b32_sdwa v57, v52, v57 dst_sel:WORD_1 dst_unused:UNUSED_PAD src0_sel:DWORD src1_sel:DWORD
	v_or_b32_sdwa v58, v51, v58 dst_sel:DWORD dst_unused:UNUSED_PAD src0_sel:BYTE_0 src1_sel:DWORD
	v_min_u16_e32 v49, v53, v49
	v_or_b32_sdwa v57, v58, v57 dst_sel:DWORD dst_unused:UNUSED_PAD src0_sel:WORD_0 src1_sel:DWORD
	v_lshlrev_b16_e32 v58, 8, v56
	v_or_b32_e32 v58, v49, v58
	v_and_b32_e32 v58, 0xffff, v58
	v_cmp_lt_u16_e64 s[12:13], v54, v52
	v_and_or_b32 v58, v50, s39, v58
	s_nop 0
	v_cndmask_b32_e64 v51, v51, v57, s[12:13]
	v_cmp_lt_u16_e64 s[12:13], v53, v56
	v_lshlrev_b16_e32 v53, 8, v61
	v_or_b32_sdwa v53, v55, v53 dst_sel:WORD_1 dst_unused:UNUSED_PAD src0_sel:DWORD src1_sel:DWORD
	v_cndmask_b32_e64 v50, v50, v58, s[12:13]
	v_cndmask_b32_e64 v49, v49, v56, s[12:13]
	v_and_or_b32 v53, v50, s28, v53
	v_cmp_lt_u16_e64 s[12:13], v55, v61
	v_max_u16_e32 v57, v54, v52
	v_min_u16_e32 v54, v54, v52
	v_cndmask_b32_e64 v50, v50, v53, s[12:13]
	v_lshlrev_b16_e32 v53, 8, v60
	v_or_b32_e32 v53, v54, v53
	v_and_b32_e32 v53, 0xffff, v53
	v_and_or_b32 v53, v51, s39, v53
	v_cmp_lt_u16_e64 s[12:13], v54, v60
	v_max_u16_e32 v56, v55, v61
	v_min_u16_e32 v55, v55, v61
	v_cndmask_b32_e64 v51, v51, v53, s[12:13]
	v_lshlrev_b16_e32 v58, 8, v57
	v_cmp_gt_u16_e64 s[12:13], v52, v59
	v_max_u16_e32 v53, v54, v60
	v_min_u16_e32 v54, v54, v60
	v_or_b32_sdwa v58, v59, v58 dst_sel:WORD_1 dst_unused:UNUSED_PAD src0_sel:DWORD src1_sel:DWORD
	v_and_b32_sdwa v60, v50, s38 dst_sel:DWORD dst_unused:UNUSED_PAD src0_sel:WORD_1 src1_sel:DWORD
	v_cndmask_b32_e64 v52, v57, v59, s[12:13]
	v_lshlrev_b16_e32 v57, 8, v55
	v_and_or_b32 v58, v51, s28, v58
	v_or_b32_sdwa v60, v49, v60 dst_sel:WORD_1 dst_unused:UNUSED_PAD src0_sel:DWORD src1_sel:DWORD
	v_or_b32_sdwa v57, v50, v57 dst_sel:DWORD dst_unused:UNUSED_PAD src0_sel:BYTE_0 src1_sel:DWORD
	v_cndmask_b32_e64 v51, v51, v58, s[12:13]
	v_or_b32_sdwa v57, v57, v60 dst_sel:DWORD dst_unused:UNUSED_PAD src0_sel:WORD_0 src1_sel:DWORD
	v_cmp_lt_u16_e64 s[12:13], v55, v49
	v_and_b32_e32 v55, 0xffffff00, v51
	v_or_b32_e32 v55, v56, v55
	v_cndmask_b32_e64 v49, v50, v57, s[12:13]
	v_and_b32_sdwa v50, v49, s35 dst_sel:DWORD dst_unused:UNUSED_PAD src0_sel:WORD_1 src1_sel:DWORD
	v_lshlrev_b16_e32 v57, 8, v54
	v_and_b32_e32 v55, 0xffff, v55
	v_or_b32_sdwa v50, v50, v57 dst_sel:WORD_1 dst_unused:UNUSED_PAD src0_sel:DWORD src1_sel:DWORD
	v_and_or_b32 v55, v51, s39, v55
	v_and_or_b32 v50, v49, s28, v50
	v_cmp_lt_u16_e64 s[12:13], v54, v56
	v_lshlrev_b16_e32 v54, 8, v52
	s_nop 0
	v_cndmask_b32_e64 v50, v49, v50, s[12:13]
	v_cndmask_b32_e64 v49, v51, v55, s[12:13]
	v_and_b32_sdwa v51, v49, s38 dst_sel:DWORD dst_unused:UNUSED_PAD src0_sel:WORD_1 src1_sel:DWORD
	v_or_b32_sdwa v51, v53, v51 dst_sel:WORD_1 dst_unused:UNUSED_PAD src0_sel:DWORD src1_sel:DWORD
	v_or_b32_sdwa v54, v49, v54 dst_sel:DWORD dst_unused:UNUSED_PAD src0_sel:BYTE_0 src1_sel:DWORD
	v_or_b32_sdwa v51, v54, v51 dst_sel:DWORD dst_unused:UNUSED_PAD src0_sel:WORD_0 src1_sel:DWORD
	v_cmp_lt_u16_e64 s[12:13], v52, v53
	s_nop 1
	v_cndmask_b32_e64 v51, v49, v51, s[12:13]
	v_mov_b32_e32 v49, v7
	ds_write_b64 v2, v[50:51]
	s_waitcnt lgkmcnt(0)
	s_barrier
	s_and_saveexec_b64 s[14:15], vcc
	s_cbranch_execz .LBB98_6
; %bb.3:                                ;   in Loop: Header=BB98_2 Depth=1
	s_mov_b64 s[16:17], 0
	v_mov_b32_e32 v49, v7
	v_mov_b32_e32 v50, v8
.LBB98_4:                               ;   Parent Loop BB98_2 Depth=1
                                        ; =>  This Inner Loop Header: Depth=2
	v_sub_u32_e32 v51, v50, v49
	v_lshrrev_b32_e32 v52, 31, v51
	v_add_u32_e32 v51, v51, v52
	v_ashrrev_i32_e32 v51, 1, v51
	v_add_u32_e32 v51, v51, v49
	v_not_b32_e32 v53, v51
	v_add_u32_e32 v52, v3, v51
	v_add3_u32 v53, v4, v53, v5
	ds_read_u8 v52, v52
	ds_read_u8 v53, v53
	v_add_u32_e32 v54, 1, v51
	s_waitcnt lgkmcnt(0)
	v_cmp_lt_u16_e64 s[12:13], v53, v52
	s_nop 1
	v_cndmask_b32_e64 v50, v50, v51, s[12:13]
	v_cndmask_b32_e64 v49, v54, v49, s[12:13]
	v_cmp_ge_i32_e64 s[12:13], v49, v50
	s_or_b64 s[16:17], s[12:13], s[16:17]
	s_andn2_b64 exec, exec, s[16:17]
	s_cbranch_execnz .LBB98_4
; %bb.5:                                ;   in Loop: Header=BB98_2 Depth=1
	s_or_b64 exec, exec, s[16:17]
.LBB98_6:                               ;   in Loop: Header=BB98_2 Depth=1
	s_or_b64 exec, exec, s[14:15]
	v_add_u32_e32 v53, v49, v3
	v_sub_u32_e32 v54, v9, v49
	ds_read_u8 v49, v53
	ds_read_u8 v50, v54
	v_cmp_le_i32_e64 s[14:15], v5, v53
	v_cmp_gt_i32_e64 s[12:13], v6, v54
                                        ; implicit-def: $vgpr51
                                        ; implicit-def: $vgpr52
	s_waitcnt lgkmcnt(0)
	v_cmp_lt_u16_sdwa s[16:17], v50, v49 src0_sel:BYTE_0 src1_sel:BYTE_0
	s_or_b64 s[14:15], s[14:15], s[16:17]
	s_and_b64 s[12:13], s[12:13], s[14:15]
	s_xor_b64 s[14:15], s[12:13], -1
	s_and_saveexec_b64 s[16:17], s[14:15]
	s_xor_b64 s[14:15], exec, s[16:17]
	s_cbranch_execz .LBB98_8
; %bb.7:                                ;   in Loop: Header=BB98_2 Depth=1
	ds_read_u8 v52, v53 offset:1
	v_mov_b32_e32 v51, v50
.LBB98_8:                               ;   in Loop: Header=BB98_2 Depth=1
	s_andn2_saveexec_b64 s[14:15], s[14:15]
	s_cbranch_execz .LBB98_10
; %bb.9:                                ;   in Loop: Header=BB98_2 Depth=1
	ds_read_u8 v51, v54 offset:1
	s_waitcnt lgkmcnt(1)
	v_mov_b32_e32 v52, v49
.LBB98_10:                              ;   in Loop: Header=BB98_2 Depth=1
	s_or_b64 exec, exec, s[14:15]
	v_add_u32_e32 v56, 1, v53
	v_add_u32_e32 v55, 1, v54
	v_cndmask_b32_e64 v56, v56, v53, s[12:13]
	v_cndmask_b32_e64 v55, v54, v55, s[12:13]
	v_cmp_ge_i32_e64 s[16:17], v56, v5
	s_waitcnt lgkmcnt(0)
	v_cmp_lt_u16_sdwa s[18:19], v51, v52 src0_sel:BYTE_0 src1_sel:BYTE_0
	v_cmp_lt_i32_e64 s[14:15], v55, v6
	s_or_b64 s[16:17], s[16:17], s[18:19]
	s_and_b64 s[14:15], s[14:15], s[16:17]
	s_xor_b64 s[16:17], s[14:15], -1
                                        ; implicit-def: $vgpr53
	s_and_saveexec_b64 s[18:19], s[16:17]
	s_xor_b64 s[16:17], exec, s[18:19]
	s_cbranch_execz .LBB98_12
; %bb.11:                               ;   in Loop: Header=BB98_2 Depth=1
	ds_read_u8 v53, v56 offset:1
.LBB98_12:                              ;   in Loop: Header=BB98_2 Depth=1
	s_or_saveexec_b64 s[16:17], s[16:17]
	v_mov_b32_e32 v54, v51
	s_xor_b64 exec, exec, s[16:17]
	s_cbranch_execz .LBB98_14
; %bb.13:                               ;   in Loop: Header=BB98_2 Depth=1
	ds_read_u8 v54, v55 offset:1
	s_waitcnt lgkmcnt(1)
	v_mov_b32_e32 v53, v52
.LBB98_14:                              ;   in Loop: Header=BB98_2 Depth=1
	s_or_b64 exec, exec, s[16:17]
	v_add_u32_e32 v58, 1, v56
	v_add_u32_e32 v57, 1, v55
	v_cndmask_b32_e64 v58, v58, v56, s[14:15]
	v_cndmask_b32_e64 v57, v55, v57, s[14:15]
	v_cmp_ge_i32_e64 s[18:19], v58, v5
	s_waitcnt lgkmcnt(0)
	v_cmp_lt_u16_sdwa s[20:21], v54, v53 src0_sel:BYTE_0 src1_sel:BYTE_0
	v_cmp_lt_i32_e64 s[16:17], v57, v6
	s_or_b64 s[18:19], s[18:19], s[20:21]
	s_and_b64 s[16:17], s[16:17], s[18:19]
	s_xor_b64 s[18:19], s[16:17], -1
                                        ; implicit-def: $vgpr55
	s_and_saveexec_b64 s[20:21], s[18:19]
	s_xor_b64 s[18:19], exec, s[20:21]
	s_cbranch_execz .LBB98_16
; %bb.15:                               ;   in Loop: Header=BB98_2 Depth=1
	ds_read_u8 v55, v58 offset:1
.LBB98_16:                              ;   in Loop: Header=BB98_2 Depth=1
	s_or_saveexec_b64 s[18:19], s[18:19]
	v_mov_b32_e32 v56, v54
	s_xor_b64 exec, exec, s[18:19]
	s_cbranch_execz .LBB98_18
; %bb.17:                               ;   in Loop: Header=BB98_2 Depth=1
	ds_read_u8 v56, v57 offset:1
	s_waitcnt lgkmcnt(1)
	v_mov_b32_e32 v55, v53
.LBB98_18:                              ;   in Loop: Header=BB98_2 Depth=1
	s_or_b64 exec, exec, s[18:19]
	v_add_u32_e32 v60, 1, v58
	v_add_u32_e32 v59, 1, v57
	v_cndmask_b32_e64 v60, v60, v58, s[16:17]
	v_cndmask_b32_e64 v59, v57, v59, s[16:17]
	v_cmp_ge_i32_e64 s[20:21], v60, v5
	s_waitcnt lgkmcnt(0)
	v_cmp_lt_u16_sdwa s[22:23], v56, v55 src0_sel:BYTE_0 src1_sel:BYTE_0
	v_cmp_lt_i32_e64 s[18:19], v59, v6
	s_or_b64 s[20:21], s[20:21], s[22:23]
	s_and_b64 s[18:19], s[18:19], s[20:21]
	s_xor_b64 s[20:21], s[18:19], -1
                                        ; implicit-def: $vgpr57
	s_and_saveexec_b64 s[22:23], s[20:21]
	s_xor_b64 s[20:21], exec, s[22:23]
	s_cbranch_execz .LBB98_20
; %bb.19:                               ;   in Loop: Header=BB98_2 Depth=1
	ds_read_u8 v57, v60 offset:1
.LBB98_20:                              ;   in Loop: Header=BB98_2 Depth=1
	s_or_saveexec_b64 s[20:21], s[20:21]
	v_mov_b32_e32 v58, v56
	s_xor_b64 exec, exec, s[20:21]
	s_cbranch_execz .LBB98_22
; %bb.21:                               ;   in Loop: Header=BB98_2 Depth=1
	ds_read_u8 v58, v59 offset:1
	s_waitcnt lgkmcnt(1)
	v_mov_b32_e32 v57, v55
.LBB98_22:                              ;   in Loop: Header=BB98_2 Depth=1
	s_or_b64 exec, exec, s[20:21]
	v_add_u32_e32 v62, 1, v60
	v_add_u32_e32 v61, 1, v59
	v_cndmask_b32_e64 v62, v62, v60, s[18:19]
	v_cndmask_b32_e64 v61, v59, v61, s[18:19]
	v_cmp_ge_i32_e64 s[22:23], v62, v5
	s_waitcnt lgkmcnt(0)
	v_cmp_lt_u16_sdwa s[24:25], v58, v57 src0_sel:BYTE_0 src1_sel:BYTE_0
	v_cmp_lt_i32_e64 s[20:21], v61, v6
	s_or_b64 s[22:23], s[22:23], s[24:25]
	s_and_b64 s[20:21], s[20:21], s[22:23]
	s_xor_b64 s[22:23], s[20:21], -1
                                        ; implicit-def: $vgpr59
	s_and_saveexec_b64 s[24:25], s[22:23]
	s_xor_b64 s[22:23], exec, s[24:25]
	s_cbranch_execz .LBB98_24
; %bb.23:                               ;   in Loop: Header=BB98_2 Depth=1
	ds_read_u8 v59, v62 offset:1
.LBB98_24:                              ;   in Loop: Header=BB98_2 Depth=1
	s_or_saveexec_b64 s[22:23], s[22:23]
	v_mov_b32_e32 v60, v58
	s_xor_b64 exec, exec, s[22:23]
	s_cbranch_execz .LBB98_26
; %bb.25:                               ;   in Loop: Header=BB98_2 Depth=1
	ds_read_u8 v60, v61 offset:1
	s_waitcnt lgkmcnt(1)
	v_mov_b32_e32 v59, v57
.LBB98_26:                              ;   in Loop: Header=BB98_2 Depth=1
	s_or_b64 exec, exec, s[22:23]
	v_add_u32_e32 v64, 1, v62
	v_add_u32_e32 v63, 1, v61
	v_cndmask_b32_e64 v65, v64, v62, s[20:21]
	v_cndmask_b32_e64 v63, v61, v63, s[20:21]
	v_cmp_ge_i32_e64 s[24:25], v65, v5
	s_waitcnt lgkmcnt(0)
	v_cmp_lt_u16_sdwa s[26:27], v60, v59 src0_sel:BYTE_0 src1_sel:BYTE_0
	v_cmp_lt_i32_e64 s[22:23], v63, v6
	s_or_b64 s[24:25], s[24:25], s[26:27]
	s_and_b64 s[22:23], s[22:23], s[24:25]
	s_xor_b64 s[24:25], s[22:23], -1
                                        ; implicit-def: $vgpr61
	s_and_saveexec_b64 s[26:27], s[24:25]
	s_xor_b64 s[24:25], exec, s[26:27]
	s_cbranch_execz .LBB98_28
; %bb.27:                               ;   in Loop: Header=BB98_2 Depth=1
	ds_read_u8 v61, v65 offset:1
.LBB98_28:                              ;   in Loop: Header=BB98_2 Depth=1
	s_or_saveexec_b64 s[24:25], s[24:25]
	v_mov_b32_e32 v62, v60
	s_xor_b64 exec, exec, s[24:25]
	s_cbranch_execz .LBB98_30
; %bb.29:                               ;   in Loop: Header=BB98_2 Depth=1
	ds_read_u8 v62, v63 offset:1
	s_waitcnt lgkmcnt(1)
	v_mov_b32_e32 v61, v59
.LBB98_30:                              ;   in Loop: Header=BB98_2 Depth=1
	s_or_b64 exec, exec, s[24:25]
	v_add_u32_e32 v66, 1, v65
	v_add_u32_e32 v64, 1, v63
	v_cndmask_b32_e64 v65, v66, v65, s[22:23]
	v_cndmask_b32_e64 v64, v63, v64, s[22:23]
	v_cmp_ge_i32_e64 s[26:27], v65, v5
	s_waitcnt lgkmcnt(0)
	v_cmp_lt_u16_sdwa s[42:43], v62, v61 src0_sel:BYTE_0 src1_sel:BYTE_0
	v_cmp_lt_i32_e64 s[24:25], v64, v6
	s_or_b64 s[26:27], s[26:27], s[42:43]
	s_and_b64 s[24:25], s[24:25], s[26:27]
	s_xor_b64 s[26:27], s[24:25], -1
                                        ; implicit-def: $vgpr63
	s_and_saveexec_b64 s[42:43], s[26:27]
	s_xor_b64 s[26:27], exec, s[42:43]
	s_cbranch_execz .LBB98_32
; %bb.31:                               ;   in Loop: Header=BB98_2 Depth=1
	ds_read_u8 v63, v65 offset:1
.LBB98_32:                              ;   in Loop: Header=BB98_2 Depth=1
	s_or_saveexec_b64 s[26:27], s[26:27]
	v_mov_b32_e32 v66, v62
	s_xor_b64 exec, exec, s[26:27]
	s_cbranch_execz .LBB98_34
; %bb.33:                               ;   in Loop: Header=BB98_2 Depth=1
	ds_read_u8 v66, v64 offset:1
	s_waitcnt lgkmcnt(1)
	v_mov_b32_e32 v63, v61
.LBB98_34:                              ;   in Loop: Header=BB98_2 Depth=1
	s_or_b64 exec, exec, s[26:27]
	v_cndmask_b32_e64 v61, v61, v62, s[24:25]
	v_add_u32_e32 v62, 1, v64
	v_add_u32_e32 v67, 1, v65
	v_cndmask_b32_e64 v62, v64, v62, s[24:25]
	v_cndmask_b32_e64 v64, v67, v65, s[24:25]
	;; [unrolled: 1-line block ×4, first 2 shown]
	v_cmp_ge_i32_e64 s[14:15], v64, v5
	s_waitcnt lgkmcnt(0)
	v_cmp_lt_u16_sdwa s[16:17], v66, v63 src0_sel:BYTE_0 src1_sel:BYTE_0
	v_cndmask_b32_e64 v55, v55, v56, s[18:19]
	v_cndmask_b32_e64 v49, v49, v50, s[12:13]
	v_cmp_lt_i32_e64 s[12:13], v62, v6
	s_or_b64 s[14:15], s[14:15], s[16:17]
	v_lshlrev_b16_e32 v50, 8, v51
	s_and_b64 s[12:13], s[12:13], s[14:15]
	v_or_b32_sdwa v49, v49, v50 dst_sel:DWORD dst_unused:UNUSED_PAD src0_sel:BYTE_0 src1_sel:DWORD
	v_lshlrev_b16_e32 v50, 8, v55
	v_cndmask_b32_e64 v59, v59, v60, s[22:23]
	v_cndmask_b32_e64 v52, v63, v66, s[12:13]
	v_or_b32_sdwa v50, v53, v50 dst_sel:WORD_1 dst_unused:UNUSED_PAD src0_sel:BYTE_0 src1_sel:DWORD
	v_cndmask_b32_e64 v57, v57, v58, s[20:21]
	v_or_b32_sdwa v50, v49, v50 dst_sel:DWORD dst_unused:UNUSED_PAD src0_sel:WORD_0 src1_sel:DWORD
	v_lshlrev_b16_e32 v49, 8, v59
	v_lshlrev_b16_e32 v51, 8, v52
	v_or_b32_sdwa v49, v57, v49 dst_sel:DWORD dst_unused:UNUSED_PAD src0_sel:BYTE_0 src1_sel:DWORD
	v_or_b32_sdwa v51, v61, v51 dst_sel:WORD_1 dst_unused:UNUSED_PAD src0_sel:BYTE_0 src1_sel:DWORD
	s_nop 0
	v_or_b32_sdwa v51, v49, v51 dst_sel:DWORD dst_unused:UNUSED_PAD src0_sel:WORD_0 src1_sel:DWORD
	v_mov_b32_e32 v49, v14
	s_barrier
	ds_write_b64 v2, v[50:51]
	s_waitcnt lgkmcnt(0)
	s_barrier
	s_and_saveexec_b64 s[14:15], s[0:1]
	s_cbranch_execz .LBB98_38
; %bb.35:                               ;   in Loop: Header=BB98_2 Depth=1
	s_mov_b64 s[16:17], 0
	v_mov_b32_e32 v49, v14
	v_mov_b32_e32 v50, v15
.LBB98_36:                              ;   Parent Loop BB98_2 Depth=1
                                        ; =>  This Inner Loop Header: Depth=2
	v_sub_u32_e32 v51, v50, v49
	v_lshrrev_b32_e32 v52, 31, v51
	v_add_u32_e32 v51, v51, v52
	v_ashrrev_i32_e32 v51, 1, v51
	v_add_u32_e32 v51, v51, v49
	v_not_b32_e32 v53, v51
	v_add_u32_e32 v52, v10, v51
	v_add3_u32 v53, v11, v53, v12
	ds_read_u8 v52, v52
	ds_read_u8 v53, v53
	v_add_u32_e32 v54, 1, v51
	s_waitcnt lgkmcnt(0)
	v_cmp_lt_u16_e64 s[12:13], v53, v52
	s_nop 1
	v_cndmask_b32_e64 v50, v50, v51, s[12:13]
	v_cndmask_b32_e64 v49, v54, v49, s[12:13]
	v_cmp_ge_i32_e64 s[12:13], v49, v50
	s_or_b64 s[16:17], s[12:13], s[16:17]
	s_andn2_b64 exec, exec, s[16:17]
	s_cbranch_execnz .LBB98_36
; %bb.37:                               ;   in Loop: Header=BB98_2 Depth=1
	s_or_b64 exec, exec, s[16:17]
.LBB98_38:                              ;   in Loop: Header=BB98_2 Depth=1
	s_or_b64 exec, exec, s[14:15]
	v_add_u32_e32 v53, v49, v10
	v_sub_u32_e32 v54, v16, v49
	ds_read_u8 v49, v53
	ds_read_u8 v50, v54
	v_cmp_le_i32_e64 s[14:15], v12, v53
	v_cmp_gt_i32_e64 s[12:13], v13, v54
                                        ; implicit-def: $vgpr51
                                        ; implicit-def: $vgpr52
	s_waitcnt lgkmcnt(0)
	v_cmp_lt_u16_sdwa s[16:17], v50, v49 src0_sel:BYTE_0 src1_sel:BYTE_0
	s_or_b64 s[14:15], s[14:15], s[16:17]
	s_and_b64 s[12:13], s[12:13], s[14:15]
	s_xor_b64 s[14:15], s[12:13], -1
	s_and_saveexec_b64 s[16:17], s[14:15]
	s_xor_b64 s[14:15], exec, s[16:17]
	s_cbranch_execz .LBB98_40
; %bb.39:                               ;   in Loop: Header=BB98_2 Depth=1
	ds_read_u8 v52, v53 offset:1
	v_mov_b32_e32 v51, v50
.LBB98_40:                              ;   in Loop: Header=BB98_2 Depth=1
	s_andn2_saveexec_b64 s[14:15], s[14:15]
	s_cbranch_execz .LBB98_42
; %bb.41:                               ;   in Loop: Header=BB98_2 Depth=1
	ds_read_u8 v51, v54 offset:1
	s_waitcnt lgkmcnt(1)
	v_mov_b32_e32 v52, v49
.LBB98_42:                              ;   in Loop: Header=BB98_2 Depth=1
	s_or_b64 exec, exec, s[14:15]
	v_add_u32_e32 v56, 1, v53
	v_add_u32_e32 v55, 1, v54
	v_cndmask_b32_e64 v56, v56, v53, s[12:13]
	v_cndmask_b32_e64 v55, v54, v55, s[12:13]
	v_cmp_ge_i32_e64 s[16:17], v56, v12
	s_waitcnt lgkmcnt(0)
	v_cmp_lt_u16_sdwa s[18:19], v51, v52 src0_sel:BYTE_0 src1_sel:BYTE_0
	v_cmp_lt_i32_e64 s[14:15], v55, v13
	s_or_b64 s[16:17], s[16:17], s[18:19]
	s_and_b64 s[14:15], s[14:15], s[16:17]
	s_xor_b64 s[16:17], s[14:15], -1
                                        ; implicit-def: $vgpr53
	s_and_saveexec_b64 s[18:19], s[16:17]
	s_xor_b64 s[16:17], exec, s[18:19]
	s_cbranch_execz .LBB98_44
; %bb.43:                               ;   in Loop: Header=BB98_2 Depth=1
	ds_read_u8 v53, v56 offset:1
.LBB98_44:                              ;   in Loop: Header=BB98_2 Depth=1
	s_or_saveexec_b64 s[16:17], s[16:17]
	v_mov_b32_e32 v54, v51
	s_xor_b64 exec, exec, s[16:17]
	s_cbranch_execz .LBB98_46
; %bb.45:                               ;   in Loop: Header=BB98_2 Depth=1
	ds_read_u8 v54, v55 offset:1
	s_waitcnt lgkmcnt(1)
	v_mov_b32_e32 v53, v52
.LBB98_46:                              ;   in Loop: Header=BB98_2 Depth=1
	s_or_b64 exec, exec, s[16:17]
	v_add_u32_e32 v58, 1, v56
	v_add_u32_e32 v57, 1, v55
	v_cndmask_b32_e64 v58, v58, v56, s[14:15]
	v_cndmask_b32_e64 v57, v55, v57, s[14:15]
	v_cmp_ge_i32_e64 s[18:19], v58, v12
	s_waitcnt lgkmcnt(0)
	v_cmp_lt_u16_sdwa s[20:21], v54, v53 src0_sel:BYTE_0 src1_sel:BYTE_0
	v_cmp_lt_i32_e64 s[16:17], v57, v13
	s_or_b64 s[18:19], s[18:19], s[20:21]
	s_and_b64 s[16:17], s[16:17], s[18:19]
	s_xor_b64 s[18:19], s[16:17], -1
                                        ; implicit-def: $vgpr55
	s_and_saveexec_b64 s[20:21], s[18:19]
	s_xor_b64 s[18:19], exec, s[20:21]
	s_cbranch_execz .LBB98_48
; %bb.47:                               ;   in Loop: Header=BB98_2 Depth=1
	ds_read_u8 v55, v58 offset:1
.LBB98_48:                              ;   in Loop: Header=BB98_2 Depth=1
	s_or_saveexec_b64 s[18:19], s[18:19]
	v_mov_b32_e32 v56, v54
	s_xor_b64 exec, exec, s[18:19]
	s_cbranch_execz .LBB98_50
; %bb.49:                               ;   in Loop: Header=BB98_2 Depth=1
	ds_read_u8 v56, v57 offset:1
	s_waitcnt lgkmcnt(1)
	v_mov_b32_e32 v55, v53
.LBB98_50:                              ;   in Loop: Header=BB98_2 Depth=1
	s_or_b64 exec, exec, s[18:19]
	v_add_u32_e32 v60, 1, v58
	v_add_u32_e32 v59, 1, v57
	v_cndmask_b32_e64 v60, v60, v58, s[16:17]
	v_cndmask_b32_e64 v59, v57, v59, s[16:17]
	v_cmp_ge_i32_e64 s[20:21], v60, v12
	s_waitcnt lgkmcnt(0)
	v_cmp_lt_u16_sdwa s[22:23], v56, v55 src0_sel:BYTE_0 src1_sel:BYTE_0
	v_cmp_lt_i32_e64 s[18:19], v59, v13
	s_or_b64 s[20:21], s[20:21], s[22:23]
	s_and_b64 s[18:19], s[18:19], s[20:21]
	s_xor_b64 s[20:21], s[18:19], -1
                                        ; implicit-def: $vgpr57
	s_and_saveexec_b64 s[22:23], s[20:21]
	s_xor_b64 s[20:21], exec, s[22:23]
	s_cbranch_execz .LBB98_52
; %bb.51:                               ;   in Loop: Header=BB98_2 Depth=1
	ds_read_u8 v57, v60 offset:1
.LBB98_52:                              ;   in Loop: Header=BB98_2 Depth=1
	s_or_saveexec_b64 s[20:21], s[20:21]
	v_mov_b32_e32 v58, v56
	s_xor_b64 exec, exec, s[20:21]
	s_cbranch_execz .LBB98_54
; %bb.53:                               ;   in Loop: Header=BB98_2 Depth=1
	ds_read_u8 v58, v59 offset:1
	s_waitcnt lgkmcnt(1)
	v_mov_b32_e32 v57, v55
.LBB98_54:                              ;   in Loop: Header=BB98_2 Depth=1
	s_or_b64 exec, exec, s[20:21]
	v_add_u32_e32 v62, 1, v60
	v_add_u32_e32 v61, 1, v59
	v_cndmask_b32_e64 v62, v62, v60, s[18:19]
	v_cndmask_b32_e64 v61, v59, v61, s[18:19]
	v_cmp_ge_i32_e64 s[22:23], v62, v12
	s_waitcnt lgkmcnt(0)
	v_cmp_lt_u16_sdwa s[24:25], v58, v57 src0_sel:BYTE_0 src1_sel:BYTE_0
	v_cmp_lt_i32_e64 s[20:21], v61, v13
	s_or_b64 s[22:23], s[22:23], s[24:25]
	s_and_b64 s[20:21], s[20:21], s[22:23]
	s_xor_b64 s[22:23], s[20:21], -1
                                        ; implicit-def: $vgpr59
	s_and_saveexec_b64 s[24:25], s[22:23]
	s_xor_b64 s[22:23], exec, s[24:25]
	s_cbranch_execz .LBB98_56
; %bb.55:                               ;   in Loop: Header=BB98_2 Depth=1
	ds_read_u8 v59, v62 offset:1
.LBB98_56:                              ;   in Loop: Header=BB98_2 Depth=1
	s_or_saveexec_b64 s[22:23], s[22:23]
	v_mov_b32_e32 v60, v58
	s_xor_b64 exec, exec, s[22:23]
	s_cbranch_execz .LBB98_58
; %bb.57:                               ;   in Loop: Header=BB98_2 Depth=1
	ds_read_u8 v60, v61 offset:1
	s_waitcnt lgkmcnt(1)
	v_mov_b32_e32 v59, v57
.LBB98_58:                              ;   in Loop: Header=BB98_2 Depth=1
	s_or_b64 exec, exec, s[22:23]
	v_add_u32_e32 v64, 1, v62
	v_add_u32_e32 v63, 1, v61
	v_cndmask_b32_e64 v65, v64, v62, s[20:21]
	v_cndmask_b32_e64 v63, v61, v63, s[20:21]
	v_cmp_ge_i32_e64 s[24:25], v65, v12
	s_waitcnt lgkmcnt(0)
	v_cmp_lt_u16_sdwa s[26:27], v60, v59 src0_sel:BYTE_0 src1_sel:BYTE_0
	v_cmp_lt_i32_e64 s[22:23], v63, v13
	s_or_b64 s[24:25], s[24:25], s[26:27]
	s_and_b64 s[22:23], s[22:23], s[24:25]
	s_xor_b64 s[24:25], s[22:23], -1
                                        ; implicit-def: $vgpr61
	s_and_saveexec_b64 s[26:27], s[24:25]
	s_xor_b64 s[24:25], exec, s[26:27]
	s_cbranch_execz .LBB98_60
; %bb.59:                               ;   in Loop: Header=BB98_2 Depth=1
	ds_read_u8 v61, v65 offset:1
.LBB98_60:                              ;   in Loop: Header=BB98_2 Depth=1
	s_or_saveexec_b64 s[24:25], s[24:25]
	v_mov_b32_e32 v62, v60
	s_xor_b64 exec, exec, s[24:25]
	s_cbranch_execz .LBB98_62
; %bb.61:                               ;   in Loop: Header=BB98_2 Depth=1
	ds_read_u8 v62, v63 offset:1
	s_waitcnt lgkmcnt(1)
	v_mov_b32_e32 v61, v59
.LBB98_62:                              ;   in Loop: Header=BB98_2 Depth=1
	s_or_b64 exec, exec, s[24:25]
	v_add_u32_e32 v66, 1, v65
	v_add_u32_e32 v64, 1, v63
	v_cndmask_b32_e64 v65, v66, v65, s[22:23]
	v_cndmask_b32_e64 v64, v63, v64, s[22:23]
	v_cmp_ge_i32_e64 s[26:27], v65, v12
	s_waitcnt lgkmcnt(0)
	v_cmp_lt_u16_sdwa s[42:43], v62, v61 src0_sel:BYTE_0 src1_sel:BYTE_0
	v_cmp_lt_i32_e64 s[24:25], v64, v13
	s_or_b64 s[26:27], s[26:27], s[42:43]
	s_and_b64 s[24:25], s[24:25], s[26:27]
	s_xor_b64 s[26:27], s[24:25], -1
                                        ; implicit-def: $vgpr63
	s_and_saveexec_b64 s[42:43], s[26:27]
	s_xor_b64 s[26:27], exec, s[42:43]
	s_cbranch_execz .LBB98_64
; %bb.63:                               ;   in Loop: Header=BB98_2 Depth=1
	ds_read_u8 v63, v65 offset:1
.LBB98_64:                              ;   in Loop: Header=BB98_2 Depth=1
	s_or_saveexec_b64 s[26:27], s[26:27]
	v_mov_b32_e32 v66, v62
	s_xor_b64 exec, exec, s[26:27]
	s_cbranch_execz .LBB98_66
; %bb.65:                               ;   in Loop: Header=BB98_2 Depth=1
	ds_read_u8 v66, v64 offset:1
	s_waitcnt lgkmcnt(1)
	v_mov_b32_e32 v63, v61
.LBB98_66:                              ;   in Loop: Header=BB98_2 Depth=1
	s_or_b64 exec, exec, s[26:27]
	v_cndmask_b32_e64 v61, v61, v62, s[24:25]
	v_add_u32_e32 v62, 1, v64
	v_add_u32_e32 v67, 1, v65
	v_cndmask_b32_e64 v62, v64, v62, s[24:25]
	v_cndmask_b32_e64 v64, v67, v65, s[24:25]
	;; [unrolled: 1-line block ×4, first 2 shown]
	v_cmp_ge_i32_e64 s[14:15], v64, v12
	s_waitcnt lgkmcnt(0)
	v_cmp_lt_u16_sdwa s[16:17], v66, v63 src0_sel:BYTE_0 src1_sel:BYTE_0
	v_cndmask_b32_e64 v55, v55, v56, s[18:19]
	v_cndmask_b32_e64 v49, v49, v50, s[12:13]
	v_cmp_lt_i32_e64 s[12:13], v62, v13
	s_or_b64 s[14:15], s[14:15], s[16:17]
	v_lshlrev_b16_e32 v50, 8, v51
	s_and_b64 s[12:13], s[12:13], s[14:15]
	v_or_b32_sdwa v49, v49, v50 dst_sel:DWORD dst_unused:UNUSED_PAD src0_sel:BYTE_0 src1_sel:DWORD
	v_lshlrev_b16_e32 v50, 8, v55
	v_cndmask_b32_e64 v59, v59, v60, s[22:23]
	v_cndmask_b32_e64 v52, v63, v66, s[12:13]
	v_or_b32_sdwa v50, v53, v50 dst_sel:WORD_1 dst_unused:UNUSED_PAD src0_sel:BYTE_0 src1_sel:DWORD
	v_cndmask_b32_e64 v57, v57, v58, s[20:21]
	v_or_b32_sdwa v50, v49, v50 dst_sel:DWORD dst_unused:UNUSED_PAD src0_sel:WORD_0 src1_sel:DWORD
	v_lshlrev_b16_e32 v49, 8, v59
	v_lshlrev_b16_e32 v51, 8, v52
	v_or_b32_sdwa v49, v57, v49 dst_sel:DWORD dst_unused:UNUSED_PAD src0_sel:BYTE_0 src1_sel:DWORD
	v_or_b32_sdwa v51, v61, v51 dst_sel:WORD_1 dst_unused:UNUSED_PAD src0_sel:BYTE_0 src1_sel:DWORD
	s_nop 0
	v_or_b32_sdwa v51, v49, v51 dst_sel:DWORD dst_unused:UNUSED_PAD src0_sel:WORD_0 src1_sel:DWORD
	v_mov_b32_e32 v49, v21
	s_barrier
	ds_write_b64 v2, v[50:51]
	s_waitcnt lgkmcnt(0)
	s_barrier
	s_and_saveexec_b64 s[14:15], s[2:3]
	s_cbranch_execz .LBB98_70
; %bb.67:                               ;   in Loop: Header=BB98_2 Depth=1
	s_mov_b64 s[16:17], 0
	v_mov_b32_e32 v49, v21
	v_mov_b32_e32 v50, v22
.LBB98_68:                              ;   Parent Loop BB98_2 Depth=1
                                        ; =>  This Inner Loop Header: Depth=2
	v_sub_u32_e32 v51, v50, v49
	v_lshrrev_b32_e32 v52, 31, v51
	v_add_u32_e32 v51, v51, v52
	v_ashrrev_i32_e32 v51, 1, v51
	v_add_u32_e32 v51, v51, v49
	v_not_b32_e32 v53, v51
	v_add_u32_e32 v52, v17, v51
	v_add3_u32 v53, v18, v53, v19
	ds_read_u8 v52, v52
	ds_read_u8 v53, v53
	v_add_u32_e32 v54, 1, v51
	s_waitcnt lgkmcnt(0)
	v_cmp_lt_u16_e64 s[12:13], v53, v52
	s_nop 1
	v_cndmask_b32_e64 v50, v50, v51, s[12:13]
	v_cndmask_b32_e64 v49, v54, v49, s[12:13]
	v_cmp_ge_i32_e64 s[12:13], v49, v50
	s_or_b64 s[16:17], s[12:13], s[16:17]
	s_andn2_b64 exec, exec, s[16:17]
	s_cbranch_execnz .LBB98_68
; %bb.69:                               ;   in Loop: Header=BB98_2 Depth=1
	s_or_b64 exec, exec, s[16:17]
.LBB98_70:                              ;   in Loop: Header=BB98_2 Depth=1
	s_or_b64 exec, exec, s[14:15]
	v_add_u32_e32 v53, v49, v17
	v_sub_u32_e32 v54, v23, v49
	ds_read_u8 v49, v53
	ds_read_u8 v50, v54
	v_cmp_le_i32_e64 s[14:15], v19, v53
	v_cmp_gt_i32_e64 s[12:13], v20, v54
                                        ; implicit-def: $vgpr51
                                        ; implicit-def: $vgpr52
	s_waitcnt lgkmcnt(0)
	v_cmp_lt_u16_sdwa s[16:17], v50, v49 src0_sel:BYTE_0 src1_sel:BYTE_0
	s_or_b64 s[14:15], s[14:15], s[16:17]
	s_and_b64 s[12:13], s[12:13], s[14:15]
	s_xor_b64 s[14:15], s[12:13], -1
	s_and_saveexec_b64 s[16:17], s[14:15]
	s_xor_b64 s[14:15], exec, s[16:17]
	s_cbranch_execz .LBB98_72
; %bb.71:                               ;   in Loop: Header=BB98_2 Depth=1
	ds_read_u8 v52, v53 offset:1
	v_mov_b32_e32 v51, v50
.LBB98_72:                              ;   in Loop: Header=BB98_2 Depth=1
	s_andn2_saveexec_b64 s[14:15], s[14:15]
	s_cbranch_execz .LBB98_74
; %bb.73:                               ;   in Loop: Header=BB98_2 Depth=1
	ds_read_u8 v51, v54 offset:1
	s_waitcnt lgkmcnt(1)
	v_mov_b32_e32 v52, v49
.LBB98_74:                              ;   in Loop: Header=BB98_2 Depth=1
	s_or_b64 exec, exec, s[14:15]
	v_add_u32_e32 v56, 1, v53
	v_add_u32_e32 v55, 1, v54
	v_cndmask_b32_e64 v56, v56, v53, s[12:13]
	v_cndmask_b32_e64 v55, v54, v55, s[12:13]
	v_cmp_ge_i32_e64 s[16:17], v56, v19
	s_waitcnt lgkmcnt(0)
	v_cmp_lt_u16_sdwa s[18:19], v51, v52 src0_sel:BYTE_0 src1_sel:BYTE_0
	v_cmp_lt_i32_e64 s[14:15], v55, v20
	s_or_b64 s[16:17], s[16:17], s[18:19]
	s_and_b64 s[14:15], s[14:15], s[16:17]
	s_xor_b64 s[16:17], s[14:15], -1
                                        ; implicit-def: $vgpr53
	s_and_saveexec_b64 s[18:19], s[16:17]
	s_xor_b64 s[16:17], exec, s[18:19]
	s_cbranch_execz .LBB98_76
; %bb.75:                               ;   in Loop: Header=BB98_2 Depth=1
	ds_read_u8 v53, v56 offset:1
.LBB98_76:                              ;   in Loop: Header=BB98_2 Depth=1
	s_or_saveexec_b64 s[16:17], s[16:17]
	v_mov_b32_e32 v54, v51
	s_xor_b64 exec, exec, s[16:17]
	s_cbranch_execz .LBB98_78
; %bb.77:                               ;   in Loop: Header=BB98_2 Depth=1
	ds_read_u8 v54, v55 offset:1
	s_waitcnt lgkmcnt(1)
	v_mov_b32_e32 v53, v52
.LBB98_78:                              ;   in Loop: Header=BB98_2 Depth=1
	s_or_b64 exec, exec, s[16:17]
	v_add_u32_e32 v58, 1, v56
	v_add_u32_e32 v57, 1, v55
	v_cndmask_b32_e64 v58, v58, v56, s[14:15]
	v_cndmask_b32_e64 v57, v55, v57, s[14:15]
	v_cmp_ge_i32_e64 s[18:19], v58, v19
	s_waitcnt lgkmcnt(0)
	v_cmp_lt_u16_sdwa s[20:21], v54, v53 src0_sel:BYTE_0 src1_sel:BYTE_0
	v_cmp_lt_i32_e64 s[16:17], v57, v20
	s_or_b64 s[18:19], s[18:19], s[20:21]
	s_and_b64 s[16:17], s[16:17], s[18:19]
	s_xor_b64 s[18:19], s[16:17], -1
                                        ; implicit-def: $vgpr55
	s_and_saveexec_b64 s[20:21], s[18:19]
	s_xor_b64 s[18:19], exec, s[20:21]
	s_cbranch_execz .LBB98_80
; %bb.79:                               ;   in Loop: Header=BB98_2 Depth=1
	ds_read_u8 v55, v58 offset:1
.LBB98_80:                              ;   in Loop: Header=BB98_2 Depth=1
	s_or_saveexec_b64 s[18:19], s[18:19]
	v_mov_b32_e32 v56, v54
	s_xor_b64 exec, exec, s[18:19]
	s_cbranch_execz .LBB98_82
; %bb.81:                               ;   in Loop: Header=BB98_2 Depth=1
	ds_read_u8 v56, v57 offset:1
	s_waitcnt lgkmcnt(1)
	v_mov_b32_e32 v55, v53
.LBB98_82:                              ;   in Loop: Header=BB98_2 Depth=1
	s_or_b64 exec, exec, s[18:19]
	v_add_u32_e32 v60, 1, v58
	v_add_u32_e32 v59, 1, v57
	v_cndmask_b32_e64 v60, v60, v58, s[16:17]
	v_cndmask_b32_e64 v59, v57, v59, s[16:17]
	v_cmp_ge_i32_e64 s[20:21], v60, v19
	s_waitcnt lgkmcnt(0)
	v_cmp_lt_u16_sdwa s[22:23], v56, v55 src0_sel:BYTE_0 src1_sel:BYTE_0
	v_cmp_lt_i32_e64 s[18:19], v59, v20
	s_or_b64 s[20:21], s[20:21], s[22:23]
	s_and_b64 s[18:19], s[18:19], s[20:21]
	s_xor_b64 s[20:21], s[18:19], -1
                                        ; implicit-def: $vgpr57
	s_and_saveexec_b64 s[22:23], s[20:21]
	s_xor_b64 s[20:21], exec, s[22:23]
	s_cbranch_execz .LBB98_84
; %bb.83:                               ;   in Loop: Header=BB98_2 Depth=1
	ds_read_u8 v57, v60 offset:1
.LBB98_84:                              ;   in Loop: Header=BB98_2 Depth=1
	s_or_saveexec_b64 s[20:21], s[20:21]
	v_mov_b32_e32 v58, v56
	s_xor_b64 exec, exec, s[20:21]
	s_cbranch_execz .LBB98_86
; %bb.85:                               ;   in Loop: Header=BB98_2 Depth=1
	ds_read_u8 v58, v59 offset:1
	s_waitcnt lgkmcnt(1)
	v_mov_b32_e32 v57, v55
.LBB98_86:                              ;   in Loop: Header=BB98_2 Depth=1
	s_or_b64 exec, exec, s[20:21]
	v_add_u32_e32 v62, 1, v60
	v_add_u32_e32 v61, 1, v59
	v_cndmask_b32_e64 v62, v62, v60, s[18:19]
	v_cndmask_b32_e64 v61, v59, v61, s[18:19]
	v_cmp_ge_i32_e64 s[22:23], v62, v19
	s_waitcnt lgkmcnt(0)
	v_cmp_lt_u16_sdwa s[24:25], v58, v57 src0_sel:BYTE_0 src1_sel:BYTE_0
	v_cmp_lt_i32_e64 s[20:21], v61, v20
	s_or_b64 s[22:23], s[22:23], s[24:25]
	s_and_b64 s[20:21], s[20:21], s[22:23]
	s_xor_b64 s[22:23], s[20:21], -1
                                        ; implicit-def: $vgpr59
	s_and_saveexec_b64 s[24:25], s[22:23]
	s_xor_b64 s[22:23], exec, s[24:25]
	s_cbranch_execz .LBB98_88
; %bb.87:                               ;   in Loop: Header=BB98_2 Depth=1
	ds_read_u8 v59, v62 offset:1
.LBB98_88:                              ;   in Loop: Header=BB98_2 Depth=1
	s_or_saveexec_b64 s[22:23], s[22:23]
	v_mov_b32_e32 v60, v58
	s_xor_b64 exec, exec, s[22:23]
	s_cbranch_execz .LBB98_90
; %bb.89:                               ;   in Loop: Header=BB98_2 Depth=1
	ds_read_u8 v60, v61 offset:1
	s_waitcnt lgkmcnt(1)
	v_mov_b32_e32 v59, v57
.LBB98_90:                              ;   in Loop: Header=BB98_2 Depth=1
	s_or_b64 exec, exec, s[22:23]
	v_add_u32_e32 v64, 1, v62
	v_add_u32_e32 v63, 1, v61
	v_cndmask_b32_e64 v65, v64, v62, s[20:21]
	v_cndmask_b32_e64 v63, v61, v63, s[20:21]
	v_cmp_ge_i32_e64 s[24:25], v65, v19
	s_waitcnt lgkmcnt(0)
	v_cmp_lt_u16_sdwa s[26:27], v60, v59 src0_sel:BYTE_0 src1_sel:BYTE_0
	v_cmp_lt_i32_e64 s[22:23], v63, v20
	s_or_b64 s[24:25], s[24:25], s[26:27]
	s_and_b64 s[22:23], s[22:23], s[24:25]
	s_xor_b64 s[24:25], s[22:23], -1
                                        ; implicit-def: $vgpr61
	s_and_saveexec_b64 s[26:27], s[24:25]
	s_xor_b64 s[24:25], exec, s[26:27]
	s_cbranch_execz .LBB98_92
; %bb.91:                               ;   in Loop: Header=BB98_2 Depth=1
	ds_read_u8 v61, v65 offset:1
.LBB98_92:                              ;   in Loop: Header=BB98_2 Depth=1
	s_or_saveexec_b64 s[24:25], s[24:25]
	v_mov_b32_e32 v62, v60
	s_xor_b64 exec, exec, s[24:25]
	s_cbranch_execz .LBB98_94
; %bb.93:                               ;   in Loop: Header=BB98_2 Depth=1
	ds_read_u8 v62, v63 offset:1
	s_waitcnt lgkmcnt(1)
	v_mov_b32_e32 v61, v59
.LBB98_94:                              ;   in Loop: Header=BB98_2 Depth=1
	s_or_b64 exec, exec, s[24:25]
	v_add_u32_e32 v66, 1, v65
	v_add_u32_e32 v64, 1, v63
	v_cndmask_b32_e64 v65, v66, v65, s[22:23]
	v_cndmask_b32_e64 v64, v63, v64, s[22:23]
	v_cmp_ge_i32_e64 s[26:27], v65, v19
	s_waitcnt lgkmcnt(0)
	v_cmp_lt_u16_sdwa s[42:43], v62, v61 src0_sel:BYTE_0 src1_sel:BYTE_0
	v_cmp_lt_i32_e64 s[24:25], v64, v20
	s_or_b64 s[26:27], s[26:27], s[42:43]
	s_and_b64 s[24:25], s[24:25], s[26:27]
	s_xor_b64 s[26:27], s[24:25], -1
                                        ; implicit-def: $vgpr63
	s_and_saveexec_b64 s[42:43], s[26:27]
	s_xor_b64 s[26:27], exec, s[42:43]
	s_cbranch_execz .LBB98_96
; %bb.95:                               ;   in Loop: Header=BB98_2 Depth=1
	ds_read_u8 v63, v65 offset:1
.LBB98_96:                              ;   in Loop: Header=BB98_2 Depth=1
	s_or_saveexec_b64 s[26:27], s[26:27]
	v_mov_b32_e32 v66, v62
	s_xor_b64 exec, exec, s[26:27]
	s_cbranch_execz .LBB98_98
; %bb.97:                               ;   in Loop: Header=BB98_2 Depth=1
	ds_read_u8 v66, v64 offset:1
	s_waitcnt lgkmcnt(1)
	v_mov_b32_e32 v63, v61
.LBB98_98:                              ;   in Loop: Header=BB98_2 Depth=1
	s_or_b64 exec, exec, s[26:27]
	v_cndmask_b32_e64 v61, v61, v62, s[24:25]
	v_add_u32_e32 v62, 1, v64
	v_add_u32_e32 v67, 1, v65
	v_cndmask_b32_e64 v62, v64, v62, s[24:25]
	v_cndmask_b32_e64 v64, v67, v65, s[24:25]
	v_cndmask_b32_e64 v53, v53, v54, s[16:17]
	v_cndmask_b32_e64 v51, v52, v51, s[14:15]
	v_cmp_ge_i32_e64 s[14:15], v64, v19
	s_waitcnt lgkmcnt(0)
	v_cmp_lt_u16_sdwa s[16:17], v66, v63 src0_sel:BYTE_0 src1_sel:BYTE_0
	v_cndmask_b32_e64 v55, v55, v56, s[18:19]
	v_cndmask_b32_e64 v49, v49, v50, s[12:13]
	v_cmp_lt_i32_e64 s[12:13], v62, v20
	s_or_b64 s[14:15], s[14:15], s[16:17]
	v_lshlrev_b16_e32 v50, 8, v51
	s_and_b64 s[12:13], s[12:13], s[14:15]
	v_or_b32_sdwa v49, v49, v50 dst_sel:DWORD dst_unused:UNUSED_PAD src0_sel:BYTE_0 src1_sel:DWORD
	v_lshlrev_b16_e32 v50, 8, v55
	v_cndmask_b32_e64 v59, v59, v60, s[22:23]
	v_cndmask_b32_e64 v52, v63, v66, s[12:13]
	v_or_b32_sdwa v50, v53, v50 dst_sel:WORD_1 dst_unused:UNUSED_PAD src0_sel:BYTE_0 src1_sel:DWORD
	v_cndmask_b32_e64 v57, v57, v58, s[20:21]
	v_or_b32_sdwa v50, v49, v50 dst_sel:DWORD dst_unused:UNUSED_PAD src0_sel:WORD_0 src1_sel:DWORD
	v_lshlrev_b16_e32 v49, 8, v59
	v_lshlrev_b16_e32 v51, 8, v52
	v_or_b32_sdwa v49, v57, v49 dst_sel:DWORD dst_unused:UNUSED_PAD src0_sel:BYTE_0 src1_sel:DWORD
	v_or_b32_sdwa v51, v61, v51 dst_sel:WORD_1 dst_unused:UNUSED_PAD src0_sel:BYTE_0 src1_sel:DWORD
	s_nop 0
	v_or_b32_sdwa v51, v49, v51 dst_sel:DWORD dst_unused:UNUSED_PAD src0_sel:WORD_0 src1_sel:DWORD
	v_mov_b32_e32 v49, v28
	s_barrier
	ds_write_b64 v2, v[50:51]
	s_waitcnt lgkmcnt(0)
	s_barrier
	s_and_saveexec_b64 s[14:15], s[4:5]
	s_cbranch_execz .LBB98_102
; %bb.99:                               ;   in Loop: Header=BB98_2 Depth=1
	s_mov_b64 s[16:17], 0
	v_mov_b32_e32 v49, v28
	v_mov_b32_e32 v50, v29
.LBB98_100:                             ;   Parent Loop BB98_2 Depth=1
                                        ; =>  This Inner Loop Header: Depth=2
	v_sub_u32_e32 v51, v50, v49
	v_lshrrev_b32_e32 v52, 31, v51
	v_add_u32_e32 v51, v51, v52
	v_ashrrev_i32_e32 v51, 1, v51
	v_add_u32_e32 v51, v51, v49
	v_not_b32_e32 v53, v51
	v_add_u32_e32 v52, v24, v51
	v_add3_u32 v53, v25, v53, v26
	ds_read_u8 v52, v52
	ds_read_u8 v53, v53
	v_add_u32_e32 v54, 1, v51
	s_waitcnt lgkmcnt(0)
	v_cmp_lt_u16_e64 s[12:13], v53, v52
	s_nop 1
	v_cndmask_b32_e64 v50, v50, v51, s[12:13]
	v_cndmask_b32_e64 v49, v54, v49, s[12:13]
	v_cmp_ge_i32_e64 s[12:13], v49, v50
	s_or_b64 s[16:17], s[12:13], s[16:17]
	s_andn2_b64 exec, exec, s[16:17]
	s_cbranch_execnz .LBB98_100
; %bb.101:                              ;   in Loop: Header=BB98_2 Depth=1
	s_or_b64 exec, exec, s[16:17]
.LBB98_102:                             ;   in Loop: Header=BB98_2 Depth=1
	s_or_b64 exec, exec, s[14:15]
	v_add_u32_e32 v53, v49, v24
	v_sub_u32_e32 v54, v30, v49
	ds_read_u8 v49, v53
	ds_read_u8 v50, v54
	v_cmp_le_i32_e64 s[14:15], v26, v53
	v_cmp_gt_i32_e64 s[12:13], v27, v54
                                        ; implicit-def: $vgpr51
                                        ; implicit-def: $vgpr52
	s_waitcnt lgkmcnt(0)
	v_cmp_lt_u16_sdwa s[16:17], v50, v49 src0_sel:BYTE_0 src1_sel:BYTE_0
	s_or_b64 s[14:15], s[14:15], s[16:17]
	s_and_b64 s[12:13], s[12:13], s[14:15]
	s_xor_b64 s[14:15], s[12:13], -1
	s_and_saveexec_b64 s[16:17], s[14:15]
	s_xor_b64 s[14:15], exec, s[16:17]
	s_cbranch_execz .LBB98_104
; %bb.103:                              ;   in Loop: Header=BB98_2 Depth=1
	ds_read_u8 v52, v53 offset:1
	v_mov_b32_e32 v51, v50
.LBB98_104:                             ;   in Loop: Header=BB98_2 Depth=1
	s_andn2_saveexec_b64 s[14:15], s[14:15]
	s_cbranch_execz .LBB98_106
; %bb.105:                              ;   in Loop: Header=BB98_2 Depth=1
	ds_read_u8 v51, v54 offset:1
	s_waitcnt lgkmcnt(1)
	v_mov_b32_e32 v52, v49
.LBB98_106:                             ;   in Loop: Header=BB98_2 Depth=1
	s_or_b64 exec, exec, s[14:15]
	v_add_u32_e32 v56, 1, v53
	v_add_u32_e32 v55, 1, v54
	v_cndmask_b32_e64 v56, v56, v53, s[12:13]
	v_cndmask_b32_e64 v55, v54, v55, s[12:13]
	v_cmp_ge_i32_e64 s[16:17], v56, v26
	s_waitcnt lgkmcnt(0)
	v_cmp_lt_u16_sdwa s[18:19], v51, v52 src0_sel:BYTE_0 src1_sel:BYTE_0
	v_cmp_lt_i32_e64 s[14:15], v55, v27
	s_or_b64 s[16:17], s[16:17], s[18:19]
	s_and_b64 s[14:15], s[14:15], s[16:17]
	s_xor_b64 s[16:17], s[14:15], -1
                                        ; implicit-def: $vgpr53
	s_and_saveexec_b64 s[18:19], s[16:17]
	s_xor_b64 s[16:17], exec, s[18:19]
	s_cbranch_execz .LBB98_108
; %bb.107:                              ;   in Loop: Header=BB98_2 Depth=1
	ds_read_u8 v53, v56 offset:1
.LBB98_108:                             ;   in Loop: Header=BB98_2 Depth=1
	s_or_saveexec_b64 s[16:17], s[16:17]
	v_mov_b32_e32 v54, v51
	s_xor_b64 exec, exec, s[16:17]
	s_cbranch_execz .LBB98_110
; %bb.109:                              ;   in Loop: Header=BB98_2 Depth=1
	ds_read_u8 v54, v55 offset:1
	s_waitcnt lgkmcnt(1)
	v_mov_b32_e32 v53, v52
.LBB98_110:                             ;   in Loop: Header=BB98_2 Depth=1
	s_or_b64 exec, exec, s[16:17]
	v_add_u32_e32 v58, 1, v56
	v_add_u32_e32 v57, 1, v55
	v_cndmask_b32_e64 v58, v58, v56, s[14:15]
	v_cndmask_b32_e64 v57, v55, v57, s[14:15]
	v_cmp_ge_i32_e64 s[18:19], v58, v26
	s_waitcnt lgkmcnt(0)
	v_cmp_lt_u16_sdwa s[20:21], v54, v53 src0_sel:BYTE_0 src1_sel:BYTE_0
	v_cmp_lt_i32_e64 s[16:17], v57, v27
	s_or_b64 s[18:19], s[18:19], s[20:21]
	s_and_b64 s[16:17], s[16:17], s[18:19]
	s_xor_b64 s[18:19], s[16:17], -1
                                        ; implicit-def: $vgpr55
	s_and_saveexec_b64 s[20:21], s[18:19]
	s_xor_b64 s[18:19], exec, s[20:21]
	s_cbranch_execz .LBB98_112
; %bb.111:                              ;   in Loop: Header=BB98_2 Depth=1
	ds_read_u8 v55, v58 offset:1
.LBB98_112:                             ;   in Loop: Header=BB98_2 Depth=1
	s_or_saveexec_b64 s[18:19], s[18:19]
	v_mov_b32_e32 v56, v54
	s_xor_b64 exec, exec, s[18:19]
	s_cbranch_execz .LBB98_114
; %bb.113:                              ;   in Loop: Header=BB98_2 Depth=1
	ds_read_u8 v56, v57 offset:1
	s_waitcnt lgkmcnt(1)
	v_mov_b32_e32 v55, v53
.LBB98_114:                             ;   in Loop: Header=BB98_2 Depth=1
	s_or_b64 exec, exec, s[18:19]
	v_add_u32_e32 v60, 1, v58
	v_add_u32_e32 v59, 1, v57
	v_cndmask_b32_e64 v60, v60, v58, s[16:17]
	v_cndmask_b32_e64 v59, v57, v59, s[16:17]
	v_cmp_ge_i32_e64 s[20:21], v60, v26
	s_waitcnt lgkmcnt(0)
	v_cmp_lt_u16_sdwa s[22:23], v56, v55 src0_sel:BYTE_0 src1_sel:BYTE_0
	v_cmp_lt_i32_e64 s[18:19], v59, v27
	s_or_b64 s[20:21], s[20:21], s[22:23]
	s_and_b64 s[18:19], s[18:19], s[20:21]
	s_xor_b64 s[20:21], s[18:19], -1
                                        ; implicit-def: $vgpr57
	s_and_saveexec_b64 s[22:23], s[20:21]
	s_xor_b64 s[20:21], exec, s[22:23]
	s_cbranch_execz .LBB98_116
; %bb.115:                              ;   in Loop: Header=BB98_2 Depth=1
	ds_read_u8 v57, v60 offset:1
.LBB98_116:                             ;   in Loop: Header=BB98_2 Depth=1
	s_or_saveexec_b64 s[20:21], s[20:21]
	v_mov_b32_e32 v58, v56
	s_xor_b64 exec, exec, s[20:21]
	s_cbranch_execz .LBB98_118
; %bb.117:                              ;   in Loop: Header=BB98_2 Depth=1
	ds_read_u8 v58, v59 offset:1
	s_waitcnt lgkmcnt(1)
	v_mov_b32_e32 v57, v55
.LBB98_118:                             ;   in Loop: Header=BB98_2 Depth=1
	s_or_b64 exec, exec, s[20:21]
	v_add_u32_e32 v62, 1, v60
	v_add_u32_e32 v61, 1, v59
	v_cndmask_b32_e64 v62, v62, v60, s[18:19]
	v_cndmask_b32_e64 v61, v59, v61, s[18:19]
	v_cmp_ge_i32_e64 s[22:23], v62, v26
	s_waitcnt lgkmcnt(0)
	v_cmp_lt_u16_sdwa s[24:25], v58, v57 src0_sel:BYTE_0 src1_sel:BYTE_0
	v_cmp_lt_i32_e64 s[20:21], v61, v27
	s_or_b64 s[22:23], s[22:23], s[24:25]
	s_and_b64 s[20:21], s[20:21], s[22:23]
	s_xor_b64 s[22:23], s[20:21], -1
                                        ; implicit-def: $vgpr59
	s_and_saveexec_b64 s[24:25], s[22:23]
	s_xor_b64 s[22:23], exec, s[24:25]
	s_cbranch_execz .LBB98_120
; %bb.119:                              ;   in Loop: Header=BB98_2 Depth=1
	ds_read_u8 v59, v62 offset:1
.LBB98_120:                             ;   in Loop: Header=BB98_2 Depth=1
	s_or_saveexec_b64 s[22:23], s[22:23]
	v_mov_b32_e32 v60, v58
	s_xor_b64 exec, exec, s[22:23]
	s_cbranch_execz .LBB98_122
; %bb.121:                              ;   in Loop: Header=BB98_2 Depth=1
	ds_read_u8 v60, v61 offset:1
	s_waitcnt lgkmcnt(1)
	v_mov_b32_e32 v59, v57
.LBB98_122:                             ;   in Loop: Header=BB98_2 Depth=1
	s_or_b64 exec, exec, s[22:23]
	v_add_u32_e32 v64, 1, v62
	v_add_u32_e32 v63, 1, v61
	v_cndmask_b32_e64 v65, v64, v62, s[20:21]
	v_cndmask_b32_e64 v63, v61, v63, s[20:21]
	v_cmp_ge_i32_e64 s[24:25], v65, v26
	s_waitcnt lgkmcnt(0)
	v_cmp_lt_u16_sdwa s[26:27], v60, v59 src0_sel:BYTE_0 src1_sel:BYTE_0
	v_cmp_lt_i32_e64 s[22:23], v63, v27
	s_or_b64 s[24:25], s[24:25], s[26:27]
	s_and_b64 s[22:23], s[22:23], s[24:25]
	s_xor_b64 s[24:25], s[22:23], -1
                                        ; implicit-def: $vgpr61
	s_and_saveexec_b64 s[26:27], s[24:25]
	s_xor_b64 s[24:25], exec, s[26:27]
	s_cbranch_execz .LBB98_124
; %bb.123:                              ;   in Loop: Header=BB98_2 Depth=1
	ds_read_u8 v61, v65 offset:1
.LBB98_124:                             ;   in Loop: Header=BB98_2 Depth=1
	s_or_saveexec_b64 s[24:25], s[24:25]
	v_mov_b32_e32 v62, v60
	s_xor_b64 exec, exec, s[24:25]
	s_cbranch_execz .LBB98_126
; %bb.125:                              ;   in Loop: Header=BB98_2 Depth=1
	ds_read_u8 v62, v63 offset:1
	s_waitcnt lgkmcnt(1)
	v_mov_b32_e32 v61, v59
.LBB98_126:                             ;   in Loop: Header=BB98_2 Depth=1
	s_or_b64 exec, exec, s[24:25]
	v_add_u32_e32 v66, 1, v65
	v_add_u32_e32 v64, 1, v63
	v_cndmask_b32_e64 v65, v66, v65, s[22:23]
	v_cndmask_b32_e64 v64, v63, v64, s[22:23]
	v_cmp_ge_i32_e64 s[26:27], v65, v26
	s_waitcnt lgkmcnt(0)
	v_cmp_lt_u16_sdwa s[42:43], v62, v61 src0_sel:BYTE_0 src1_sel:BYTE_0
	v_cmp_lt_i32_e64 s[24:25], v64, v27
	s_or_b64 s[26:27], s[26:27], s[42:43]
	s_and_b64 s[24:25], s[24:25], s[26:27]
	s_xor_b64 s[26:27], s[24:25], -1
                                        ; implicit-def: $vgpr63
	s_and_saveexec_b64 s[42:43], s[26:27]
	s_xor_b64 s[26:27], exec, s[42:43]
	s_cbranch_execz .LBB98_128
; %bb.127:                              ;   in Loop: Header=BB98_2 Depth=1
	ds_read_u8 v63, v65 offset:1
.LBB98_128:                             ;   in Loop: Header=BB98_2 Depth=1
	s_or_saveexec_b64 s[26:27], s[26:27]
	v_mov_b32_e32 v66, v62
	s_xor_b64 exec, exec, s[26:27]
	s_cbranch_execz .LBB98_130
; %bb.129:                              ;   in Loop: Header=BB98_2 Depth=1
	ds_read_u8 v66, v64 offset:1
	s_waitcnt lgkmcnt(1)
	v_mov_b32_e32 v63, v61
.LBB98_130:                             ;   in Loop: Header=BB98_2 Depth=1
	s_or_b64 exec, exec, s[26:27]
	v_cndmask_b32_e64 v61, v61, v62, s[24:25]
	v_add_u32_e32 v62, 1, v64
	v_add_u32_e32 v67, 1, v65
	v_cndmask_b32_e64 v62, v64, v62, s[24:25]
	v_cndmask_b32_e64 v64, v67, v65, s[24:25]
	;; [unrolled: 1-line block ×4, first 2 shown]
	v_cmp_ge_i32_e64 s[14:15], v64, v26
	s_waitcnt lgkmcnt(0)
	v_cmp_lt_u16_sdwa s[16:17], v66, v63 src0_sel:BYTE_0 src1_sel:BYTE_0
	v_cndmask_b32_e64 v55, v55, v56, s[18:19]
	v_cndmask_b32_e64 v49, v49, v50, s[12:13]
	v_cmp_lt_i32_e64 s[12:13], v62, v27
	s_or_b64 s[14:15], s[14:15], s[16:17]
	v_lshlrev_b16_e32 v50, 8, v51
	s_and_b64 s[12:13], s[12:13], s[14:15]
	v_or_b32_sdwa v49, v49, v50 dst_sel:DWORD dst_unused:UNUSED_PAD src0_sel:BYTE_0 src1_sel:DWORD
	v_lshlrev_b16_e32 v50, 8, v55
	v_cndmask_b32_e64 v59, v59, v60, s[22:23]
	v_cndmask_b32_e64 v52, v63, v66, s[12:13]
	v_or_b32_sdwa v50, v53, v50 dst_sel:WORD_1 dst_unused:UNUSED_PAD src0_sel:BYTE_0 src1_sel:DWORD
	v_cndmask_b32_e64 v57, v57, v58, s[20:21]
	v_or_b32_sdwa v50, v49, v50 dst_sel:DWORD dst_unused:UNUSED_PAD src0_sel:WORD_0 src1_sel:DWORD
	v_lshlrev_b16_e32 v49, 8, v59
	v_lshlrev_b16_e32 v51, 8, v52
	v_or_b32_sdwa v49, v57, v49 dst_sel:DWORD dst_unused:UNUSED_PAD src0_sel:BYTE_0 src1_sel:DWORD
	v_or_b32_sdwa v51, v61, v51 dst_sel:WORD_1 dst_unused:UNUSED_PAD src0_sel:BYTE_0 src1_sel:DWORD
	s_nop 0
	v_or_b32_sdwa v51, v49, v51 dst_sel:DWORD dst_unused:UNUSED_PAD src0_sel:WORD_0 src1_sel:DWORD
	v_mov_b32_e32 v49, v35
	s_barrier
	ds_write_b64 v2, v[50:51]
	s_waitcnt lgkmcnt(0)
	s_barrier
	s_and_saveexec_b64 s[14:15], s[6:7]
	s_cbranch_execz .LBB98_134
; %bb.131:                              ;   in Loop: Header=BB98_2 Depth=1
	s_mov_b64 s[16:17], 0
	v_mov_b32_e32 v49, v35
	v_mov_b32_e32 v50, v36
.LBB98_132:                             ;   Parent Loop BB98_2 Depth=1
                                        ; =>  This Inner Loop Header: Depth=2
	v_sub_u32_e32 v51, v50, v49
	v_lshrrev_b32_e32 v52, 31, v51
	v_add_u32_e32 v51, v51, v52
	v_ashrrev_i32_e32 v51, 1, v51
	v_add_u32_e32 v51, v51, v49
	v_not_b32_e32 v53, v51
	v_add_u32_e32 v52, v31, v51
	v_add3_u32 v53, v32, v53, v33
	ds_read_u8 v52, v52
	ds_read_u8 v53, v53
	v_add_u32_e32 v54, 1, v51
	s_waitcnt lgkmcnt(0)
	v_cmp_lt_u16_e64 s[12:13], v53, v52
	s_nop 1
	v_cndmask_b32_e64 v50, v50, v51, s[12:13]
	v_cndmask_b32_e64 v49, v54, v49, s[12:13]
	v_cmp_ge_i32_e64 s[12:13], v49, v50
	s_or_b64 s[16:17], s[12:13], s[16:17]
	s_andn2_b64 exec, exec, s[16:17]
	s_cbranch_execnz .LBB98_132
; %bb.133:                              ;   in Loop: Header=BB98_2 Depth=1
	s_or_b64 exec, exec, s[16:17]
.LBB98_134:                             ;   in Loop: Header=BB98_2 Depth=1
	s_or_b64 exec, exec, s[14:15]
	v_add_u32_e32 v53, v49, v31
	v_sub_u32_e32 v54, v37, v49
	ds_read_u8 v49, v53
	ds_read_u8 v50, v54
	v_cmp_le_i32_e64 s[14:15], v33, v53
	v_cmp_gt_i32_e64 s[12:13], v34, v54
                                        ; implicit-def: $vgpr51
                                        ; implicit-def: $vgpr52
	s_waitcnt lgkmcnt(0)
	v_cmp_lt_u16_sdwa s[16:17], v50, v49 src0_sel:BYTE_0 src1_sel:BYTE_0
	s_or_b64 s[14:15], s[14:15], s[16:17]
	s_and_b64 s[12:13], s[12:13], s[14:15]
	s_xor_b64 s[14:15], s[12:13], -1
	s_and_saveexec_b64 s[16:17], s[14:15]
	s_xor_b64 s[14:15], exec, s[16:17]
	s_cbranch_execz .LBB98_136
; %bb.135:                              ;   in Loop: Header=BB98_2 Depth=1
	ds_read_u8 v52, v53 offset:1
	v_mov_b32_e32 v51, v50
.LBB98_136:                             ;   in Loop: Header=BB98_2 Depth=1
	s_andn2_saveexec_b64 s[14:15], s[14:15]
	s_cbranch_execz .LBB98_138
; %bb.137:                              ;   in Loop: Header=BB98_2 Depth=1
	ds_read_u8 v51, v54 offset:1
	s_waitcnt lgkmcnt(1)
	v_mov_b32_e32 v52, v49
.LBB98_138:                             ;   in Loop: Header=BB98_2 Depth=1
	s_or_b64 exec, exec, s[14:15]
	v_add_u32_e32 v56, 1, v53
	v_add_u32_e32 v55, 1, v54
	v_cndmask_b32_e64 v56, v56, v53, s[12:13]
	v_cndmask_b32_e64 v55, v54, v55, s[12:13]
	v_cmp_ge_i32_e64 s[16:17], v56, v33
	s_waitcnt lgkmcnt(0)
	v_cmp_lt_u16_sdwa s[18:19], v51, v52 src0_sel:BYTE_0 src1_sel:BYTE_0
	v_cmp_lt_i32_e64 s[14:15], v55, v34
	s_or_b64 s[16:17], s[16:17], s[18:19]
	s_and_b64 s[14:15], s[14:15], s[16:17]
	s_xor_b64 s[16:17], s[14:15], -1
                                        ; implicit-def: $vgpr53
	s_and_saveexec_b64 s[18:19], s[16:17]
	s_xor_b64 s[16:17], exec, s[18:19]
	s_cbranch_execz .LBB98_140
; %bb.139:                              ;   in Loop: Header=BB98_2 Depth=1
	ds_read_u8 v53, v56 offset:1
.LBB98_140:                             ;   in Loop: Header=BB98_2 Depth=1
	s_or_saveexec_b64 s[16:17], s[16:17]
	v_mov_b32_e32 v54, v51
	s_xor_b64 exec, exec, s[16:17]
	s_cbranch_execz .LBB98_142
; %bb.141:                              ;   in Loop: Header=BB98_2 Depth=1
	ds_read_u8 v54, v55 offset:1
	s_waitcnt lgkmcnt(1)
	v_mov_b32_e32 v53, v52
.LBB98_142:                             ;   in Loop: Header=BB98_2 Depth=1
	s_or_b64 exec, exec, s[16:17]
	v_add_u32_e32 v58, 1, v56
	v_add_u32_e32 v57, 1, v55
	v_cndmask_b32_e64 v58, v58, v56, s[14:15]
	v_cndmask_b32_e64 v57, v55, v57, s[14:15]
	v_cmp_ge_i32_e64 s[18:19], v58, v33
	s_waitcnt lgkmcnt(0)
	v_cmp_lt_u16_sdwa s[20:21], v54, v53 src0_sel:BYTE_0 src1_sel:BYTE_0
	v_cmp_lt_i32_e64 s[16:17], v57, v34
	s_or_b64 s[18:19], s[18:19], s[20:21]
	s_and_b64 s[16:17], s[16:17], s[18:19]
	s_xor_b64 s[18:19], s[16:17], -1
                                        ; implicit-def: $vgpr55
	s_and_saveexec_b64 s[20:21], s[18:19]
	s_xor_b64 s[18:19], exec, s[20:21]
	s_cbranch_execz .LBB98_144
; %bb.143:                              ;   in Loop: Header=BB98_2 Depth=1
	ds_read_u8 v55, v58 offset:1
.LBB98_144:                             ;   in Loop: Header=BB98_2 Depth=1
	s_or_saveexec_b64 s[18:19], s[18:19]
	v_mov_b32_e32 v56, v54
	s_xor_b64 exec, exec, s[18:19]
	s_cbranch_execz .LBB98_146
; %bb.145:                              ;   in Loop: Header=BB98_2 Depth=1
	ds_read_u8 v56, v57 offset:1
	s_waitcnt lgkmcnt(1)
	v_mov_b32_e32 v55, v53
.LBB98_146:                             ;   in Loop: Header=BB98_2 Depth=1
	s_or_b64 exec, exec, s[18:19]
	v_add_u32_e32 v60, 1, v58
	v_add_u32_e32 v59, 1, v57
	v_cndmask_b32_e64 v60, v60, v58, s[16:17]
	v_cndmask_b32_e64 v59, v57, v59, s[16:17]
	v_cmp_ge_i32_e64 s[20:21], v60, v33
	s_waitcnt lgkmcnt(0)
	v_cmp_lt_u16_sdwa s[22:23], v56, v55 src0_sel:BYTE_0 src1_sel:BYTE_0
	v_cmp_lt_i32_e64 s[18:19], v59, v34
	s_or_b64 s[20:21], s[20:21], s[22:23]
	s_and_b64 s[18:19], s[18:19], s[20:21]
	s_xor_b64 s[20:21], s[18:19], -1
                                        ; implicit-def: $vgpr57
	s_and_saveexec_b64 s[22:23], s[20:21]
	s_xor_b64 s[20:21], exec, s[22:23]
	s_cbranch_execz .LBB98_148
; %bb.147:                              ;   in Loop: Header=BB98_2 Depth=1
	ds_read_u8 v57, v60 offset:1
.LBB98_148:                             ;   in Loop: Header=BB98_2 Depth=1
	s_or_saveexec_b64 s[20:21], s[20:21]
	v_mov_b32_e32 v58, v56
	s_xor_b64 exec, exec, s[20:21]
	s_cbranch_execz .LBB98_150
; %bb.149:                              ;   in Loop: Header=BB98_2 Depth=1
	ds_read_u8 v58, v59 offset:1
	s_waitcnt lgkmcnt(1)
	v_mov_b32_e32 v57, v55
.LBB98_150:                             ;   in Loop: Header=BB98_2 Depth=1
	s_or_b64 exec, exec, s[20:21]
	v_add_u32_e32 v62, 1, v60
	v_add_u32_e32 v61, 1, v59
	v_cndmask_b32_e64 v62, v62, v60, s[18:19]
	v_cndmask_b32_e64 v61, v59, v61, s[18:19]
	v_cmp_ge_i32_e64 s[22:23], v62, v33
	s_waitcnt lgkmcnt(0)
	v_cmp_lt_u16_sdwa s[24:25], v58, v57 src0_sel:BYTE_0 src1_sel:BYTE_0
	v_cmp_lt_i32_e64 s[20:21], v61, v34
	s_or_b64 s[22:23], s[22:23], s[24:25]
	s_and_b64 s[20:21], s[20:21], s[22:23]
	s_xor_b64 s[22:23], s[20:21], -1
                                        ; implicit-def: $vgpr59
	s_and_saveexec_b64 s[24:25], s[22:23]
	s_xor_b64 s[22:23], exec, s[24:25]
	s_cbranch_execz .LBB98_152
; %bb.151:                              ;   in Loop: Header=BB98_2 Depth=1
	ds_read_u8 v59, v62 offset:1
.LBB98_152:                             ;   in Loop: Header=BB98_2 Depth=1
	s_or_saveexec_b64 s[22:23], s[22:23]
	v_mov_b32_e32 v60, v58
	s_xor_b64 exec, exec, s[22:23]
	s_cbranch_execz .LBB98_154
; %bb.153:                              ;   in Loop: Header=BB98_2 Depth=1
	ds_read_u8 v60, v61 offset:1
	s_waitcnt lgkmcnt(1)
	v_mov_b32_e32 v59, v57
.LBB98_154:                             ;   in Loop: Header=BB98_2 Depth=1
	s_or_b64 exec, exec, s[22:23]
	v_add_u32_e32 v64, 1, v62
	v_add_u32_e32 v63, 1, v61
	v_cndmask_b32_e64 v65, v64, v62, s[20:21]
	v_cndmask_b32_e64 v63, v61, v63, s[20:21]
	v_cmp_ge_i32_e64 s[24:25], v65, v33
	s_waitcnt lgkmcnt(0)
	v_cmp_lt_u16_sdwa s[26:27], v60, v59 src0_sel:BYTE_0 src1_sel:BYTE_0
	v_cmp_lt_i32_e64 s[22:23], v63, v34
	s_or_b64 s[24:25], s[24:25], s[26:27]
	s_and_b64 s[22:23], s[22:23], s[24:25]
	s_xor_b64 s[24:25], s[22:23], -1
                                        ; implicit-def: $vgpr61
	s_and_saveexec_b64 s[26:27], s[24:25]
	s_xor_b64 s[24:25], exec, s[26:27]
	s_cbranch_execz .LBB98_156
; %bb.155:                              ;   in Loop: Header=BB98_2 Depth=1
	ds_read_u8 v61, v65 offset:1
.LBB98_156:                             ;   in Loop: Header=BB98_2 Depth=1
	s_or_saveexec_b64 s[24:25], s[24:25]
	v_mov_b32_e32 v62, v60
	s_xor_b64 exec, exec, s[24:25]
	s_cbranch_execz .LBB98_158
; %bb.157:                              ;   in Loop: Header=BB98_2 Depth=1
	ds_read_u8 v62, v63 offset:1
	s_waitcnt lgkmcnt(1)
	v_mov_b32_e32 v61, v59
.LBB98_158:                             ;   in Loop: Header=BB98_2 Depth=1
	s_or_b64 exec, exec, s[24:25]
	v_add_u32_e32 v66, 1, v65
	v_add_u32_e32 v64, 1, v63
	v_cndmask_b32_e64 v65, v66, v65, s[22:23]
	v_cndmask_b32_e64 v64, v63, v64, s[22:23]
	v_cmp_ge_i32_e64 s[26:27], v65, v33
	s_waitcnt lgkmcnt(0)
	v_cmp_lt_u16_sdwa s[42:43], v62, v61 src0_sel:BYTE_0 src1_sel:BYTE_0
	v_cmp_lt_i32_e64 s[24:25], v64, v34
	s_or_b64 s[26:27], s[26:27], s[42:43]
	s_and_b64 s[24:25], s[24:25], s[26:27]
	s_xor_b64 s[26:27], s[24:25], -1
                                        ; implicit-def: $vgpr63
	s_and_saveexec_b64 s[42:43], s[26:27]
	s_xor_b64 s[26:27], exec, s[42:43]
	s_cbranch_execz .LBB98_160
; %bb.159:                              ;   in Loop: Header=BB98_2 Depth=1
	ds_read_u8 v63, v65 offset:1
.LBB98_160:                             ;   in Loop: Header=BB98_2 Depth=1
	s_or_saveexec_b64 s[26:27], s[26:27]
	v_mov_b32_e32 v66, v62
	s_xor_b64 exec, exec, s[26:27]
	s_cbranch_execz .LBB98_162
; %bb.161:                              ;   in Loop: Header=BB98_2 Depth=1
	ds_read_u8 v66, v64 offset:1
	s_waitcnt lgkmcnt(1)
	v_mov_b32_e32 v63, v61
.LBB98_162:                             ;   in Loop: Header=BB98_2 Depth=1
	s_or_b64 exec, exec, s[26:27]
	v_cndmask_b32_e64 v61, v61, v62, s[24:25]
	v_add_u32_e32 v62, 1, v64
	v_add_u32_e32 v67, 1, v65
	v_cndmask_b32_e64 v62, v64, v62, s[24:25]
	v_cndmask_b32_e64 v64, v67, v65, s[24:25]
	;; [unrolled: 1-line block ×4, first 2 shown]
	v_cmp_ge_i32_e64 s[14:15], v64, v33
	s_waitcnt lgkmcnt(0)
	v_cmp_lt_u16_sdwa s[16:17], v66, v63 src0_sel:BYTE_0 src1_sel:BYTE_0
	v_cndmask_b32_e64 v55, v55, v56, s[18:19]
	v_cndmask_b32_e64 v49, v49, v50, s[12:13]
	v_cmp_lt_i32_e64 s[12:13], v62, v34
	s_or_b64 s[14:15], s[14:15], s[16:17]
	v_lshlrev_b16_e32 v50, 8, v51
	s_and_b64 s[12:13], s[12:13], s[14:15]
	v_or_b32_sdwa v49, v49, v50 dst_sel:DWORD dst_unused:UNUSED_PAD src0_sel:BYTE_0 src1_sel:DWORD
	v_lshlrev_b16_e32 v50, 8, v55
	v_cndmask_b32_e64 v59, v59, v60, s[22:23]
	v_cndmask_b32_e64 v52, v63, v66, s[12:13]
	v_or_b32_sdwa v50, v53, v50 dst_sel:WORD_1 dst_unused:UNUSED_PAD src0_sel:BYTE_0 src1_sel:DWORD
	v_cndmask_b32_e64 v57, v57, v58, s[20:21]
	v_or_b32_sdwa v50, v49, v50 dst_sel:DWORD dst_unused:UNUSED_PAD src0_sel:WORD_0 src1_sel:DWORD
	v_lshlrev_b16_e32 v49, 8, v59
	v_lshlrev_b16_e32 v51, 8, v52
	v_or_b32_sdwa v49, v57, v49 dst_sel:DWORD dst_unused:UNUSED_PAD src0_sel:BYTE_0 src1_sel:DWORD
	v_or_b32_sdwa v51, v61, v51 dst_sel:WORD_1 dst_unused:UNUSED_PAD src0_sel:BYTE_0 src1_sel:DWORD
	s_nop 0
	v_or_b32_sdwa v51, v49, v51 dst_sel:DWORD dst_unused:UNUSED_PAD src0_sel:WORD_0 src1_sel:DWORD
	v_mov_b32_e32 v49, v43
	s_barrier
	ds_write_b64 v2, v[50:51]
	s_waitcnt lgkmcnt(0)
	s_barrier
	s_and_saveexec_b64 s[14:15], s[8:9]
	s_cbranch_execz .LBB98_166
; %bb.163:                              ;   in Loop: Header=BB98_2 Depth=1
	s_mov_b64 s[16:17], 0
	v_mov_b32_e32 v49, v43
	v_mov_b32_e32 v50, v44
.LBB98_164:                             ;   Parent Loop BB98_2 Depth=1
                                        ; =>  This Inner Loop Header: Depth=2
	v_sub_u32_e32 v51, v50, v49
	v_lshrrev_b32_e32 v52, 31, v51
	v_add_u32_e32 v51, v51, v52
	v_ashrrev_i32_e32 v51, 1, v51
	v_add_u32_e32 v51, v51, v49
	v_not_b32_e32 v53, v51
	v_add_u32_e32 v52, v39, v51
	v_add3_u32 v53, v40, v53, v41
	ds_read_u8 v52, v52
	ds_read_u8 v53, v53
	v_add_u32_e32 v54, 1, v51
	s_waitcnt lgkmcnt(0)
	v_cmp_lt_u16_e64 s[12:13], v53, v52
	s_nop 1
	v_cndmask_b32_e64 v50, v50, v51, s[12:13]
	v_cndmask_b32_e64 v49, v54, v49, s[12:13]
	v_cmp_ge_i32_e64 s[12:13], v49, v50
	s_or_b64 s[16:17], s[12:13], s[16:17]
	s_andn2_b64 exec, exec, s[16:17]
	s_cbranch_execnz .LBB98_164
; %bb.165:                              ;   in Loop: Header=BB98_2 Depth=1
	s_or_b64 exec, exec, s[16:17]
.LBB98_166:                             ;   in Loop: Header=BB98_2 Depth=1
	s_or_b64 exec, exec, s[14:15]
	v_add_u32_e32 v53, v49, v39
	v_sub_u32_e32 v54, v45, v49
	ds_read_u8 v49, v53
	ds_read_u8 v50, v54
	v_cmp_le_i32_e64 s[14:15], v41, v53
	v_cmp_gt_i32_e64 s[12:13], v42, v54
                                        ; implicit-def: $vgpr51
                                        ; implicit-def: $vgpr52
	s_waitcnt lgkmcnt(0)
	v_cmp_lt_u16_sdwa s[16:17], v50, v49 src0_sel:BYTE_0 src1_sel:BYTE_0
	s_or_b64 s[14:15], s[14:15], s[16:17]
	s_and_b64 s[12:13], s[12:13], s[14:15]
	s_xor_b64 s[14:15], s[12:13], -1
	s_and_saveexec_b64 s[16:17], s[14:15]
	s_xor_b64 s[14:15], exec, s[16:17]
	s_cbranch_execz .LBB98_168
; %bb.167:                              ;   in Loop: Header=BB98_2 Depth=1
	ds_read_u8 v52, v53 offset:1
	v_mov_b32_e32 v51, v50
.LBB98_168:                             ;   in Loop: Header=BB98_2 Depth=1
	s_andn2_saveexec_b64 s[14:15], s[14:15]
	s_cbranch_execz .LBB98_170
; %bb.169:                              ;   in Loop: Header=BB98_2 Depth=1
	ds_read_u8 v51, v54 offset:1
	s_waitcnt lgkmcnt(1)
	v_mov_b32_e32 v52, v49
.LBB98_170:                             ;   in Loop: Header=BB98_2 Depth=1
	s_or_b64 exec, exec, s[14:15]
	v_add_u32_e32 v56, 1, v53
	v_add_u32_e32 v55, 1, v54
	v_cndmask_b32_e64 v56, v56, v53, s[12:13]
	v_cndmask_b32_e64 v55, v54, v55, s[12:13]
	v_cmp_ge_i32_e64 s[16:17], v56, v41
	s_waitcnt lgkmcnt(0)
	v_cmp_lt_u16_sdwa s[18:19], v51, v52 src0_sel:BYTE_0 src1_sel:BYTE_0
	v_cmp_lt_i32_e64 s[14:15], v55, v42
	s_or_b64 s[16:17], s[16:17], s[18:19]
	s_and_b64 s[14:15], s[14:15], s[16:17]
	s_xor_b64 s[16:17], s[14:15], -1
                                        ; implicit-def: $vgpr53
	s_and_saveexec_b64 s[18:19], s[16:17]
	s_xor_b64 s[16:17], exec, s[18:19]
	s_cbranch_execz .LBB98_172
; %bb.171:                              ;   in Loop: Header=BB98_2 Depth=1
	ds_read_u8 v53, v56 offset:1
.LBB98_172:                             ;   in Loop: Header=BB98_2 Depth=1
	s_or_saveexec_b64 s[16:17], s[16:17]
	v_mov_b32_e32 v54, v51
	s_xor_b64 exec, exec, s[16:17]
	s_cbranch_execz .LBB98_174
; %bb.173:                              ;   in Loop: Header=BB98_2 Depth=1
	ds_read_u8 v54, v55 offset:1
	s_waitcnt lgkmcnt(1)
	v_mov_b32_e32 v53, v52
.LBB98_174:                             ;   in Loop: Header=BB98_2 Depth=1
	s_or_b64 exec, exec, s[16:17]
	v_add_u32_e32 v58, 1, v56
	v_add_u32_e32 v57, 1, v55
	v_cndmask_b32_e64 v58, v58, v56, s[14:15]
	v_cndmask_b32_e64 v57, v55, v57, s[14:15]
	v_cmp_ge_i32_e64 s[18:19], v58, v41
	s_waitcnt lgkmcnt(0)
	v_cmp_lt_u16_sdwa s[20:21], v54, v53 src0_sel:BYTE_0 src1_sel:BYTE_0
	v_cmp_lt_i32_e64 s[16:17], v57, v42
	s_or_b64 s[18:19], s[18:19], s[20:21]
	s_and_b64 s[16:17], s[16:17], s[18:19]
	s_xor_b64 s[18:19], s[16:17], -1
                                        ; implicit-def: $vgpr55
	s_and_saveexec_b64 s[20:21], s[18:19]
	s_xor_b64 s[18:19], exec, s[20:21]
	s_cbranch_execz .LBB98_176
; %bb.175:                              ;   in Loop: Header=BB98_2 Depth=1
	ds_read_u8 v55, v58 offset:1
.LBB98_176:                             ;   in Loop: Header=BB98_2 Depth=1
	s_or_saveexec_b64 s[18:19], s[18:19]
	v_mov_b32_e32 v56, v54
	s_xor_b64 exec, exec, s[18:19]
	s_cbranch_execz .LBB98_178
; %bb.177:                              ;   in Loop: Header=BB98_2 Depth=1
	ds_read_u8 v56, v57 offset:1
	s_waitcnt lgkmcnt(1)
	v_mov_b32_e32 v55, v53
.LBB98_178:                             ;   in Loop: Header=BB98_2 Depth=1
	s_or_b64 exec, exec, s[18:19]
	v_add_u32_e32 v60, 1, v58
	v_add_u32_e32 v59, 1, v57
	v_cndmask_b32_e64 v60, v60, v58, s[16:17]
	v_cndmask_b32_e64 v59, v57, v59, s[16:17]
	v_cmp_ge_i32_e64 s[20:21], v60, v41
	s_waitcnt lgkmcnt(0)
	v_cmp_lt_u16_sdwa s[22:23], v56, v55 src0_sel:BYTE_0 src1_sel:BYTE_0
	v_cmp_lt_i32_e64 s[18:19], v59, v42
	s_or_b64 s[20:21], s[20:21], s[22:23]
	s_and_b64 s[18:19], s[18:19], s[20:21]
	s_xor_b64 s[20:21], s[18:19], -1
                                        ; implicit-def: $vgpr57
	s_and_saveexec_b64 s[22:23], s[20:21]
	s_xor_b64 s[20:21], exec, s[22:23]
	s_cbranch_execz .LBB98_180
; %bb.179:                              ;   in Loop: Header=BB98_2 Depth=1
	ds_read_u8 v57, v60 offset:1
.LBB98_180:                             ;   in Loop: Header=BB98_2 Depth=1
	s_or_saveexec_b64 s[20:21], s[20:21]
	v_mov_b32_e32 v58, v56
	s_xor_b64 exec, exec, s[20:21]
	s_cbranch_execz .LBB98_182
; %bb.181:                              ;   in Loop: Header=BB98_2 Depth=1
	ds_read_u8 v58, v59 offset:1
	s_waitcnt lgkmcnt(1)
	v_mov_b32_e32 v57, v55
.LBB98_182:                             ;   in Loop: Header=BB98_2 Depth=1
	s_or_b64 exec, exec, s[20:21]
	v_add_u32_e32 v62, 1, v60
	v_add_u32_e32 v61, 1, v59
	v_cndmask_b32_e64 v62, v62, v60, s[18:19]
	v_cndmask_b32_e64 v61, v59, v61, s[18:19]
	v_cmp_ge_i32_e64 s[22:23], v62, v41
	s_waitcnt lgkmcnt(0)
	v_cmp_lt_u16_sdwa s[24:25], v58, v57 src0_sel:BYTE_0 src1_sel:BYTE_0
	v_cmp_lt_i32_e64 s[20:21], v61, v42
	s_or_b64 s[22:23], s[22:23], s[24:25]
	s_and_b64 s[20:21], s[20:21], s[22:23]
	s_xor_b64 s[22:23], s[20:21], -1
                                        ; implicit-def: $vgpr59
	s_and_saveexec_b64 s[24:25], s[22:23]
	s_xor_b64 s[22:23], exec, s[24:25]
	s_cbranch_execz .LBB98_184
; %bb.183:                              ;   in Loop: Header=BB98_2 Depth=1
	ds_read_u8 v59, v62 offset:1
.LBB98_184:                             ;   in Loop: Header=BB98_2 Depth=1
	s_or_saveexec_b64 s[22:23], s[22:23]
	v_mov_b32_e32 v60, v58
	s_xor_b64 exec, exec, s[22:23]
	s_cbranch_execz .LBB98_186
; %bb.185:                              ;   in Loop: Header=BB98_2 Depth=1
	ds_read_u8 v60, v61 offset:1
	s_waitcnt lgkmcnt(1)
	v_mov_b32_e32 v59, v57
.LBB98_186:                             ;   in Loop: Header=BB98_2 Depth=1
	s_or_b64 exec, exec, s[22:23]
	v_add_u32_e32 v64, 1, v62
	v_add_u32_e32 v63, 1, v61
	v_cndmask_b32_e64 v65, v64, v62, s[20:21]
	v_cndmask_b32_e64 v63, v61, v63, s[20:21]
	v_cmp_ge_i32_e64 s[24:25], v65, v41
	s_waitcnt lgkmcnt(0)
	v_cmp_lt_u16_sdwa s[26:27], v60, v59 src0_sel:BYTE_0 src1_sel:BYTE_0
	v_cmp_lt_i32_e64 s[22:23], v63, v42
	s_or_b64 s[24:25], s[24:25], s[26:27]
	s_and_b64 s[22:23], s[22:23], s[24:25]
	s_xor_b64 s[24:25], s[22:23], -1
                                        ; implicit-def: $vgpr61
	s_and_saveexec_b64 s[26:27], s[24:25]
	s_xor_b64 s[24:25], exec, s[26:27]
	s_cbranch_execz .LBB98_188
; %bb.187:                              ;   in Loop: Header=BB98_2 Depth=1
	ds_read_u8 v61, v65 offset:1
.LBB98_188:                             ;   in Loop: Header=BB98_2 Depth=1
	s_or_saveexec_b64 s[24:25], s[24:25]
	v_mov_b32_e32 v62, v60
	s_xor_b64 exec, exec, s[24:25]
	s_cbranch_execz .LBB98_190
; %bb.189:                              ;   in Loop: Header=BB98_2 Depth=1
	ds_read_u8 v62, v63 offset:1
	s_waitcnt lgkmcnt(1)
	v_mov_b32_e32 v61, v59
.LBB98_190:                             ;   in Loop: Header=BB98_2 Depth=1
	s_or_b64 exec, exec, s[24:25]
	v_add_u32_e32 v66, 1, v65
	v_add_u32_e32 v64, 1, v63
	v_cndmask_b32_e64 v65, v66, v65, s[22:23]
	v_cndmask_b32_e64 v64, v63, v64, s[22:23]
	v_cmp_ge_i32_e64 s[26:27], v65, v41
	s_waitcnt lgkmcnt(0)
	v_cmp_lt_u16_sdwa s[42:43], v62, v61 src0_sel:BYTE_0 src1_sel:BYTE_0
	v_cmp_lt_i32_e64 s[24:25], v64, v42
	s_or_b64 s[26:27], s[26:27], s[42:43]
	s_and_b64 s[24:25], s[24:25], s[26:27]
	s_xor_b64 s[26:27], s[24:25], -1
                                        ; implicit-def: $vgpr63
	s_and_saveexec_b64 s[42:43], s[26:27]
	s_xor_b64 s[26:27], exec, s[42:43]
	s_cbranch_execz .LBB98_192
; %bb.191:                              ;   in Loop: Header=BB98_2 Depth=1
	ds_read_u8 v63, v65 offset:1
.LBB98_192:                             ;   in Loop: Header=BB98_2 Depth=1
	s_or_saveexec_b64 s[26:27], s[26:27]
	v_mov_b32_e32 v66, v62
	s_xor_b64 exec, exec, s[26:27]
	s_cbranch_execz .LBB98_194
; %bb.193:                              ;   in Loop: Header=BB98_2 Depth=1
	ds_read_u8 v66, v64 offset:1
	s_waitcnt lgkmcnt(1)
	v_mov_b32_e32 v63, v61
.LBB98_194:                             ;   in Loop: Header=BB98_2 Depth=1
	s_or_b64 exec, exec, s[26:27]
	v_cndmask_b32_e64 v61, v61, v62, s[24:25]
	v_add_u32_e32 v62, 1, v64
	v_add_u32_e32 v67, 1, v65
	v_cndmask_b32_e64 v62, v64, v62, s[24:25]
	v_cndmask_b32_e64 v64, v67, v65, s[24:25]
	;; [unrolled: 1-line block ×4, first 2 shown]
	v_cmp_ge_i32_e64 s[14:15], v64, v41
	s_waitcnt lgkmcnt(0)
	v_cmp_lt_u16_sdwa s[16:17], v66, v63 src0_sel:BYTE_0 src1_sel:BYTE_0
	v_cndmask_b32_e64 v55, v55, v56, s[18:19]
	v_cndmask_b32_e64 v49, v49, v50, s[12:13]
	v_cmp_lt_i32_e64 s[12:13], v62, v42
	s_or_b64 s[14:15], s[14:15], s[16:17]
	v_lshlrev_b16_e32 v50, 8, v51
	s_and_b64 s[12:13], s[12:13], s[14:15]
	v_or_b32_sdwa v49, v49, v50 dst_sel:DWORD dst_unused:UNUSED_PAD src0_sel:BYTE_0 src1_sel:DWORD
	v_lshlrev_b16_e32 v50, 8, v55
	v_cndmask_b32_e64 v59, v59, v60, s[22:23]
	v_cndmask_b32_e64 v52, v63, v66, s[12:13]
	v_or_b32_sdwa v50, v53, v50 dst_sel:WORD_1 dst_unused:UNUSED_PAD src0_sel:BYTE_0 src1_sel:DWORD
	v_cndmask_b32_e64 v57, v57, v58, s[20:21]
	v_or_b32_sdwa v50, v49, v50 dst_sel:DWORD dst_unused:UNUSED_PAD src0_sel:WORD_0 src1_sel:DWORD
	v_lshlrev_b16_e32 v49, 8, v59
	v_lshlrev_b16_e32 v51, 8, v52
	v_or_b32_sdwa v49, v57, v49 dst_sel:DWORD dst_unused:UNUSED_PAD src0_sel:BYTE_0 src1_sel:DWORD
	v_or_b32_sdwa v51, v61, v51 dst_sel:WORD_1 dst_unused:UNUSED_PAD src0_sel:BYTE_0 src1_sel:DWORD
	v_mov_b32_e32 v53, v46
	v_or_b32_sdwa v51, v49, v51 dst_sel:DWORD dst_unused:UNUSED_PAD src0_sel:WORD_0 src1_sel:DWORD
	s_barrier
	ds_write_b64 v2, v[50:51]
	s_waitcnt lgkmcnt(0)
	s_barrier
	s_and_saveexec_b64 s[14:15], s[10:11]
	s_cbranch_execz .LBB98_198
; %bb.195:                              ;   in Loop: Header=BB98_2 Depth=1
	s_mov_b64 s[16:17], 0
	v_mov_b32_e32 v53, v46
	v_mov_b32_e32 v49, v47
.LBB98_196:                             ;   Parent Loop BB98_2 Depth=1
                                        ; =>  This Inner Loop Header: Depth=2
	v_sub_u32_e32 v50, v49, v53
	v_lshrrev_b32_e32 v51, 31, v50
	v_add_u32_e32 v50, v50, v51
	v_ashrrev_i32_e32 v50, 1, v50
	v_add_u32_e32 v50, v50, v53
	v_not_b32_e32 v51, v50
	v_add3_u32 v51, v2, v51, v38
	ds_read_u8 v52, v50
	ds_read_u8 v51, v51
	v_add_u32_e32 v54, 1, v50
	s_waitcnt lgkmcnt(0)
	v_cmp_lt_u16_e64 s[12:13], v51, v52
	s_nop 1
	v_cndmask_b32_e64 v49, v49, v50, s[12:13]
	v_cndmask_b32_e64 v53, v54, v53, s[12:13]
	v_cmp_ge_i32_e64 s[12:13], v53, v49
	s_or_b64 s[16:17], s[12:13], s[16:17]
	s_andn2_b64 exec, exec, s[16:17]
	s_cbranch_execnz .LBB98_196
; %bb.197:                              ;   in Loop: Header=BB98_2 Depth=1
	s_or_b64 exec, exec, s[16:17]
.LBB98_198:                             ;   in Loop: Header=BB98_2 Depth=1
	s_or_b64 exec, exec, s[14:15]
	v_sub_u32_e32 v54, v48, v53
	ds_read_u8 v49, v53
	ds_read_u8 v50, v54
	v_cmp_le_i32_e64 s[14:15], v38, v53
	v_cmp_gt_i32_e64 s[12:13], s40, v54
                                        ; implicit-def: $vgpr51
                                        ; implicit-def: $vgpr52
	s_waitcnt lgkmcnt(0)
	v_cmp_lt_u16_sdwa s[16:17], v50, v49 src0_sel:BYTE_0 src1_sel:BYTE_0
	s_or_b64 s[14:15], s[14:15], s[16:17]
	s_and_b64 s[12:13], s[12:13], s[14:15]
	s_xor_b64 s[14:15], s[12:13], -1
	s_and_saveexec_b64 s[16:17], s[14:15]
	s_xor_b64 s[14:15], exec, s[16:17]
	s_cbranch_execz .LBB98_200
; %bb.199:                              ;   in Loop: Header=BB98_2 Depth=1
	ds_read_u8 v52, v53 offset:1
	v_mov_b32_e32 v51, v50
.LBB98_200:                             ;   in Loop: Header=BB98_2 Depth=1
	s_andn2_saveexec_b64 s[14:15], s[14:15]
	s_cbranch_execz .LBB98_202
; %bb.201:                              ;   in Loop: Header=BB98_2 Depth=1
	ds_read_u8 v51, v54 offset:1
	s_waitcnt lgkmcnt(1)
	v_mov_b32_e32 v52, v49
.LBB98_202:                             ;   in Loop: Header=BB98_2 Depth=1
	s_or_b64 exec, exec, s[14:15]
	v_add_u32_e32 v56, 1, v53
	v_add_u32_e32 v55, 1, v54
	v_cndmask_b32_e64 v56, v56, v53, s[12:13]
	v_cndmask_b32_e64 v55, v54, v55, s[12:13]
	v_cmp_ge_i32_e64 s[16:17], v56, v38
	s_waitcnt lgkmcnt(0)
	v_cmp_lt_u16_sdwa s[18:19], v51, v52 src0_sel:BYTE_0 src1_sel:BYTE_0
	v_cmp_gt_i32_e64 s[14:15], s40, v55
	s_or_b64 s[16:17], s[16:17], s[18:19]
	s_and_b64 s[14:15], s[14:15], s[16:17]
	s_xor_b64 s[16:17], s[14:15], -1
                                        ; implicit-def: $vgpr53
	s_and_saveexec_b64 s[18:19], s[16:17]
	s_xor_b64 s[16:17], exec, s[18:19]
	s_cbranch_execz .LBB98_204
; %bb.203:                              ;   in Loop: Header=BB98_2 Depth=1
	ds_read_u8 v53, v56 offset:1
.LBB98_204:                             ;   in Loop: Header=BB98_2 Depth=1
	s_or_saveexec_b64 s[16:17], s[16:17]
	v_mov_b32_e32 v54, v51
	s_xor_b64 exec, exec, s[16:17]
	s_cbranch_execz .LBB98_206
; %bb.205:                              ;   in Loop: Header=BB98_2 Depth=1
	ds_read_u8 v54, v55 offset:1
	s_waitcnt lgkmcnt(1)
	v_mov_b32_e32 v53, v52
.LBB98_206:                             ;   in Loop: Header=BB98_2 Depth=1
	s_or_b64 exec, exec, s[16:17]
	v_add_u32_e32 v58, 1, v56
	v_add_u32_e32 v57, 1, v55
	v_cndmask_b32_e64 v58, v58, v56, s[14:15]
	v_cndmask_b32_e64 v57, v55, v57, s[14:15]
	v_cmp_ge_i32_e64 s[18:19], v58, v38
	s_waitcnt lgkmcnt(0)
	v_cmp_lt_u16_sdwa s[20:21], v54, v53 src0_sel:BYTE_0 src1_sel:BYTE_0
	v_cmp_gt_i32_e64 s[16:17], s40, v57
	s_or_b64 s[18:19], s[18:19], s[20:21]
	s_and_b64 s[16:17], s[16:17], s[18:19]
	s_xor_b64 s[18:19], s[16:17], -1
                                        ; implicit-def: $vgpr55
	s_and_saveexec_b64 s[20:21], s[18:19]
	s_xor_b64 s[18:19], exec, s[20:21]
	s_cbranch_execz .LBB98_208
; %bb.207:                              ;   in Loop: Header=BB98_2 Depth=1
	ds_read_u8 v55, v58 offset:1
.LBB98_208:                             ;   in Loop: Header=BB98_2 Depth=1
	s_or_saveexec_b64 s[18:19], s[18:19]
	v_mov_b32_e32 v56, v54
	s_xor_b64 exec, exec, s[18:19]
	s_cbranch_execz .LBB98_210
; %bb.209:                              ;   in Loop: Header=BB98_2 Depth=1
	ds_read_u8 v56, v57 offset:1
	s_waitcnt lgkmcnt(1)
	v_mov_b32_e32 v55, v53
.LBB98_210:                             ;   in Loop: Header=BB98_2 Depth=1
	s_or_b64 exec, exec, s[18:19]
	v_add_u32_e32 v60, 1, v58
	v_add_u32_e32 v59, 1, v57
	v_cndmask_b32_e64 v60, v60, v58, s[16:17]
	v_cndmask_b32_e64 v59, v57, v59, s[16:17]
	v_cmp_ge_i32_e64 s[20:21], v60, v38
	s_waitcnt lgkmcnt(0)
	v_cmp_lt_u16_sdwa s[22:23], v56, v55 src0_sel:BYTE_0 src1_sel:BYTE_0
	v_cmp_gt_i32_e64 s[18:19], s40, v59
	s_or_b64 s[20:21], s[20:21], s[22:23]
	s_and_b64 s[18:19], s[18:19], s[20:21]
	s_xor_b64 s[20:21], s[18:19], -1
                                        ; implicit-def: $vgpr57
	s_and_saveexec_b64 s[22:23], s[20:21]
	s_xor_b64 s[20:21], exec, s[22:23]
	s_cbranch_execz .LBB98_212
; %bb.211:                              ;   in Loop: Header=BB98_2 Depth=1
	ds_read_u8 v57, v60 offset:1
.LBB98_212:                             ;   in Loop: Header=BB98_2 Depth=1
	s_or_saveexec_b64 s[20:21], s[20:21]
	v_mov_b32_e32 v58, v56
	s_xor_b64 exec, exec, s[20:21]
	s_cbranch_execz .LBB98_214
; %bb.213:                              ;   in Loop: Header=BB98_2 Depth=1
	ds_read_u8 v58, v59 offset:1
	s_waitcnt lgkmcnt(1)
	v_mov_b32_e32 v57, v55
.LBB98_214:                             ;   in Loop: Header=BB98_2 Depth=1
	s_or_b64 exec, exec, s[20:21]
	v_add_u32_e32 v62, 1, v60
	v_add_u32_e32 v61, 1, v59
	v_cndmask_b32_e64 v62, v62, v60, s[18:19]
	v_cndmask_b32_e64 v61, v59, v61, s[18:19]
	v_cmp_ge_i32_e64 s[22:23], v62, v38
	s_waitcnt lgkmcnt(0)
	v_cmp_lt_u16_sdwa s[24:25], v58, v57 src0_sel:BYTE_0 src1_sel:BYTE_0
	v_cmp_gt_i32_e64 s[20:21], s40, v61
	s_or_b64 s[22:23], s[22:23], s[24:25]
	s_and_b64 s[20:21], s[20:21], s[22:23]
	s_xor_b64 s[22:23], s[20:21], -1
                                        ; implicit-def: $vgpr59
	s_and_saveexec_b64 s[24:25], s[22:23]
	s_xor_b64 s[22:23], exec, s[24:25]
	s_cbranch_execz .LBB98_216
; %bb.215:                              ;   in Loop: Header=BB98_2 Depth=1
	ds_read_u8 v59, v62 offset:1
.LBB98_216:                             ;   in Loop: Header=BB98_2 Depth=1
	s_or_saveexec_b64 s[22:23], s[22:23]
	v_mov_b32_e32 v60, v58
	s_xor_b64 exec, exec, s[22:23]
	s_cbranch_execz .LBB98_218
; %bb.217:                              ;   in Loop: Header=BB98_2 Depth=1
	ds_read_u8 v60, v61 offset:1
	s_waitcnt lgkmcnt(1)
	v_mov_b32_e32 v59, v57
.LBB98_218:                             ;   in Loop: Header=BB98_2 Depth=1
	s_or_b64 exec, exec, s[22:23]
	v_add_u32_e32 v64, 1, v62
	v_add_u32_e32 v63, 1, v61
	v_cndmask_b32_e64 v64, v64, v62, s[20:21]
	v_cndmask_b32_e64 v63, v61, v63, s[20:21]
	v_cmp_ge_i32_e64 s[24:25], v64, v38
	s_waitcnt lgkmcnt(0)
	v_cmp_lt_u16_sdwa s[26:27], v60, v59 src0_sel:BYTE_0 src1_sel:BYTE_0
	v_cmp_gt_i32_e64 s[22:23], s40, v63
	s_or_b64 s[24:25], s[24:25], s[26:27]
	s_and_b64 s[22:23], s[22:23], s[24:25]
	s_xor_b64 s[24:25], s[22:23], -1
                                        ; implicit-def: $vgpr61
	s_and_saveexec_b64 s[26:27], s[24:25]
	s_xor_b64 s[24:25], exec, s[26:27]
	s_cbranch_execz .LBB98_220
; %bb.219:                              ;   in Loop: Header=BB98_2 Depth=1
	ds_read_u8 v61, v64 offset:1
.LBB98_220:                             ;   in Loop: Header=BB98_2 Depth=1
	s_or_saveexec_b64 s[24:25], s[24:25]
	v_mov_b32_e32 v62, v60
	s_xor_b64 exec, exec, s[24:25]
	s_cbranch_execz .LBB98_222
; %bb.221:                              ;   in Loop: Header=BB98_2 Depth=1
	ds_read_u8 v62, v63 offset:1
	s_waitcnt lgkmcnt(1)
	v_mov_b32_e32 v61, v59
.LBB98_222:                             ;   in Loop: Header=BB98_2 Depth=1
	s_or_b64 exec, exec, s[24:25]
	v_add_u32_e32 v66, 1, v64
	v_add_u32_e32 v65, 1, v63
	v_cndmask_b32_e64 v66, v66, v64, s[22:23]
	v_cndmask_b32_e64 v63, v63, v65, s[22:23]
	v_cmp_ge_i32_e64 s[26:27], v66, v38
	s_waitcnt lgkmcnt(0)
	v_cmp_lt_u16_sdwa s[42:43], v62, v61 src0_sel:BYTE_0 src1_sel:BYTE_0
	v_cmp_gt_i32_e64 s[24:25], s40, v63
	s_or_b64 s[26:27], s[26:27], s[42:43]
	s_and_b64 s[24:25], s[24:25], s[26:27]
	s_xor_b64 s[26:27], s[24:25], -1
                                        ; implicit-def: $vgpr64
                                        ; implicit-def: $vgpr65
	s_and_saveexec_b64 s[42:43], s[26:27]
	s_xor_b64 s[26:27], exec, s[42:43]
	s_cbranch_execz .LBB98_224
; %bb.223:                              ;   in Loop: Header=BB98_2 Depth=1
	ds_read_u8 v64, v66 offset:1
	v_add_u32_e32 v65, 1, v66
                                        ; implicit-def: $vgpr66
.LBB98_224:                             ;   in Loop: Header=BB98_2 Depth=1
	s_or_saveexec_b64 s[26:27], s[26:27]
	v_mov_b32_e32 v67, v62
	s_xor_b64 exec, exec, s[26:27]
	s_cbranch_execz .LBB98_1
; %bb.225:                              ;   in Loop: Header=BB98_2 Depth=1
	ds_read_u8 v67, v63 offset:1
	v_add_u32_e32 v63, 1, v63
	v_mov_b32_e32 v65, v66
	s_waitcnt lgkmcnt(1)
	v_mov_b32_e32 v64, v61
	s_branch .LBB98_1
.LBB98_226:
	s_add_u32 s0, s30, s33
	s_addc_u32 s1, s31, 0
	v_lshl_add_u64 v[0:1], s[0:1], 0, v[0:1]
	global_store_byte v[0:1], v66, off
	global_store_byte v[0:1], v51, off offset:128
	global_store_byte v[0:1], v52, off offset:256
	;; [unrolled: 1-line block ×7, first 2 shown]
	s_endpgm
	.section	.rodata,"a",@progbits
	.p2align	6, 0x0
	.amdhsa_kernel _Z16sort_keys_kernelIhLj128ELj8EN10test_utils4lessELj10EEvPKT_PS2_T2_
		.amdhsa_group_segment_fixed_size 1025
		.amdhsa_private_segment_fixed_size 0
		.amdhsa_kernarg_size 20
		.amdhsa_user_sgpr_count 2
		.amdhsa_user_sgpr_dispatch_ptr 0
		.amdhsa_user_sgpr_queue_ptr 0
		.amdhsa_user_sgpr_kernarg_segment_ptr 1
		.amdhsa_user_sgpr_dispatch_id 0
		.amdhsa_user_sgpr_kernarg_preload_length 0
		.amdhsa_user_sgpr_kernarg_preload_offset 0
		.amdhsa_user_sgpr_private_segment_size 0
		.amdhsa_uses_dynamic_stack 0
		.amdhsa_enable_private_segment 0
		.amdhsa_system_sgpr_workgroup_id_x 1
		.amdhsa_system_sgpr_workgroup_id_y 0
		.amdhsa_system_sgpr_workgroup_id_z 0
		.amdhsa_system_sgpr_workgroup_info 0
		.amdhsa_system_vgpr_workitem_id 0
		.amdhsa_next_free_vgpr 68
		.amdhsa_next_free_sgpr 44
		.amdhsa_accum_offset 68
		.amdhsa_reserve_vcc 1
		.amdhsa_float_round_mode_32 0
		.amdhsa_float_round_mode_16_64 0
		.amdhsa_float_denorm_mode_32 3
		.amdhsa_float_denorm_mode_16_64 3
		.amdhsa_dx10_clamp 1
		.amdhsa_ieee_mode 1
		.amdhsa_fp16_overflow 0
		.amdhsa_tg_split 0
		.amdhsa_exception_fp_ieee_invalid_op 0
		.amdhsa_exception_fp_denorm_src 0
		.amdhsa_exception_fp_ieee_div_zero 0
		.amdhsa_exception_fp_ieee_overflow 0
		.amdhsa_exception_fp_ieee_underflow 0
		.amdhsa_exception_fp_ieee_inexact 0
		.amdhsa_exception_int_div_zero 0
	.end_amdhsa_kernel
	.section	.text._Z16sort_keys_kernelIhLj128ELj8EN10test_utils4lessELj10EEvPKT_PS2_T2_,"axG",@progbits,_Z16sort_keys_kernelIhLj128ELj8EN10test_utils4lessELj10EEvPKT_PS2_T2_,comdat
.Lfunc_end98:
	.size	_Z16sort_keys_kernelIhLj128ELj8EN10test_utils4lessELj10EEvPKT_PS2_T2_, .Lfunc_end98-_Z16sort_keys_kernelIhLj128ELj8EN10test_utils4lessELj10EEvPKT_PS2_T2_
                                        ; -- End function
	.section	.AMDGPU.csdata,"",@progbits
; Kernel info:
; codeLenInByte = 10648
; NumSgprs: 50
; NumVgprs: 68
; NumAgprs: 0
; TotalNumVgprs: 68
; ScratchSize: 0
; MemoryBound: 0
; FloatMode: 240
; IeeeMode: 1
; LDSByteSize: 1025 bytes/workgroup (compile time only)
; SGPRBlocks: 6
; VGPRBlocks: 8
; NumSGPRsForWavesPerEU: 50
; NumVGPRsForWavesPerEU: 68
; AccumOffset: 68
; Occupancy: 7
; WaveLimiterHint : 1
; COMPUTE_PGM_RSRC2:SCRATCH_EN: 0
; COMPUTE_PGM_RSRC2:USER_SGPR: 2
; COMPUTE_PGM_RSRC2:TRAP_HANDLER: 0
; COMPUTE_PGM_RSRC2:TGID_X_EN: 1
; COMPUTE_PGM_RSRC2:TGID_Y_EN: 0
; COMPUTE_PGM_RSRC2:TGID_Z_EN: 0
; COMPUTE_PGM_RSRC2:TIDIG_COMP_CNT: 0
; COMPUTE_PGM_RSRC3_GFX90A:ACCUM_OFFSET: 16
; COMPUTE_PGM_RSRC3_GFX90A:TG_SPLIT: 0
	.section	.text._Z17sort_pairs_kernelIhLj128ELj8EN10test_utils4lessELj10EEvPKT_PS2_T2_,"axG",@progbits,_Z17sort_pairs_kernelIhLj128ELj8EN10test_utils4lessELj10EEvPKT_PS2_T2_,comdat
	.protected	_Z17sort_pairs_kernelIhLj128ELj8EN10test_utils4lessELj10EEvPKT_PS2_T2_ ; -- Begin function _Z17sort_pairs_kernelIhLj128ELj8EN10test_utils4lessELj10EEvPKT_PS2_T2_
	.globl	_Z17sort_pairs_kernelIhLj128ELj8EN10test_utils4lessELj10EEvPKT_PS2_T2_
	.p2align	8
	.type	_Z17sort_pairs_kernelIhLj128ELj8EN10test_utils4lessELj10EEvPKT_PS2_T2_,@function
_Z17sort_pairs_kernelIhLj128ELj8EN10test_utils4lessELj10EEvPKT_PS2_T2_: ; @_Z17sort_pairs_kernelIhLj128ELj8EN10test_utils4lessELj10EEvPKT_PS2_T2_
; %bb.0:
	s_load_dwordx4 s[4:7], s[0:1], 0x0
	s_lshl_b32 s33, s2, 10
                                        ; implicit-def: $vgpr89 : SGPR spill to VGPR lane
	v_lshlrev_b32_e32 v3, 3, v0
	v_and_b32_e32 v4, 0x3f0, v3
	v_and_b32_e32 v6, 0x3e0, v3
	s_waitcnt lgkmcnt(0)
	s_add_u32 s0, s4, s33
	s_mov_b64 s[2:3], s[6:7]
	v_writelane_b32 v89, s0, 0
	v_or_b32_e32 v16, 8, v4
	v_add_u32_e32 v17, 16, v4
	v_writelane_b32 v89, s1, 1
	v_writelane_b32 v89, s2, 2
	v_writelane_b32 v89, s3, 3
	s_addc_u32 s1, s5, 0
	global_load_ubyte v48, v0, s[0:1]
	global_load_ubyte v49, v0, s[0:1] offset:256
	global_load_ubyte v50, v0, s[0:1] offset:512
	;; [unrolled: 1-line block ×7, first 2 shown]
	v_and_b32_e32 v5, 8, v3
	v_and_b32_e32 v8, 0x3c0, v3
	v_or_b32_e32 v18, 16, v6
	v_add_u32_e32 v19, 32, v6
	v_sub_u32_e32 v38, v17, v16
	v_and_b32_e32 v7, 24, v3
	v_and_b32_e32 v10, 0x380, v3
	v_or_b32_e32 v20, 32, v8
	v_add_u32_e32 v21, 64, v8
	v_sub_u32_e32 v39, v19, v18
	v_sub_u32_e32 v43, v5, v38
	v_cmp_ge_i32_e32 vcc, v5, v38
	v_and_b32_e32 v9, 56, v3
	v_and_b32_e32 v12, 0x300, v3
	v_or_b32_e32 v22, 64, v10
	v_add_u32_e32 v23, 0x80, v10
	v_sub_u32_e32 v40, v21, v20
	v_sub_u32_e32 v45, v7, v39
	v_cndmask_b32_e32 v38, 0, v43, vcc
	v_cmp_ge_i32_e32 vcc, v7, v39
	v_and_b32_e32 v11, 0x78, v3
	v_or_b32_e32 v24, 0x80, v12
	v_add_u32_e32 v25, 0x100, v12
	v_sub_u32_e32 v41, v23, v22
	v_sub_u32_e32 v46, v9, v40
	v_cndmask_b32_e32 v39, 0, v45, vcc
	v_cmp_ge_i32_e32 vcc, v9, v40
	v_and_b32_e32 v13, 0xf8, v3
	v_sub_u32_e32 v42, v25, v24
	v_sub_u32_e32 v47, v11, v41
	v_cndmask_b32_e32 v40, 0, v46, vcc
	v_cmp_ge_i32_e32 vcc, v11, v41
	v_sub_u32_e32 v56, v13, v42
	v_and_b32_e32 v14, 0x200, v3
	v_cndmask_b32_e32 v41, 0, v47, vcc
	v_cmp_ge_i32_e32 vcc, v13, v42
	s_movk_i32 s12, 0x100
	v_or_b32_e32 v26, 0x100, v14
	v_cndmask_b32_e32 v42, 0, v56, vcc
	v_add_u32_e32 v27, 0x200, v14
	v_and_b32_e32 v15, 0x1f8, v3
	v_sub_u32_e32 v43, v27, v26
	v_mov_b32_e32 v2, 0x200
	v_sub_u32_e32 v33, v16, v4
	v_sub_u32_e32 v34, v18, v6
	;; [unrolled: 1-line block ×7, first 2 shown]
	v_cmp_ge_i32_e64 s[8:9], v15, v43
	v_min_i32_e32 v33, v5, v33
	v_min_i32_e32 v34, v7, v34
	;; [unrolled: 1-line block ×5, first 2 shown]
	v_cndmask_b32_e64 v43, 0, v45, s[8:9]
	v_min_i32_e32 v44, v15, v44
	v_sub_u32_e64 v46, v3, v2 clamp
	v_min_i32_e32 v47, 0x200, v3
	s_mov_b32 s88, 0
	v_mov_b32_e32 v1, 0
	v_add_u32_e32 v28, v16, v5
	v_add_u32_e32 v29, v18, v7
	;; [unrolled: 1-line block ×5, first 2 shown]
	v_cmp_lt_i32_e32 vcc, v38, v33
	v_cmp_lt_i32_e64 s[0:1], v39, v34
	v_cmp_lt_i32_e64 s[2:3], v40, v35
	;; [unrolled: 1-line block ×5, first 2 shown]
	v_add_u32_e32 v45, v26, v15
	v_cmp_lt_i32_e64 s[10:11], v46, v47
	s_waitcnt vmcnt(7)
	v_add_u16_e32 v56, 1, v48
	s_waitcnt vmcnt(6)
	v_add_u16_e32 v57, 1, v49
	s_waitcnt vmcnt(2)
	v_lshlrev_b16_e32 v54, 8, v54
	s_waitcnt vmcnt(1)
	v_lshlrev_b16_e32 v60, 8, v51
	;; [unrolled: 2-line block ×3, first 2 shown]
	v_or_b32_e32 v48, v48, v55
	v_or_b32_sdwa v49, v49, v60 dst_sel:WORD_1 dst_unused:UNUSED_PAD src0_sel:DWORD src1_sel:DWORD
	v_add_u16_e32 v58, 1, v50
	v_or_b32_sdwa v51, v48, v49 dst_sel:DWORD dst_unused:UNUSED_PAD src0_sel:WORD_0 src1_sel:DWORD
	v_or_b32_e32 v49, v50, v54
	v_lshlrev_b16_e32 v50, 8, v53
	v_add_u16_e32 v59, 1, v52
	v_or_b32_sdwa v52, v52, v50 dst_sel:WORD_1 dst_unused:UNUSED_PAD src0_sel:DWORD src1_sel:DWORD
	v_or_b32_sdwa v53, v60, v57 dst_sel:DWORD dst_unused:UNUSED_PAD src0_sel:DWORD src1_sel:BYTE_0
	v_or_b32_sdwa v52, v49, v52 dst_sel:DWORD dst_unused:UNUSED_PAD src0_sel:WORD_0 src1_sel:DWORD
	v_or_b32_sdwa v49, v55, v56 dst_sel:DWORD dst_unused:UNUSED_PAD src0_sel:DWORD src1_sel:BYTE_0
	v_add_u16_e32 v49, 0x100, v49
	v_add_u16_sdwa v53, v53, s12 dst_sel:WORD_1 dst_unused:UNUSED_PAD src0_sel:DWORD src1_sel:DWORD
	v_or_b32_sdwa v50, v50, v59 dst_sel:DWORD dst_unused:UNUSED_PAD src0_sel:DWORD src1_sel:BYTE_0
	v_or_b32_e32 v49, v49, v53
	v_or_b32_sdwa v53, v54, v58 dst_sel:DWORD dst_unused:UNUSED_PAD src0_sel:DWORD src1_sel:BYTE_0
	v_add_u16_e32 v53, 0x100, v53
	v_add_u16_sdwa v50, v50, s12 dst_sel:WORD_1 dst_unused:UNUSED_PAD src0_sel:DWORD src1_sel:DWORD
	v_add_u32_e32 v48, 0x200, v3
	s_mov_b32 s89, 0xffff
	s_movk_i32 s90, 0xff
	v_or_b32_e32 v50, v53, v50
	s_mov_b32 s91, 0x7060405
	s_mov_b32 s92, 0xc0c0001
	s_mov_b32 s93, 0x6070504
	s_mov_b32 s94, 0x7050604
	s_mov_b32 s95, 0x3020107
	s_mov_b32 s96, 0xffff0000
	s_movk_i32 s97, 0x400
	s_branch .LBB99_2
.LBB99_1:                               ;   in Loop: Header=BB99_2 Depth=1
	s_or_b64 exec, exec, s[26:27]
	v_cndmask_b32_e64 v59, v59, v60, s[12:13]
	v_cndmask_b32_e64 v60, v62, v61, s[14:15]
	;; [unrolled: 1-line block ×5, first 2 shown]
	v_cmp_ge_i32_e64 s[14:15], v85, v2
	s_waitcnt lgkmcnt(0)
	v_cmp_lt_u16_sdwa s[16:17], v88, v86 src0_sel:BYTE_0 src1_sel:BYTE_0
	v_lshlrev_b16_e32 v51, 8, v51
	v_cndmask_b32_e64 v58, v57, v58, s[12:13]
	v_cmp_gt_i32_e64 s[12:13], s97, v83
	s_or_b64 s[14:15], s[14:15], s[16:17]
	v_lshlrev_b16_e32 v56, 8, v56
	v_lshlrev_b16_e32 v53, 8, v53
	v_or_b32_sdwa v49, v49, v51 dst_sel:DWORD dst_unused:UNUSED_PAD src0_sel:BYTE_0 src1_sel:DWORD
	v_lshlrev_b16_e32 v51, 8, v52
	v_cndmask_b32_e64 v62, v69, v70, s[18:19]
	s_and_b64 s[12:13], s[12:13], s[14:15]
	v_or_b32_sdwa v54, v54, v56 dst_sel:DWORD dst_unused:UNUSED_PAD src0_sel:BYTE_0 src1_sel:DWORD
	v_or_b32_sdwa v53, v55, v53 dst_sel:WORD_1 dst_unused:UNUSED_PAD src0_sel:BYTE_0 src1_sel:DWORD
	v_or_b32_sdwa v50, v50, v51 dst_sel:WORD_1 dst_unused:UNUSED_PAD src0_sel:BYTE_0 src1_sel:DWORD
	v_cndmask_b32_e64 v64, v85, v83, s[12:13]
	v_or_b32_sdwa v53, v54, v53 dst_sel:DWORD dst_unused:UNUSED_PAD src0_sel:WORD_0 src1_sel:DWORD
	v_or_b32_sdwa v52, v49, v50 dst_sel:DWORD dst_unused:UNUSED_PAD src0_sel:WORD_0 src1_sel:DWORD
	v_lshlrev_b16_e32 v49, 8, v60
	v_lshlrev_b16_e32 v50, 8, v62
	v_cndmask_b32_e64 v65, v73, v74, s[20:21]
	v_cndmask_b32_e64 v66, v77, v78, s[22:23]
	;; [unrolled: 1-line block ×6, first 2 shown]
	s_barrier
	ds_write_b64 v3, v[52:53]
	s_waitcnt lgkmcnt(0)
	s_barrier
	ds_read_u8 v53, v84
	ds_read_u8 v54, v64
	ds_read_u8 v55, v58
	ds_read_u8 v56, v63
	ds_read_u8 v58, v67
	ds_read_u8 v63, v71
	ds_read_u8 v64, v73
	ds_read_u8 v67, v70
	v_or_b32_sdwa v49, v59, v49 dst_sel:DWORD dst_unused:UNUSED_PAD src0_sel:BYTE_0 src1_sel:DWORD
	v_or_b32_sdwa v50, v61, v50 dst_sel:WORD_1 dst_unused:UNUSED_PAD src0_sel:BYTE_0 src1_sel:DWORD
	v_cndmask_b32_e64 v69, v81, v82, s[24:25]
	v_or_b32_sdwa v51, v49, v50 dst_sel:DWORD dst_unused:UNUSED_PAD src0_sel:WORD_0 src1_sel:DWORD
	v_lshlrev_b16_e32 v49, 8, v66
	v_lshlrev_b16_e32 v50, 8, v57
	v_or_b32_sdwa v49, v65, v49 dst_sel:DWORD dst_unused:UNUSED_PAD src0_sel:BYTE_0 src1_sel:DWORD
	v_or_b32_sdwa v50, v69, v50 dst_sel:WORD_1 dst_unused:UNUSED_PAD src0_sel:BYTE_0 src1_sel:DWORD
	s_waitcnt lgkmcnt(6)
	v_lshlrev_b16_e32 v68, 8, v54
	v_or_b32_sdwa v52, v49, v50 dst_sel:DWORD dst_unused:UNUSED_PAD src0_sel:WORD_0 src1_sel:DWORD
	s_waitcnt lgkmcnt(4)
	v_lshlrev_b16_e32 v49, 8, v56
	s_waitcnt lgkmcnt(2)
	v_lshlrev_b16_e32 v50, 8, v63
	v_or_b32_e32 v49, v55, v49
	v_or_b32_sdwa v50, v58, v50 dst_sel:WORD_1 dst_unused:UNUSED_PAD src0_sel:DWORD src1_sel:DWORD
	s_add_i32 s88, s88, 1
	v_or_b32_sdwa v49, v49, v50 dst_sel:DWORD dst_unused:UNUSED_PAD src0_sel:WORD_0 src1_sel:DWORD
	s_waitcnt lgkmcnt(0)
	v_lshlrev_b16_e32 v50, 8, v67
	v_or_b32_e32 v50, v64, v50
	v_or_b32_sdwa v68, v53, v68 dst_sel:WORD_1 dst_unused:UNUSED_PAD src0_sel:DWORD src1_sel:DWORD
	s_cmp_eq_u32 s88, 10
	v_or_b32_sdwa v50, v50, v68 dst_sel:DWORD dst_unused:UNUSED_PAD src0_sel:WORD_0 src1_sel:DWORD
	s_cbranch_scc1 .LBB99_226
.LBB99_2:                               ; =>This Loop Header: Depth=1
                                        ;     Child Loop BB99_4 Depth 2
                                        ;     Child Loop BB99_36 Depth 2
	;; [unrolled: 1-line block ×7, first 2 shown]
	v_lshrrev_b32_e32 v54, 8, v51
	v_perm_b32 v53, v51, v51, s91
	v_cmp_lt_u16_sdwa s[12:13], v54, v51 src0_sel:BYTE_0 src1_sel:BYTE_0
	s_barrier
	s_nop 0
	v_cndmask_b32_e64 v51, v51, v53, s[12:13]
	v_lshrrev_b32_e32 v53, 16, v51
	v_perm_b32 v54, 0, v53, s92
	v_lshlrev_b32_e32 v54, 16, v54
	v_and_or_b32 v54, v51, s89, v54
	v_cmp_lt_u16_sdwa s[14:15], v51, v53 src0_sel:BYTE_3 src1_sel:BYTE_0
	v_perm_b32 v53, v52, v52, s91
	s_nop 0
	v_cndmask_b32_e64 v51, v51, v54, s[14:15]
	v_lshrrev_b32_e32 v54, 8, v52
	v_cmp_lt_u16_sdwa s[16:17], v54, v52 src0_sel:BYTE_0 src1_sel:BYTE_0
	v_perm_b32 v55, v51, v51, s94
	s_nop 0
	v_cndmask_b32_e64 v52, v52, v53, s[16:17]
	v_and_b32_sdwa v53, v52, s90 dst_sel:DWORD dst_unused:UNUSED_PAD src0_sel:WORD_1 src1_sel:DWORD
	v_perm_b32 v54, v52, v52, s93
	v_cmp_lt_u16_sdwa s[18:19], v52, v53 src0_sel:BYTE_3 src1_sel:DWORD
	v_and_b32_sdwa v53, v51, s90 dst_sel:DWORD dst_unused:UNUSED_PAD src0_sel:WORD_1 src1_sel:DWORD
	s_nop 0
	v_cndmask_b32_e64 v52, v52, v54, s[18:19]
	v_lshrrev_b32_e32 v54, 8, v51
	v_cmp_lt_u16_sdwa s[20:21], v53, v54 src0_sel:DWORD src1_sel:BYTE_0
	s_nop 1
	v_cndmask_b32_e64 v51, v51, v55, s[20:21]
	v_and_b32_sdwa v54, v51, s90 dst_sel:DWORD dst_unused:UNUSED_PAD src0_sel:WORD_1 src1_sel:DWORD
	v_lshlrev_b16_e32 v55, 8, v52
	v_perm_b32 v53, v51, v52, s95
	v_or_b32_sdwa v54, v54, v55 dst_sel:WORD_1 dst_unused:UNUSED_PAD src0_sel:DWORD src1_sel:DWORD
	v_cmp_lt_u16_sdwa s[22:23], v52, v51 src0_sel:BYTE_0 src1_sel:BYTE_3
	v_and_or_b32 v54, v51, s89, v54
	s_nop 0
	v_cndmask_b32_e64 v52, v52, v53, s[22:23]
	v_cndmask_b32_e64 v51, v51, v54, s[22:23]
	v_and_b32_sdwa v53, v52, s90 dst_sel:DWORD dst_unused:UNUSED_PAD src0_sel:WORD_1 src1_sel:DWORD
	v_lshrrev_b32_e32 v54, 8, v52
	v_cmp_lt_u16_sdwa s[24:25], v53, v54 src0_sel:DWORD src1_sel:BYTE_0
	v_perm_b32 v53, 0, v51, s92
	v_lshrrev_b32_e32 v54, 8, v51
	v_and_or_b32 v53, v51, s96, v53
	v_cmp_lt_u16_sdwa s[26:27], v54, v51 src0_sel:BYTE_0 src1_sel:BYTE_0
	v_perm_b32 v55, v52, v52, s94
	v_cndmask_b32_e64 v52, v52, v55, s[24:25]
	v_cndmask_b32_e64 v51, v51, v53, s[26:27]
	v_lshrrev_b32_e32 v53, 16, v51
	v_perm_b32 v54, 0, v53, s92
	v_lshlrev_b32_e32 v54, 16, v54
	v_and_or_b32 v54, v51, s89, v54
	v_cmp_lt_u16_sdwa s[28:29], v51, v53 src0_sel:BYTE_3 src1_sel:BYTE_0
	v_perm_b32 v53, v52, v52, s91
	s_nop 0
	v_cndmask_b32_e64 v51, v51, v54, s[28:29]
	v_lshrrev_b32_e32 v54, 8, v52
	v_cmp_lt_u16_sdwa s[30:31], v54, v52 src0_sel:BYTE_0 src1_sel:BYTE_0
	v_perm_b32 v55, v51, v51, s94
	s_nop 0
	v_cndmask_b32_e64 v52, v52, v53, s[30:31]
	v_and_b32_sdwa v53, v52, s90 dst_sel:DWORD dst_unused:UNUSED_PAD src0_sel:WORD_1 src1_sel:DWORD
	v_perm_b32 v54, v52, v52, s93
	v_cmp_lt_u16_sdwa s[34:35], v52, v53 src0_sel:BYTE_3 src1_sel:DWORD
	v_and_b32_sdwa v53, v51, s90 dst_sel:DWORD dst_unused:UNUSED_PAD src0_sel:WORD_1 src1_sel:DWORD
	s_nop 0
	v_cndmask_b32_e64 v52, v52, v54, s[34:35]
	v_lshrrev_b32_e32 v54, 8, v51
	v_cmp_lt_u16_sdwa s[36:37], v53, v54 src0_sel:DWORD src1_sel:BYTE_0
	s_nop 1
	v_cndmask_b32_e64 v51, v51, v55, s[36:37]
	v_and_b32_sdwa v54, v51, s90 dst_sel:DWORD dst_unused:UNUSED_PAD src0_sel:WORD_1 src1_sel:DWORD
	v_lshlrev_b16_e32 v55, 8, v52
	v_perm_b32 v53, v51, v52, s95
	v_or_b32_sdwa v54, v54, v55 dst_sel:WORD_1 dst_unused:UNUSED_PAD src0_sel:DWORD src1_sel:DWORD
	v_cmp_lt_u16_sdwa s[38:39], v52, v51 src0_sel:BYTE_0 src1_sel:BYTE_3
	v_and_or_b32 v54, v51, s89, v54
	s_nop 0
	v_cndmask_b32_e64 v52, v52, v53, s[38:39]
	v_cndmask_b32_e64 v51, v51, v54, s[38:39]
	v_and_b32_sdwa v53, v52, s90 dst_sel:DWORD dst_unused:UNUSED_PAD src0_sel:WORD_1 src1_sel:DWORD
	v_lshrrev_b32_e32 v54, 8, v52
	v_cmp_lt_u16_sdwa s[40:41], v53, v54 src0_sel:DWORD src1_sel:BYTE_0
	v_perm_b32 v53, 0, v51, s92
	v_lshrrev_b32_e32 v54, 8, v51
	v_and_or_b32 v53, v51, s96, v53
	v_cmp_lt_u16_sdwa s[42:43], v54, v51 src0_sel:BYTE_0 src1_sel:BYTE_0
	v_perm_b32 v55, v52, v52, s94
	v_cndmask_b32_e64 v52, v52, v55, s[40:41]
	;; [unrolled: 42-line block ×3, first 2 shown]
	v_cndmask_b32_e64 v51, v51, v53, s[56:57]
	v_lshrrev_b32_e32 v53, 16, v51
	v_perm_b32 v54, 0, v53, s92
	v_lshlrev_b32_e32 v54, 16, v54
	v_and_or_b32 v54, v51, s89, v54
	v_cmp_lt_u16_sdwa s[58:59], v51, v53 src0_sel:BYTE_3 src1_sel:BYTE_0
	v_perm_b32 v53, v52, v52, s91
	s_nop 0
	v_cndmask_b32_e64 v51, v51, v54, s[58:59]
	v_lshrrev_b32_e32 v54, 8, v52
	v_cmp_lt_u16_sdwa s[60:61], v54, v52 src0_sel:BYTE_0 src1_sel:BYTE_0
	v_perm_b32 v55, v51, v51, s94
	s_nop 0
	v_cndmask_b32_e64 v52, v52, v53, s[60:61]
	v_and_b32_sdwa v53, v52, s90 dst_sel:DWORD dst_unused:UNUSED_PAD src0_sel:WORD_1 src1_sel:DWORD
	v_perm_b32 v54, v52, v52, s93
	v_cmp_lt_u16_sdwa s[62:63], v52, v53 src0_sel:BYTE_3 src1_sel:DWORD
	s_nop 1
	v_cndmask_b32_e64 v53, v52, v54, s[62:63]
	v_and_b32_sdwa v52, v51, s90 dst_sel:DWORD dst_unused:UNUSED_PAD src0_sel:WORD_1 src1_sel:DWORD
	v_lshrrev_b32_e32 v54, 8, v51
	v_cmp_lt_u16_sdwa s[64:65], v52, v54 src0_sel:DWORD src1_sel:BYTE_0
	s_nop 1
	v_cndmask_b32_e64 v51, v51, v55, s[64:65]
	v_and_b32_sdwa v52, v51, s90 dst_sel:DWORD dst_unused:UNUSED_PAD src0_sel:WORD_1 src1_sel:DWORD
	v_lshlrev_b16_e32 v55, 8, v53
	v_or_b32_sdwa v52, v52, v55 dst_sel:WORD_1 dst_unused:UNUSED_PAD src0_sel:DWORD src1_sel:DWORD
	v_perm_b32 v54, v51, v53, s95
	v_and_or_b32 v52, v51, s89, v52
	v_cmp_lt_u16_sdwa s[66:67], v53, v51 src0_sel:BYTE_0 src1_sel:BYTE_3
	s_nop 1
	v_cndmask_b32_e64 v52, v51, v52, s[66:67]
	v_cndmask_b32_e64 v51, v53, v54, s[66:67]
	v_and_b32_sdwa v53, v51, s90 dst_sel:DWORD dst_unused:UNUSED_PAD src0_sel:WORD_1 src1_sel:DWORD
	v_lshrrev_b32_e32 v54, 8, v51
	v_perm_b32 v55, v51, v51, s94
	v_cmp_lt_u16_sdwa s[68:69], v53, v54 src0_sel:DWORD src1_sel:BYTE_0
	s_nop 1
	v_cndmask_b32_e64 v53, v51, v55, s[68:69]
	ds_write_b64 v3, v[52:53]
	v_mov_b32_e32 v52, v38
	s_waitcnt lgkmcnt(0)
	s_barrier
	s_and_saveexec_b64 s[72:73], vcc
	s_cbranch_execz .LBB99_6
; %bb.3:                                ;   in Loop: Header=BB99_2 Depth=1
	s_mov_b64 s[74:75], 0
	v_mov_b32_e32 v52, v38
	v_mov_b32_e32 v51, v33
.LBB99_4:                               ;   Parent Loop BB99_2 Depth=1
                                        ; =>  This Inner Loop Header: Depth=2
	v_sub_u32_e32 v53, v51, v52
	v_lshrrev_b32_e32 v54, 31, v53
	v_add_u32_e32 v53, v53, v54
	v_ashrrev_i32_e32 v53, 1, v53
	v_add_u32_e32 v53, v53, v52
	v_not_b32_e32 v55, v53
	v_add_u32_e32 v54, v4, v53
	v_add3_u32 v55, v5, v55, v16
	ds_read_u8 v54, v54
	ds_read_u8 v55, v55
	v_add_u32_e32 v56, 1, v53
	s_waitcnt lgkmcnt(0)
	v_cmp_lt_u16_e64 s[70:71], v55, v54
	s_nop 1
	v_cndmask_b32_e64 v51, v51, v53, s[70:71]
	v_cndmask_b32_e64 v52, v56, v52, s[70:71]
	v_cmp_ge_i32_e64 s[70:71], v52, v51
	s_or_b64 s[74:75], s[70:71], s[74:75]
	s_andn2_b64 exec, exec, s[74:75]
	s_cbranch_execnz .LBB99_4
; %bb.5:                                ;   in Loop: Header=BB99_2 Depth=1
	s_or_b64 exec, exec, s[74:75]
.LBB99_6:                               ;   in Loop: Header=BB99_2 Depth=1
	s_or_b64 exec, exec, s[72:73]
	v_add_u32_e32 v51, v52, v4
	v_sub_u32_e32 v52, v28, v52
	ds_read_u8 v53, v51
	ds_read_u8 v54, v52
	v_cmp_le_i32_e64 s[72:73], v16, v51
	v_cmp_gt_i32_e64 s[70:71], v17, v52
                                        ; implicit-def: $vgpr55
                                        ; implicit-def: $vgpr56
	s_waitcnt lgkmcnt(0)
	v_cmp_lt_u16_sdwa s[74:75], v54, v53 src0_sel:BYTE_0 src1_sel:BYTE_0
	s_or_b64 s[72:73], s[72:73], s[74:75]
	s_and_b64 s[70:71], s[70:71], s[72:73]
	s_xor_b64 s[72:73], s[70:71], -1
	s_and_saveexec_b64 s[74:75], s[72:73]
	s_xor_b64 s[72:73], exec, s[74:75]
	s_cbranch_execz .LBB99_8
; %bb.7:                                ;   in Loop: Header=BB99_2 Depth=1
	ds_read_u8 v56, v51 offset:1
	v_mov_b32_e32 v55, v54
.LBB99_8:                               ;   in Loop: Header=BB99_2 Depth=1
	s_andn2_saveexec_b64 s[72:73], s[72:73]
	s_cbranch_execz .LBB99_10
; %bb.9:                                ;   in Loop: Header=BB99_2 Depth=1
	ds_read_u8 v55, v52 offset:1
	s_waitcnt lgkmcnt(1)
	v_mov_b32_e32 v56, v53
.LBB99_10:                              ;   in Loop: Header=BB99_2 Depth=1
	s_or_b64 exec, exec, s[72:73]
	v_add_u32_e32 v58, 1, v51
	v_add_u32_e32 v57, 1, v52
	v_cndmask_b32_e64 v58, v58, v51, s[70:71]
	v_cndmask_b32_e64 v57, v52, v57, s[70:71]
	v_cmp_ge_i32_e64 s[74:75], v58, v16
	s_waitcnt lgkmcnt(0)
	v_cmp_lt_u16_sdwa s[76:77], v55, v56 src0_sel:BYTE_0 src1_sel:BYTE_0
	v_cmp_lt_i32_e64 s[72:73], v57, v17
	s_or_b64 s[74:75], s[74:75], s[76:77]
	s_and_b64 s[72:73], s[72:73], s[74:75]
	s_xor_b64 s[74:75], s[72:73], -1
                                        ; implicit-def: $vgpr59
	s_and_saveexec_b64 s[76:77], s[74:75]
	s_xor_b64 s[74:75], exec, s[76:77]
	s_cbranch_execz .LBB99_12
; %bb.11:                               ;   in Loop: Header=BB99_2 Depth=1
	ds_read_u8 v59, v58 offset:1
.LBB99_12:                              ;   in Loop: Header=BB99_2 Depth=1
	s_or_saveexec_b64 s[74:75], s[74:75]
	v_mov_b32_e32 v60, v55
	s_xor_b64 exec, exec, s[74:75]
	s_cbranch_execz .LBB99_14
; %bb.13:                               ;   in Loop: Header=BB99_2 Depth=1
	ds_read_u8 v60, v57 offset:1
	s_waitcnt lgkmcnt(1)
	v_mov_b32_e32 v59, v56
.LBB99_14:                              ;   in Loop: Header=BB99_2 Depth=1
	s_or_b64 exec, exec, s[74:75]
	v_add_u32_e32 v62, 1, v58
	v_add_u32_e32 v61, 1, v57
	v_cndmask_b32_e64 v62, v62, v58, s[72:73]
	v_cndmask_b32_e64 v61, v57, v61, s[72:73]
	v_cmp_ge_i32_e64 s[76:77], v62, v16
	s_waitcnt lgkmcnt(0)
	v_cmp_lt_u16_sdwa s[78:79], v60, v59 src0_sel:BYTE_0 src1_sel:BYTE_0
	v_cmp_lt_i32_e64 s[74:75], v61, v17
	s_or_b64 s[76:77], s[76:77], s[78:79]
	s_and_b64 s[74:75], s[74:75], s[76:77]
	s_xor_b64 s[76:77], s[74:75], -1
                                        ; implicit-def: $vgpr63
	s_and_saveexec_b64 s[78:79], s[76:77]
	s_xor_b64 s[76:77], exec, s[78:79]
	s_cbranch_execz .LBB99_16
; %bb.15:                               ;   in Loop: Header=BB99_2 Depth=1
	ds_read_u8 v63, v62 offset:1
.LBB99_16:                              ;   in Loop: Header=BB99_2 Depth=1
	s_or_saveexec_b64 s[76:77], s[76:77]
	v_mov_b32_e32 v64, v60
	s_xor_b64 exec, exec, s[76:77]
	s_cbranch_execz .LBB99_18
; %bb.17:                               ;   in Loop: Header=BB99_2 Depth=1
	ds_read_u8 v64, v61 offset:1
	s_waitcnt lgkmcnt(1)
	v_mov_b32_e32 v63, v59
.LBB99_18:                              ;   in Loop: Header=BB99_2 Depth=1
	s_or_b64 exec, exec, s[76:77]
	v_add_u32_e32 v66, 1, v62
	v_add_u32_e32 v65, 1, v61
	v_cndmask_b32_e64 v66, v66, v62, s[74:75]
	v_cndmask_b32_e64 v65, v61, v65, s[74:75]
	v_cmp_ge_i32_e64 s[78:79], v66, v16
	s_waitcnt lgkmcnt(0)
	v_cmp_lt_u16_sdwa s[80:81], v64, v63 src0_sel:BYTE_0 src1_sel:BYTE_0
	v_cmp_lt_i32_e64 s[76:77], v65, v17
	s_or_b64 s[78:79], s[78:79], s[80:81]
	s_and_b64 s[76:77], s[76:77], s[78:79]
	s_xor_b64 s[78:79], s[76:77], -1
                                        ; implicit-def: $vgpr67
	s_and_saveexec_b64 s[80:81], s[78:79]
	s_xor_b64 s[78:79], exec, s[80:81]
	s_cbranch_execz .LBB99_20
; %bb.19:                               ;   in Loop: Header=BB99_2 Depth=1
	ds_read_u8 v67, v66 offset:1
.LBB99_20:                              ;   in Loop: Header=BB99_2 Depth=1
	s_or_saveexec_b64 s[78:79], s[78:79]
	v_mov_b32_e32 v68, v64
	s_xor_b64 exec, exec, s[78:79]
	s_cbranch_execz .LBB99_22
; %bb.21:                               ;   in Loop: Header=BB99_2 Depth=1
	ds_read_u8 v68, v65 offset:1
	s_waitcnt lgkmcnt(1)
	v_mov_b32_e32 v67, v63
.LBB99_22:                              ;   in Loop: Header=BB99_2 Depth=1
	s_or_b64 exec, exec, s[78:79]
	v_add_u32_e32 v71, 1, v66
	v_add_u32_e32 v69, 1, v65
	v_cndmask_b32_e64 v71, v71, v66, s[76:77]
	v_cndmask_b32_e64 v70, v65, v69, s[76:77]
	v_cmp_ge_i32_e64 s[80:81], v71, v16
	s_waitcnt lgkmcnt(0)
	v_cmp_lt_u16_sdwa s[82:83], v68, v67 src0_sel:BYTE_0 src1_sel:BYTE_0
	v_cmp_lt_i32_e64 s[78:79], v70, v17
	s_or_b64 s[80:81], s[80:81], s[82:83]
	s_and_b64 s[78:79], s[78:79], s[80:81]
	s_xor_b64 s[80:81], s[78:79], -1
                                        ; implicit-def: $vgpr73
	s_and_saveexec_b64 s[82:83], s[80:81]
	s_xor_b64 s[80:81], exec, s[82:83]
	s_cbranch_execz .LBB99_24
; %bb.23:                               ;   in Loop: Header=BB99_2 Depth=1
	ds_read_u8 v73, v71 offset:1
.LBB99_24:                              ;   in Loop: Header=BB99_2 Depth=1
	s_or_saveexec_b64 s[80:81], s[80:81]
	v_mov_b32_e32 v74, v68
	s_xor_b64 exec, exec, s[80:81]
	s_cbranch_execz .LBB99_26
; %bb.25:                               ;   in Loop: Header=BB99_2 Depth=1
	ds_read_u8 v74, v70 offset:1
	s_waitcnt lgkmcnt(1)
	v_mov_b32_e32 v73, v67
.LBB99_26:                              ;   in Loop: Header=BB99_2 Depth=1
	s_or_b64 exec, exec, s[80:81]
	v_add_u32_e32 v72, 1, v71
	v_add_u32_e32 v69, 1, v70
	v_cndmask_b32_e64 v76, v72, v71, s[78:79]
	v_cndmask_b32_e64 v75, v70, v69, s[78:79]
	v_cmp_ge_i32_e64 s[82:83], v76, v16
	s_waitcnt lgkmcnt(0)
	v_cmp_lt_u16_sdwa s[84:85], v74, v73 src0_sel:BYTE_0 src1_sel:BYTE_0
	v_cmp_lt_i32_e64 s[80:81], v75, v17
	s_or_b64 s[82:83], s[82:83], s[84:85]
	s_and_b64 s[80:81], s[80:81], s[82:83]
	s_xor_b64 s[82:83], s[80:81], -1
                                        ; implicit-def: $vgpr77
	s_and_saveexec_b64 s[84:85], s[82:83]
	s_xor_b64 s[82:83], exec, s[84:85]
	s_cbranch_execz .LBB99_28
; %bb.27:                               ;   in Loop: Header=BB99_2 Depth=1
	ds_read_u8 v77, v76 offset:1
.LBB99_28:                              ;   in Loop: Header=BB99_2 Depth=1
	s_or_saveexec_b64 s[82:83], s[82:83]
	v_mov_b32_e32 v78, v74
	s_xor_b64 exec, exec, s[82:83]
	s_cbranch_execz .LBB99_30
; %bb.29:                               ;   in Loop: Header=BB99_2 Depth=1
	ds_read_u8 v78, v75 offset:1
	s_waitcnt lgkmcnt(1)
	v_mov_b32_e32 v77, v73
.LBB99_30:                              ;   in Loop: Header=BB99_2 Depth=1
	s_or_b64 exec, exec, s[82:83]
	v_add_u32_e32 v72, 1, v76
	v_add_u32_e32 v69, 1, v75
	v_cndmask_b32_e64 v80, v72, v76, s[80:81]
	v_cndmask_b32_e64 v79, v75, v69, s[80:81]
	v_cmp_ge_i32_e64 s[84:85], v80, v16
	s_waitcnt lgkmcnt(0)
	v_cmp_lt_u16_sdwa s[98:99], v78, v77 src0_sel:BYTE_0 src1_sel:BYTE_0
	v_cmp_lt_i32_e64 s[82:83], v79, v17
	s_or_b64 s[84:85], s[84:85], s[98:99]
	s_and_b64 s[82:83], s[82:83], s[84:85]
	s_xor_b64 s[84:85], s[82:83], -1
                                        ; implicit-def: $vgpr69
	s_and_saveexec_b64 s[98:99], s[84:85]
	s_xor_b64 s[84:85], exec, s[98:99]
	s_cbranch_execz .LBB99_32
; %bb.31:                               ;   in Loop: Header=BB99_2 Depth=1
	ds_read_u8 v69, v80 offset:1
.LBB99_32:                              ;   in Loop: Header=BB99_2 Depth=1
	s_or_saveexec_b64 s[84:85], s[84:85]
	v_mov_b32_e32 v72, v78
	s_xor_b64 exec, exec, s[84:85]
	s_cbranch_execz .LBB99_34
; %bb.33:                               ;   in Loop: Header=BB99_2 Depth=1
	ds_read_u8 v72, v79 offset:1
	s_waitcnt lgkmcnt(1)
	v_mov_b32_e32 v69, v77
.LBB99_34:                              ;   in Loop: Header=BB99_2 Depth=1
	s_or_b64 exec, exec, s[84:85]
	v_perm_b32 v81, 0, v49, s92
	v_and_or_b32 v81, v49, s96, v81
	v_cndmask_b32_e64 v49, v49, v81, s[12:13]
	v_cndmask_b32_e64 v52, v51, v52, s[70:71]
	v_lshrrev_b32_e32 v51, 16, v49
	v_perm_b32 v51, 0, v51, s92
	v_lshlrev_b32_e32 v51, 16, v51
	v_and_or_b32 v51, v49, s89, v51
	v_cndmask_b32_e64 v49, v49, v51, s[14:15]
	v_perm_b32 v51, v50, v50, s91
	v_cndmask_b32_e64 v50, v50, v51, s[16:17]
	v_perm_b32 v51, v50, v50, s93
	;; [unrolled: 2-line block ×3, first 2 shown]
	v_cndmask_b32_e64 v49, v49, v51, s[20:21]
	v_cndmask_b32_e64 v59, v59, v60, s[74:75]
	v_cndmask_b32_e64 v60, v62, v61, s[74:75]
	v_cndmask_b32_e64 v61, v56, v55, s[72:73]
	v_cndmask_b32_e64 v55, v58, v57, s[72:73]
	v_cndmask_b32_e64 v57, v53, v54, s[70:71]
	v_and_b32_sdwa v53, v49, s90 dst_sel:DWORD dst_unused:UNUSED_PAD src0_sel:WORD_1 src1_sel:DWORD
	v_lshlrev_b16_e32 v54, 8, v50
	v_or_b32_sdwa v53, v53, v54 dst_sel:WORD_1 dst_unused:UNUSED_PAD src0_sel:DWORD src1_sel:DWORD
	v_perm_b32 v51, v49, v50, s95
	v_and_or_b32 v53, v49, s89, v53
	v_cndmask_b32_e64 v49, v49, v53, s[22:23]
	v_perm_b32 v53, 0, v49, s92
	v_cndmask_b32_e64 v50, v50, v51, s[22:23]
	v_and_or_b32 v53, v49, s96, v53
	v_perm_b32 v51, v50, v50, s94
	v_cndmask_b32_e64 v49, v49, v53, s[26:27]
	v_cndmask_b32_e64 v50, v50, v51, s[24:25]
	v_lshrrev_b32_e32 v51, 16, v49
	v_perm_b32 v51, 0, v51, s92
	v_lshlrev_b32_e32 v51, 16, v51
	v_and_or_b32 v51, v49, s89, v51
	v_cndmask_b32_e64 v49, v49, v51, s[28:29]
	v_perm_b32 v51, v50, v50, s91
	v_cndmask_b32_e64 v50, v50, v51, s[30:31]
	v_perm_b32 v51, v50, v50, s93
	v_cndmask_b32_e64 v50, v50, v51, s[34:35]
	v_perm_b32 v51, v49, v49, s94
	v_cndmask_b32_e64 v49, v49, v51, s[36:37]
	v_and_b32_sdwa v53, v49, s90 dst_sel:DWORD dst_unused:UNUSED_PAD src0_sel:WORD_1 src1_sel:DWORD
	v_lshlrev_b16_e32 v54, 8, v50
	v_or_b32_sdwa v53, v53, v54 dst_sel:WORD_1 dst_unused:UNUSED_PAD src0_sel:DWORD src1_sel:DWORD
	v_perm_b32 v51, v49, v50, s95
	v_and_or_b32 v53, v49, s89, v53
	v_cndmask_b32_e64 v49, v49, v53, s[38:39]
	v_perm_b32 v53, 0, v49, s92
	v_cndmask_b32_e64 v50, v50, v51, s[38:39]
	v_and_or_b32 v53, v49, s96, v53
	v_perm_b32 v51, v50, v50, s94
	v_cndmask_b32_e64 v49, v49, v53, s[42:43]
	v_cndmask_b32_e64 v50, v50, v51, s[40:41]
	v_lshrrev_b32_e32 v51, 16, v49
	v_perm_b32 v51, 0, v51, s92
	v_lshlrev_b32_e32 v51, 16, v51
	v_and_or_b32 v51, v49, s89, v51
	v_cndmask_b32_e64 v49, v49, v51, s[44:45]
	v_perm_b32 v51, v50, v50, s91
	v_cndmask_b32_e64 v50, v50, v51, s[46:47]
	v_perm_b32 v51, v50, v50, s93
	v_cndmask_b32_e64 v50, v50, v51, s[48:49]
	v_perm_b32 v51, v49, v49, s94
	v_cndmask_b32_e64 v49, v49, v51, s[50:51]
	;; [unrolled: 23-line block ×3, first 2 shown]
	v_add_u32_e32 v82, 1, v80
	v_and_b32_sdwa v50, v49, s90 dst_sel:DWORD dst_unused:UNUSED_PAD src0_sel:WORD_1 src1_sel:DWORD
	v_lshlrev_b16_e32 v54, 8, v51
	v_cndmask_b32_e64 v77, v77, v78, s[82:83]
	v_add_u32_e32 v78, 1, v79
	v_cndmask_b32_e64 v82, v82, v80, s[82:83]
	v_or_b32_sdwa v50, v50, v54 dst_sel:WORD_1 dst_unused:UNUSED_PAD src0_sel:DWORD src1_sel:DWORD
	v_cndmask_b32_e64 v78, v79, v78, s[82:83]
	v_perm_b32 v53, v49, v51, s95
	v_and_or_b32 v50, v49, s89, v50
	v_cmp_ge_i32_e64 s[14:15], v82, v16
	s_waitcnt lgkmcnt(0)
	v_cmp_lt_u16_sdwa s[16:17], v72, v69 src0_sel:BYTE_0 src1_sel:BYTE_0
	v_cndmask_b32_e64 v50, v49, v50, s[66:67]
	v_cndmask_b32_e64 v49, v51, v53, s[66:67]
	v_cmp_lt_i32_e64 s[12:13], v78, v17
	s_or_b64 s[14:15], s[14:15], s[16:17]
	v_perm_b32 v51, v49, v49, s94
	s_and_b64 s[12:13], s[12:13], s[14:15]
	v_cndmask_b32_e64 v51, v49, v51, s[68:69]
	v_cndmask_b32_e64 v49, v82, v78, s[12:13]
	;; [unrolled: 1-line block ×9, first 2 shown]
	s_barrier
	ds_write_b64 v3, v[50:51]
	s_waitcnt lgkmcnt(0)
	s_barrier
	ds_read_u8 v53, v49
	ds_read_u8 v49, v52
	;; [unrolled: 1-line block ×8, first 2 shown]
	v_lshlrev_b16_e32 v58, 8, v61
	v_or_b32_sdwa v57, v57, v58 dst_sel:DWORD dst_unused:UNUSED_PAD src0_sel:BYTE_0 src1_sel:DWORD
	v_lshlrev_b16_e32 v58, 8, v63
	v_cndmask_b32_e64 v62, v69, v72, s[12:13]
	v_or_b32_sdwa v58, v59, v58 dst_sel:WORD_1 dst_unused:UNUSED_PAD src0_sel:BYTE_0 src1_sel:DWORD
	v_lshlrev_b16_e32 v59, 8, v62
	v_or_b32_sdwa v58, v57, v58 dst_sel:DWORD dst_unused:UNUSED_PAD src0_sel:WORD_0 src1_sel:DWORD
	v_lshlrev_b16_e32 v57, 8, v73
	v_or_b32_sdwa v57, v67, v57 dst_sel:DWORD dst_unused:UNUSED_PAD src0_sel:BYTE_0 src1_sel:DWORD
	v_or_b32_sdwa v59, v77, v59 dst_sel:WORD_1 dst_unused:UNUSED_PAD src0_sel:BYTE_0 src1_sel:DWORD
	s_waitcnt lgkmcnt(0)
	v_or_b32_sdwa v59, v57, v59 dst_sel:DWORD dst_unused:UNUSED_PAD src0_sel:WORD_0 src1_sel:DWORD
	s_barrier
	ds_write_b64 v3, v[58:59]
	v_mov_b32_e32 v58, v39
	s_waitcnt lgkmcnt(0)
	s_barrier
	s_and_saveexec_b64 s[14:15], s[0:1]
	s_cbranch_execz .LBB99_38
; %bb.35:                               ;   in Loop: Header=BB99_2 Depth=1
	s_mov_b64 s[16:17], 0
	v_mov_b32_e32 v58, v39
	v_mov_b32_e32 v57, v34
.LBB99_36:                              ;   Parent Loop BB99_2 Depth=1
                                        ; =>  This Inner Loop Header: Depth=2
	v_sub_u32_e32 v59, v57, v58
	v_lshrrev_b32_e32 v60, 31, v59
	v_add_u32_e32 v59, v59, v60
	v_ashrrev_i32_e32 v59, 1, v59
	v_add_u32_e32 v59, v59, v58
	v_not_b32_e32 v61, v59
	v_add_u32_e32 v60, v6, v59
	v_add3_u32 v61, v7, v61, v18
	ds_read_u8 v60, v60
	ds_read_u8 v61, v61
	v_add_u32_e32 v62, 1, v59
	s_waitcnt lgkmcnt(0)
	v_cmp_lt_u16_e64 s[12:13], v61, v60
	s_nop 1
	v_cndmask_b32_e64 v57, v57, v59, s[12:13]
	v_cndmask_b32_e64 v58, v62, v58, s[12:13]
	v_cmp_ge_i32_e64 s[12:13], v58, v57
	s_or_b64 s[16:17], s[12:13], s[16:17]
	s_andn2_b64 exec, exec, s[16:17]
	s_cbranch_execnz .LBB99_36
; %bb.37:                               ;   in Loop: Header=BB99_2 Depth=1
	s_or_b64 exec, exec, s[16:17]
.LBB99_38:                              ;   in Loop: Header=BB99_2 Depth=1
	s_or_b64 exec, exec, s[14:15]
	v_add_u32_e32 v57, v58, v6
	v_sub_u32_e32 v58, v29, v58
	ds_read_u8 v59, v57
	ds_read_u8 v60, v58
	v_cmp_le_i32_e64 s[14:15], v18, v57
	v_cmp_gt_i32_e64 s[12:13], v19, v58
                                        ; implicit-def: $vgpr61
                                        ; implicit-def: $vgpr62
	s_waitcnt lgkmcnt(0)
	v_cmp_lt_u16_sdwa s[16:17], v60, v59 src0_sel:BYTE_0 src1_sel:BYTE_0
	s_or_b64 s[14:15], s[14:15], s[16:17]
	s_and_b64 s[12:13], s[12:13], s[14:15]
	s_xor_b64 s[14:15], s[12:13], -1
	s_and_saveexec_b64 s[16:17], s[14:15]
	s_xor_b64 s[14:15], exec, s[16:17]
	s_cbranch_execz .LBB99_40
; %bb.39:                               ;   in Loop: Header=BB99_2 Depth=1
	ds_read_u8 v62, v57 offset:1
	v_mov_b32_e32 v61, v60
.LBB99_40:                              ;   in Loop: Header=BB99_2 Depth=1
	s_andn2_saveexec_b64 s[14:15], s[14:15]
	s_cbranch_execz .LBB99_42
; %bb.41:                               ;   in Loop: Header=BB99_2 Depth=1
	ds_read_u8 v61, v58 offset:1
	s_waitcnt lgkmcnt(1)
	v_mov_b32_e32 v62, v59
.LBB99_42:                              ;   in Loop: Header=BB99_2 Depth=1
	s_or_b64 exec, exec, s[14:15]
	v_add_u32_e32 v64, 1, v57
	v_add_u32_e32 v63, 1, v58
	v_cndmask_b32_e64 v64, v64, v57, s[12:13]
	v_cndmask_b32_e64 v63, v58, v63, s[12:13]
	v_cmp_ge_i32_e64 s[16:17], v64, v18
	s_waitcnt lgkmcnt(0)
	v_cmp_lt_u16_sdwa s[18:19], v61, v62 src0_sel:BYTE_0 src1_sel:BYTE_0
	v_cmp_lt_i32_e64 s[14:15], v63, v19
	s_or_b64 s[16:17], s[16:17], s[18:19]
	s_and_b64 s[14:15], s[14:15], s[16:17]
	s_xor_b64 s[16:17], s[14:15], -1
                                        ; implicit-def: $vgpr65
	s_and_saveexec_b64 s[18:19], s[16:17]
	s_xor_b64 s[16:17], exec, s[18:19]
	s_cbranch_execz .LBB99_44
; %bb.43:                               ;   in Loop: Header=BB99_2 Depth=1
	ds_read_u8 v65, v64 offset:1
.LBB99_44:                              ;   in Loop: Header=BB99_2 Depth=1
	s_or_saveexec_b64 s[16:17], s[16:17]
	v_mov_b32_e32 v66, v61
	s_xor_b64 exec, exec, s[16:17]
	s_cbranch_execz .LBB99_46
; %bb.45:                               ;   in Loop: Header=BB99_2 Depth=1
	ds_read_u8 v66, v63 offset:1
	s_waitcnt lgkmcnt(1)
	v_mov_b32_e32 v65, v62
.LBB99_46:                              ;   in Loop: Header=BB99_2 Depth=1
	s_or_b64 exec, exec, s[16:17]
	v_add_u32_e32 v68, 1, v64
	v_add_u32_e32 v67, 1, v63
	v_cndmask_b32_e64 v68, v68, v64, s[14:15]
	v_cndmask_b32_e64 v67, v63, v67, s[14:15]
	v_cmp_ge_i32_e64 s[18:19], v68, v18
	s_waitcnt lgkmcnt(0)
	v_cmp_lt_u16_sdwa s[20:21], v66, v65 src0_sel:BYTE_0 src1_sel:BYTE_0
	v_cmp_lt_i32_e64 s[16:17], v67, v19
	s_or_b64 s[18:19], s[18:19], s[20:21]
	s_and_b64 s[16:17], s[16:17], s[18:19]
	s_xor_b64 s[18:19], s[16:17], -1
                                        ; implicit-def: $vgpr69
	s_and_saveexec_b64 s[20:21], s[18:19]
	s_xor_b64 s[18:19], exec, s[20:21]
	s_cbranch_execz .LBB99_48
; %bb.47:                               ;   in Loop: Header=BB99_2 Depth=1
	ds_read_u8 v69, v68 offset:1
.LBB99_48:                              ;   in Loop: Header=BB99_2 Depth=1
	s_or_saveexec_b64 s[18:19], s[18:19]
	v_mov_b32_e32 v70, v66
	s_xor_b64 exec, exec, s[18:19]
	s_cbranch_execz .LBB99_50
; %bb.49:                               ;   in Loop: Header=BB99_2 Depth=1
	ds_read_u8 v70, v67 offset:1
	s_waitcnt lgkmcnt(1)
	v_mov_b32_e32 v69, v65
.LBB99_50:                              ;   in Loop: Header=BB99_2 Depth=1
	s_or_b64 exec, exec, s[18:19]
	v_add_u32_e32 v72, 1, v68
	v_add_u32_e32 v71, 1, v67
	v_cndmask_b32_e64 v72, v72, v68, s[16:17]
	v_cndmask_b32_e64 v71, v67, v71, s[16:17]
	v_cmp_ge_i32_e64 s[20:21], v72, v18
	s_waitcnt lgkmcnt(0)
	v_cmp_lt_u16_sdwa s[22:23], v70, v69 src0_sel:BYTE_0 src1_sel:BYTE_0
	v_cmp_lt_i32_e64 s[18:19], v71, v19
	s_or_b64 s[20:21], s[20:21], s[22:23]
	s_and_b64 s[18:19], s[18:19], s[20:21]
	s_xor_b64 s[20:21], s[18:19], -1
                                        ; implicit-def: $vgpr73
	s_and_saveexec_b64 s[22:23], s[20:21]
	s_xor_b64 s[20:21], exec, s[22:23]
	s_cbranch_execz .LBB99_52
; %bb.51:                               ;   in Loop: Header=BB99_2 Depth=1
	ds_read_u8 v73, v72 offset:1
.LBB99_52:                              ;   in Loop: Header=BB99_2 Depth=1
	s_or_saveexec_b64 s[20:21], s[20:21]
	v_mov_b32_e32 v74, v70
	s_xor_b64 exec, exec, s[20:21]
	s_cbranch_execz .LBB99_54
; %bb.53:                               ;   in Loop: Header=BB99_2 Depth=1
	ds_read_u8 v74, v71 offset:1
	s_waitcnt lgkmcnt(1)
	v_mov_b32_e32 v73, v69
.LBB99_54:                              ;   in Loop: Header=BB99_2 Depth=1
	s_or_b64 exec, exec, s[20:21]
	v_add_u32_e32 v76, 1, v72
	v_add_u32_e32 v75, 1, v71
	v_cndmask_b32_e64 v76, v76, v72, s[18:19]
	v_cndmask_b32_e64 v75, v71, v75, s[18:19]
	v_cmp_ge_i32_e64 s[22:23], v76, v18
	s_waitcnt lgkmcnt(0)
	v_cmp_lt_u16_sdwa s[24:25], v74, v73 src0_sel:BYTE_0 src1_sel:BYTE_0
	v_cmp_lt_i32_e64 s[20:21], v75, v19
	s_or_b64 s[22:23], s[22:23], s[24:25]
	s_and_b64 s[20:21], s[20:21], s[22:23]
	s_xor_b64 s[22:23], s[20:21], -1
                                        ; implicit-def: $vgpr77
	s_and_saveexec_b64 s[24:25], s[22:23]
	s_xor_b64 s[22:23], exec, s[24:25]
	s_cbranch_execz .LBB99_56
; %bb.55:                               ;   in Loop: Header=BB99_2 Depth=1
	ds_read_u8 v77, v76 offset:1
.LBB99_56:                              ;   in Loop: Header=BB99_2 Depth=1
	s_or_saveexec_b64 s[22:23], s[22:23]
	v_mov_b32_e32 v78, v74
	s_xor_b64 exec, exec, s[22:23]
	s_cbranch_execz .LBB99_58
; %bb.57:                               ;   in Loop: Header=BB99_2 Depth=1
	ds_read_u8 v78, v75 offset:1
	s_waitcnt lgkmcnt(1)
	v_mov_b32_e32 v77, v73
.LBB99_58:                              ;   in Loop: Header=BB99_2 Depth=1
	s_or_b64 exec, exec, s[22:23]
	v_add_u32_e32 v80, 1, v76
	v_add_u32_e32 v79, 1, v75
	v_cndmask_b32_e64 v80, v80, v76, s[20:21]
	v_cndmask_b32_e64 v79, v75, v79, s[20:21]
	v_cmp_ge_i32_e64 s[24:25], v80, v18
	s_waitcnt lgkmcnt(0)
	v_cmp_lt_u16_sdwa s[26:27], v78, v77 src0_sel:BYTE_0 src1_sel:BYTE_0
	v_cmp_lt_i32_e64 s[22:23], v79, v19
	s_or_b64 s[24:25], s[24:25], s[26:27]
	s_and_b64 s[22:23], s[22:23], s[24:25]
	s_xor_b64 s[24:25], s[22:23], -1
                                        ; implicit-def: $vgpr81
	s_and_saveexec_b64 s[26:27], s[24:25]
	s_xor_b64 s[24:25], exec, s[26:27]
	s_cbranch_execz .LBB99_60
; %bb.59:                               ;   in Loop: Header=BB99_2 Depth=1
	ds_read_u8 v81, v80 offset:1
.LBB99_60:                              ;   in Loop: Header=BB99_2 Depth=1
	s_or_saveexec_b64 s[24:25], s[24:25]
	v_mov_b32_e32 v82, v78
	s_xor_b64 exec, exec, s[24:25]
	s_cbranch_execz .LBB99_62
; %bb.61:                               ;   in Loop: Header=BB99_2 Depth=1
	ds_read_u8 v82, v79 offset:1
	s_waitcnt lgkmcnt(1)
	v_mov_b32_e32 v81, v77
.LBB99_62:                              ;   in Loop: Header=BB99_2 Depth=1
	s_or_b64 exec, exec, s[24:25]
	v_add_u32_e32 v85, 1, v80
	v_add_u32_e32 v83, 1, v79
	v_cndmask_b32_e64 v85, v85, v80, s[22:23]
	v_cndmask_b32_e64 v84, v79, v83, s[22:23]
	v_cmp_ge_i32_e64 s[26:27], v85, v18
	s_waitcnt lgkmcnt(0)
	v_cmp_lt_u16_sdwa s[28:29], v82, v81 src0_sel:BYTE_0 src1_sel:BYTE_0
	v_cmp_lt_i32_e64 s[24:25], v84, v19
	s_or_b64 s[26:27], s[26:27], s[28:29]
	s_and_b64 s[24:25], s[24:25], s[26:27]
	s_xor_b64 s[26:27], s[24:25], -1
                                        ; implicit-def: $vgpr83
	s_and_saveexec_b64 s[28:29], s[26:27]
	s_xor_b64 s[26:27], exec, s[28:29]
	s_cbranch_execz .LBB99_64
; %bb.63:                               ;   in Loop: Header=BB99_2 Depth=1
	ds_read_u8 v83, v85 offset:1
.LBB99_64:                              ;   in Loop: Header=BB99_2 Depth=1
	s_or_saveexec_b64 s[26:27], s[26:27]
	v_mov_b32_e32 v86, v82
	s_xor_b64 exec, exec, s[26:27]
	s_cbranch_execz .LBB99_66
; %bb.65:                               ;   in Loop: Header=BB99_2 Depth=1
	ds_read_u8 v86, v84 offset:1
	s_waitcnt lgkmcnt(1)
	v_mov_b32_e32 v83, v81
.LBB99_66:                              ;   in Loop: Header=BB99_2 Depth=1
	s_or_b64 exec, exec, s[26:27]
	v_add_u32_e32 v87, 1, v85
	v_cndmask_b32_e64 v81, v81, v82, s[24:25]
	v_add_u32_e32 v82, 1, v84
	v_cndmask_b32_e64 v87, v87, v85, s[24:25]
	v_cndmask_b32_e64 v82, v84, v82, s[24:25]
	;; [unrolled: 1-line block ×6, first 2 shown]
	v_cmp_ge_i32_e64 s[14:15], v87, v18
	s_waitcnt lgkmcnt(0)
	v_cmp_lt_u16_sdwa s[16:17], v86, v83 src0_sel:BYTE_0 src1_sel:BYTE_0
	v_lshlrev_b16_e32 v51, 8, v51
	v_cndmask_b32_e64 v59, v59, v60, s[12:13]
	v_cndmask_b32_e64 v57, v57, v58, s[12:13]
	v_cmp_lt_i32_e64 s[12:13], v82, v19
	s_or_b64 s[14:15], s[14:15], s[16:17]
	v_lshlrev_b16_e32 v56, 8, v56
	v_lshlrev_b16_e32 v53, 8, v53
	v_or_b32_sdwa v49, v49, v51 dst_sel:DWORD dst_unused:UNUSED_PAD src0_sel:BYTE_0 src1_sel:DWORD
	v_lshlrev_b16_e32 v51, 8, v52
	s_and_b64 s[12:13], s[12:13], s[14:15]
	v_or_b32_sdwa v54, v54, v56 dst_sel:DWORD dst_unused:UNUSED_PAD src0_sel:BYTE_0 src1_sel:DWORD
	v_or_b32_sdwa v53, v55, v53 dst_sel:WORD_1 dst_unused:UNUSED_PAD src0_sel:BYTE_0 src1_sel:DWORD
	v_or_b32_sdwa v50, v50, v51 dst_sel:WORD_1 dst_unused:UNUSED_PAD src0_sel:BYTE_0 src1_sel:DWORD
	v_cndmask_b32_e64 v58, v87, v82, s[12:13]
	v_or_b32_sdwa v53, v54, v53 dst_sel:DWORD dst_unused:UNUSED_PAD src0_sel:WORD_0 src1_sel:DWORD
	v_or_b32_sdwa v52, v49, v50 dst_sel:DWORD dst_unused:UNUSED_PAD src0_sel:WORD_0 src1_sel:DWORD
	v_cndmask_b32_e64 v84, v85, v84, s[24:25]
	v_cndmask_b32_e64 v77, v77, v78, s[22:23]
	;; [unrolled: 1-line block ×7, first 2 shown]
	s_barrier
	ds_write_b64 v3, v[52:53]
	s_waitcnt lgkmcnt(0)
	s_barrier
	ds_read_u8 v53, v58
	ds_read_u8 v49, v57
	;; [unrolled: 1-line block ×8, first 2 shown]
	v_lshlrev_b16_e32 v57, 8, v61
	v_lshlrev_b16_e32 v58, 8, v69
	v_cndmask_b32_e64 v60, v83, v86, s[12:13]
	v_or_b32_sdwa v57, v59, v57 dst_sel:DWORD dst_unused:UNUSED_PAD src0_sel:BYTE_0 src1_sel:DWORD
	v_or_b32_sdwa v58, v65, v58 dst_sel:WORD_1 dst_unused:UNUSED_PAD src0_sel:BYTE_0 src1_sel:DWORD
	v_lshlrev_b16_e32 v59, 8, v60
	v_or_b32_sdwa v58, v57, v58 dst_sel:DWORD dst_unused:UNUSED_PAD src0_sel:WORD_0 src1_sel:DWORD
	v_lshlrev_b16_e32 v57, 8, v77
	v_or_b32_sdwa v57, v73, v57 dst_sel:DWORD dst_unused:UNUSED_PAD src0_sel:BYTE_0 src1_sel:DWORD
	v_or_b32_sdwa v59, v81, v59 dst_sel:WORD_1 dst_unused:UNUSED_PAD src0_sel:BYTE_0 src1_sel:DWORD
	s_waitcnt lgkmcnt(0)
	v_or_b32_sdwa v59, v57, v59 dst_sel:DWORD dst_unused:UNUSED_PAD src0_sel:WORD_0 src1_sel:DWORD
	s_barrier
	ds_write_b64 v3, v[58:59]
	v_mov_b32_e32 v58, v40
	s_waitcnt lgkmcnt(0)
	s_barrier
	s_and_saveexec_b64 s[14:15], s[2:3]
	s_cbranch_execz .LBB99_70
; %bb.67:                               ;   in Loop: Header=BB99_2 Depth=1
	s_mov_b64 s[16:17], 0
	v_mov_b32_e32 v58, v40
	v_mov_b32_e32 v57, v35
.LBB99_68:                              ;   Parent Loop BB99_2 Depth=1
                                        ; =>  This Inner Loop Header: Depth=2
	v_sub_u32_e32 v59, v57, v58
	v_lshrrev_b32_e32 v60, 31, v59
	v_add_u32_e32 v59, v59, v60
	v_ashrrev_i32_e32 v59, 1, v59
	v_add_u32_e32 v59, v59, v58
	v_not_b32_e32 v61, v59
	v_add_u32_e32 v60, v8, v59
	v_add3_u32 v61, v9, v61, v20
	ds_read_u8 v60, v60
	ds_read_u8 v61, v61
	v_add_u32_e32 v62, 1, v59
	s_waitcnt lgkmcnt(0)
	v_cmp_lt_u16_e64 s[12:13], v61, v60
	s_nop 1
	v_cndmask_b32_e64 v57, v57, v59, s[12:13]
	v_cndmask_b32_e64 v58, v62, v58, s[12:13]
	v_cmp_ge_i32_e64 s[12:13], v58, v57
	s_or_b64 s[16:17], s[12:13], s[16:17]
	s_andn2_b64 exec, exec, s[16:17]
	s_cbranch_execnz .LBB99_68
; %bb.69:                               ;   in Loop: Header=BB99_2 Depth=1
	s_or_b64 exec, exec, s[16:17]
.LBB99_70:                              ;   in Loop: Header=BB99_2 Depth=1
	s_or_b64 exec, exec, s[14:15]
	v_add_u32_e32 v57, v58, v8
	v_sub_u32_e32 v58, v30, v58
	ds_read_u8 v59, v57
	ds_read_u8 v60, v58
	v_cmp_le_i32_e64 s[14:15], v20, v57
	v_cmp_gt_i32_e64 s[12:13], v21, v58
                                        ; implicit-def: $vgpr61
                                        ; implicit-def: $vgpr62
	s_waitcnt lgkmcnt(0)
	v_cmp_lt_u16_sdwa s[16:17], v60, v59 src0_sel:BYTE_0 src1_sel:BYTE_0
	s_or_b64 s[14:15], s[14:15], s[16:17]
	s_and_b64 s[12:13], s[12:13], s[14:15]
	s_xor_b64 s[14:15], s[12:13], -1
	s_and_saveexec_b64 s[16:17], s[14:15]
	s_xor_b64 s[14:15], exec, s[16:17]
	s_cbranch_execz .LBB99_72
; %bb.71:                               ;   in Loop: Header=BB99_2 Depth=1
	ds_read_u8 v62, v57 offset:1
	v_mov_b32_e32 v61, v60
.LBB99_72:                              ;   in Loop: Header=BB99_2 Depth=1
	s_andn2_saveexec_b64 s[14:15], s[14:15]
	s_cbranch_execz .LBB99_74
; %bb.73:                               ;   in Loop: Header=BB99_2 Depth=1
	ds_read_u8 v61, v58 offset:1
	s_waitcnt lgkmcnt(1)
	v_mov_b32_e32 v62, v59
.LBB99_74:                              ;   in Loop: Header=BB99_2 Depth=1
	s_or_b64 exec, exec, s[14:15]
	v_add_u32_e32 v64, 1, v57
	v_add_u32_e32 v63, 1, v58
	v_cndmask_b32_e64 v64, v64, v57, s[12:13]
	v_cndmask_b32_e64 v63, v58, v63, s[12:13]
	v_cmp_ge_i32_e64 s[16:17], v64, v20
	s_waitcnt lgkmcnt(0)
	v_cmp_lt_u16_sdwa s[18:19], v61, v62 src0_sel:BYTE_0 src1_sel:BYTE_0
	v_cmp_lt_i32_e64 s[14:15], v63, v21
	s_or_b64 s[16:17], s[16:17], s[18:19]
	s_and_b64 s[14:15], s[14:15], s[16:17]
	s_xor_b64 s[16:17], s[14:15], -1
                                        ; implicit-def: $vgpr65
	s_and_saveexec_b64 s[18:19], s[16:17]
	s_xor_b64 s[16:17], exec, s[18:19]
	s_cbranch_execz .LBB99_76
; %bb.75:                               ;   in Loop: Header=BB99_2 Depth=1
	ds_read_u8 v65, v64 offset:1
.LBB99_76:                              ;   in Loop: Header=BB99_2 Depth=1
	s_or_saveexec_b64 s[16:17], s[16:17]
	v_mov_b32_e32 v66, v61
	s_xor_b64 exec, exec, s[16:17]
	s_cbranch_execz .LBB99_78
; %bb.77:                               ;   in Loop: Header=BB99_2 Depth=1
	ds_read_u8 v66, v63 offset:1
	s_waitcnt lgkmcnt(1)
	v_mov_b32_e32 v65, v62
.LBB99_78:                              ;   in Loop: Header=BB99_2 Depth=1
	s_or_b64 exec, exec, s[16:17]
	v_add_u32_e32 v68, 1, v64
	v_add_u32_e32 v67, 1, v63
	v_cndmask_b32_e64 v68, v68, v64, s[14:15]
	v_cndmask_b32_e64 v67, v63, v67, s[14:15]
	v_cmp_ge_i32_e64 s[18:19], v68, v20
	s_waitcnt lgkmcnt(0)
	v_cmp_lt_u16_sdwa s[20:21], v66, v65 src0_sel:BYTE_0 src1_sel:BYTE_0
	v_cmp_lt_i32_e64 s[16:17], v67, v21
	s_or_b64 s[18:19], s[18:19], s[20:21]
	s_and_b64 s[16:17], s[16:17], s[18:19]
	s_xor_b64 s[18:19], s[16:17], -1
                                        ; implicit-def: $vgpr69
	s_and_saveexec_b64 s[20:21], s[18:19]
	s_xor_b64 s[18:19], exec, s[20:21]
	s_cbranch_execz .LBB99_80
; %bb.79:                               ;   in Loop: Header=BB99_2 Depth=1
	ds_read_u8 v69, v68 offset:1
.LBB99_80:                              ;   in Loop: Header=BB99_2 Depth=1
	s_or_saveexec_b64 s[18:19], s[18:19]
	v_mov_b32_e32 v70, v66
	s_xor_b64 exec, exec, s[18:19]
	s_cbranch_execz .LBB99_82
; %bb.81:                               ;   in Loop: Header=BB99_2 Depth=1
	ds_read_u8 v70, v67 offset:1
	s_waitcnt lgkmcnt(1)
	v_mov_b32_e32 v69, v65
.LBB99_82:                              ;   in Loop: Header=BB99_2 Depth=1
	s_or_b64 exec, exec, s[18:19]
	v_add_u32_e32 v72, 1, v68
	v_add_u32_e32 v71, 1, v67
	v_cndmask_b32_e64 v72, v72, v68, s[16:17]
	v_cndmask_b32_e64 v71, v67, v71, s[16:17]
	v_cmp_ge_i32_e64 s[20:21], v72, v20
	s_waitcnt lgkmcnt(0)
	v_cmp_lt_u16_sdwa s[22:23], v70, v69 src0_sel:BYTE_0 src1_sel:BYTE_0
	v_cmp_lt_i32_e64 s[18:19], v71, v21
	s_or_b64 s[20:21], s[20:21], s[22:23]
	s_and_b64 s[18:19], s[18:19], s[20:21]
	s_xor_b64 s[20:21], s[18:19], -1
                                        ; implicit-def: $vgpr73
	s_and_saveexec_b64 s[22:23], s[20:21]
	s_xor_b64 s[20:21], exec, s[22:23]
	s_cbranch_execz .LBB99_84
; %bb.83:                               ;   in Loop: Header=BB99_2 Depth=1
	ds_read_u8 v73, v72 offset:1
.LBB99_84:                              ;   in Loop: Header=BB99_2 Depth=1
	s_or_saveexec_b64 s[20:21], s[20:21]
	v_mov_b32_e32 v74, v70
	s_xor_b64 exec, exec, s[20:21]
	s_cbranch_execz .LBB99_86
; %bb.85:                               ;   in Loop: Header=BB99_2 Depth=1
	ds_read_u8 v74, v71 offset:1
	s_waitcnt lgkmcnt(1)
	v_mov_b32_e32 v73, v69
.LBB99_86:                              ;   in Loop: Header=BB99_2 Depth=1
	s_or_b64 exec, exec, s[20:21]
	v_add_u32_e32 v76, 1, v72
	v_add_u32_e32 v75, 1, v71
	v_cndmask_b32_e64 v76, v76, v72, s[18:19]
	v_cndmask_b32_e64 v75, v71, v75, s[18:19]
	v_cmp_ge_i32_e64 s[22:23], v76, v20
	s_waitcnt lgkmcnt(0)
	v_cmp_lt_u16_sdwa s[24:25], v74, v73 src0_sel:BYTE_0 src1_sel:BYTE_0
	v_cmp_lt_i32_e64 s[20:21], v75, v21
	s_or_b64 s[22:23], s[22:23], s[24:25]
	s_and_b64 s[20:21], s[20:21], s[22:23]
	s_xor_b64 s[22:23], s[20:21], -1
                                        ; implicit-def: $vgpr77
	s_and_saveexec_b64 s[24:25], s[22:23]
	s_xor_b64 s[22:23], exec, s[24:25]
	s_cbranch_execz .LBB99_88
; %bb.87:                               ;   in Loop: Header=BB99_2 Depth=1
	ds_read_u8 v77, v76 offset:1
.LBB99_88:                              ;   in Loop: Header=BB99_2 Depth=1
	s_or_saveexec_b64 s[22:23], s[22:23]
	v_mov_b32_e32 v78, v74
	s_xor_b64 exec, exec, s[22:23]
	s_cbranch_execz .LBB99_90
; %bb.89:                               ;   in Loop: Header=BB99_2 Depth=1
	ds_read_u8 v78, v75 offset:1
	s_waitcnt lgkmcnt(1)
	v_mov_b32_e32 v77, v73
.LBB99_90:                              ;   in Loop: Header=BB99_2 Depth=1
	s_or_b64 exec, exec, s[22:23]
	v_add_u32_e32 v80, 1, v76
	v_add_u32_e32 v79, 1, v75
	v_cndmask_b32_e64 v80, v80, v76, s[20:21]
	v_cndmask_b32_e64 v79, v75, v79, s[20:21]
	v_cmp_ge_i32_e64 s[24:25], v80, v20
	s_waitcnt lgkmcnt(0)
	v_cmp_lt_u16_sdwa s[26:27], v78, v77 src0_sel:BYTE_0 src1_sel:BYTE_0
	v_cmp_lt_i32_e64 s[22:23], v79, v21
	s_or_b64 s[24:25], s[24:25], s[26:27]
	s_and_b64 s[22:23], s[22:23], s[24:25]
	s_xor_b64 s[24:25], s[22:23], -1
                                        ; implicit-def: $vgpr81
	s_and_saveexec_b64 s[26:27], s[24:25]
	s_xor_b64 s[24:25], exec, s[26:27]
	s_cbranch_execz .LBB99_92
; %bb.91:                               ;   in Loop: Header=BB99_2 Depth=1
	ds_read_u8 v81, v80 offset:1
.LBB99_92:                              ;   in Loop: Header=BB99_2 Depth=1
	s_or_saveexec_b64 s[24:25], s[24:25]
	v_mov_b32_e32 v82, v78
	s_xor_b64 exec, exec, s[24:25]
	s_cbranch_execz .LBB99_94
; %bb.93:                               ;   in Loop: Header=BB99_2 Depth=1
	ds_read_u8 v82, v79 offset:1
	s_waitcnt lgkmcnt(1)
	v_mov_b32_e32 v81, v77
.LBB99_94:                              ;   in Loop: Header=BB99_2 Depth=1
	s_or_b64 exec, exec, s[24:25]
	v_add_u32_e32 v85, 1, v80
	v_add_u32_e32 v83, 1, v79
	v_cndmask_b32_e64 v85, v85, v80, s[22:23]
	v_cndmask_b32_e64 v84, v79, v83, s[22:23]
	v_cmp_ge_i32_e64 s[26:27], v85, v20
	s_waitcnt lgkmcnt(0)
	v_cmp_lt_u16_sdwa s[28:29], v82, v81 src0_sel:BYTE_0 src1_sel:BYTE_0
	v_cmp_lt_i32_e64 s[24:25], v84, v21
	s_or_b64 s[26:27], s[26:27], s[28:29]
	s_and_b64 s[24:25], s[24:25], s[26:27]
	s_xor_b64 s[26:27], s[24:25], -1
                                        ; implicit-def: $vgpr83
	s_and_saveexec_b64 s[28:29], s[26:27]
	s_xor_b64 s[26:27], exec, s[28:29]
	s_cbranch_execz .LBB99_96
; %bb.95:                               ;   in Loop: Header=BB99_2 Depth=1
	ds_read_u8 v83, v85 offset:1
.LBB99_96:                              ;   in Loop: Header=BB99_2 Depth=1
	s_or_saveexec_b64 s[26:27], s[26:27]
	v_mov_b32_e32 v86, v82
	s_xor_b64 exec, exec, s[26:27]
	s_cbranch_execz .LBB99_98
; %bb.97:                               ;   in Loop: Header=BB99_2 Depth=1
	ds_read_u8 v86, v84 offset:1
	s_waitcnt lgkmcnt(1)
	v_mov_b32_e32 v83, v81
.LBB99_98:                              ;   in Loop: Header=BB99_2 Depth=1
	s_or_b64 exec, exec, s[26:27]
	v_add_u32_e32 v87, 1, v85
	v_cndmask_b32_e64 v81, v81, v82, s[24:25]
	v_add_u32_e32 v82, 1, v84
	v_cndmask_b32_e64 v87, v87, v85, s[24:25]
	v_cndmask_b32_e64 v82, v84, v82, s[24:25]
	;; [unrolled: 1-line block ×6, first 2 shown]
	v_cmp_ge_i32_e64 s[14:15], v87, v20
	s_waitcnt lgkmcnt(0)
	v_cmp_lt_u16_sdwa s[16:17], v86, v83 src0_sel:BYTE_0 src1_sel:BYTE_0
	v_lshlrev_b16_e32 v51, 8, v51
	v_cndmask_b32_e64 v59, v59, v60, s[12:13]
	v_cndmask_b32_e64 v57, v57, v58, s[12:13]
	v_cmp_lt_i32_e64 s[12:13], v82, v21
	s_or_b64 s[14:15], s[14:15], s[16:17]
	v_lshlrev_b16_e32 v56, 8, v56
	v_lshlrev_b16_e32 v53, 8, v53
	v_or_b32_sdwa v49, v49, v51 dst_sel:DWORD dst_unused:UNUSED_PAD src0_sel:BYTE_0 src1_sel:DWORD
	v_lshlrev_b16_e32 v51, 8, v52
	s_and_b64 s[12:13], s[12:13], s[14:15]
	v_or_b32_sdwa v54, v54, v56 dst_sel:DWORD dst_unused:UNUSED_PAD src0_sel:BYTE_0 src1_sel:DWORD
	v_or_b32_sdwa v53, v55, v53 dst_sel:WORD_1 dst_unused:UNUSED_PAD src0_sel:BYTE_0 src1_sel:DWORD
	v_or_b32_sdwa v50, v50, v51 dst_sel:WORD_1 dst_unused:UNUSED_PAD src0_sel:BYTE_0 src1_sel:DWORD
	v_cndmask_b32_e64 v58, v87, v82, s[12:13]
	v_or_b32_sdwa v53, v54, v53 dst_sel:DWORD dst_unused:UNUSED_PAD src0_sel:WORD_0 src1_sel:DWORD
	v_or_b32_sdwa v52, v49, v50 dst_sel:DWORD dst_unused:UNUSED_PAD src0_sel:WORD_0 src1_sel:DWORD
	v_cndmask_b32_e64 v84, v85, v84, s[24:25]
	v_cndmask_b32_e64 v77, v77, v78, s[22:23]
	;; [unrolled: 1-line block ×7, first 2 shown]
	s_barrier
	ds_write_b64 v3, v[52:53]
	s_waitcnt lgkmcnt(0)
	s_barrier
	ds_read_u8 v53, v58
	ds_read_u8 v49, v57
	;; [unrolled: 1-line block ×8, first 2 shown]
	v_lshlrev_b16_e32 v57, 8, v61
	v_lshlrev_b16_e32 v58, 8, v69
	v_cndmask_b32_e64 v60, v83, v86, s[12:13]
	v_or_b32_sdwa v57, v59, v57 dst_sel:DWORD dst_unused:UNUSED_PAD src0_sel:BYTE_0 src1_sel:DWORD
	v_or_b32_sdwa v58, v65, v58 dst_sel:WORD_1 dst_unused:UNUSED_PAD src0_sel:BYTE_0 src1_sel:DWORD
	v_lshlrev_b16_e32 v59, 8, v60
	v_or_b32_sdwa v58, v57, v58 dst_sel:DWORD dst_unused:UNUSED_PAD src0_sel:WORD_0 src1_sel:DWORD
	v_lshlrev_b16_e32 v57, 8, v77
	v_or_b32_sdwa v57, v73, v57 dst_sel:DWORD dst_unused:UNUSED_PAD src0_sel:BYTE_0 src1_sel:DWORD
	v_or_b32_sdwa v59, v81, v59 dst_sel:WORD_1 dst_unused:UNUSED_PAD src0_sel:BYTE_0 src1_sel:DWORD
	s_waitcnt lgkmcnt(0)
	v_or_b32_sdwa v59, v57, v59 dst_sel:DWORD dst_unused:UNUSED_PAD src0_sel:WORD_0 src1_sel:DWORD
	s_barrier
	ds_write_b64 v3, v[58:59]
	v_mov_b32_e32 v58, v41
	s_waitcnt lgkmcnt(0)
	s_barrier
	s_and_saveexec_b64 s[14:15], s[4:5]
	s_cbranch_execz .LBB99_102
; %bb.99:                               ;   in Loop: Header=BB99_2 Depth=1
	s_mov_b64 s[16:17], 0
	v_mov_b32_e32 v58, v41
	v_mov_b32_e32 v57, v36
.LBB99_100:                             ;   Parent Loop BB99_2 Depth=1
                                        ; =>  This Inner Loop Header: Depth=2
	v_sub_u32_e32 v59, v57, v58
	v_lshrrev_b32_e32 v60, 31, v59
	v_add_u32_e32 v59, v59, v60
	v_ashrrev_i32_e32 v59, 1, v59
	v_add_u32_e32 v59, v59, v58
	v_not_b32_e32 v61, v59
	v_add_u32_e32 v60, v10, v59
	v_add3_u32 v61, v11, v61, v22
	ds_read_u8 v60, v60
	ds_read_u8 v61, v61
	v_add_u32_e32 v62, 1, v59
	s_waitcnt lgkmcnt(0)
	v_cmp_lt_u16_e64 s[12:13], v61, v60
	s_nop 1
	v_cndmask_b32_e64 v57, v57, v59, s[12:13]
	v_cndmask_b32_e64 v58, v62, v58, s[12:13]
	v_cmp_ge_i32_e64 s[12:13], v58, v57
	s_or_b64 s[16:17], s[12:13], s[16:17]
	s_andn2_b64 exec, exec, s[16:17]
	s_cbranch_execnz .LBB99_100
; %bb.101:                              ;   in Loop: Header=BB99_2 Depth=1
	s_or_b64 exec, exec, s[16:17]
.LBB99_102:                             ;   in Loop: Header=BB99_2 Depth=1
	s_or_b64 exec, exec, s[14:15]
	v_add_u32_e32 v57, v58, v10
	v_sub_u32_e32 v58, v31, v58
	ds_read_u8 v59, v57
	ds_read_u8 v60, v58
	v_cmp_le_i32_e64 s[14:15], v22, v57
	v_cmp_gt_i32_e64 s[12:13], v23, v58
                                        ; implicit-def: $vgpr61
                                        ; implicit-def: $vgpr62
	s_waitcnt lgkmcnt(0)
	v_cmp_lt_u16_sdwa s[16:17], v60, v59 src0_sel:BYTE_0 src1_sel:BYTE_0
	s_or_b64 s[14:15], s[14:15], s[16:17]
	s_and_b64 s[12:13], s[12:13], s[14:15]
	s_xor_b64 s[14:15], s[12:13], -1
	s_and_saveexec_b64 s[16:17], s[14:15]
	s_xor_b64 s[14:15], exec, s[16:17]
	s_cbranch_execz .LBB99_104
; %bb.103:                              ;   in Loop: Header=BB99_2 Depth=1
	ds_read_u8 v62, v57 offset:1
	v_mov_b32_e32 v61, v60
.LBB99_104:                             ;   in Loop: Header=BB99_2 Depth=1
	s_andn2_saveexec_b64 s[14:15], s[14:15]
	s_cbranch_execz .LBB99_106
; %bb.105:                              ;   in Loop: Header=BB99_2 Depth=1
	ds_read_u8 v61, v58 offset:1
	s_waitcnt lgkmcnt(1)
	v_mov_b32_e32 v62, v59
.LBB99_106:                             ;   in Loop: Header=BB99_2 Depth=1
	s_or_b64 exec, exec, s[14:15]
	v_add_u32_e32 v64, 1, v57
	v_add_u32_e32 v63, 1, v58
	v_cndmask_b32_e64 v64, v64, v57, s[12:13]
	v_cndmask_b32_e64 v63, v58, v63, s[12:13]
	v_cmp_ge_i32_e64 s[16:17], v64, v22
	s_waitcnt lgkmcnt(0)
	v_cmp_lt_u16_sdwa s[18:19], v61, v62 src0_sel:BYTE_0 src1_sel:BYTE_0
	v_cmp_lt_i32_e64 s[14:15], v63, v23
	s_or_b64 s[16:17], s[16:17], s[18:19]
	s_and_b64 s[14:15], s[14:15], s[16:17]
	s_xor_b64 s[16:17], s[14:15], -1
                                        ; implicit-def: $vgpr65
	s_and_saveexec_b64 s[18:19], s[16:17]
	s_xor_b64 s[16:17], exec, s[18:19]
	s_cbranch_execz .LBB99_108
; %bb.107:                              ;   in Loop: Header=BB99_2 Depth=1
	ds_read_u8 v65, v64 offset:1
.LBB99_108:                             ;   in Loop: Header=BB99_2 Depth=1
	s_or_saveexec_b64 s[16:17], s[16:17]
	v_mov_b32_e32 v66, v61
	s_xor_b64 exec, exec, s[16:17]
	s_cbranch_execz .LBB99_110
; %bb.109:                              ;   in Loop: Header=BB99_2 Depth=1
	ds_read_u8 v66, v63 offset:1
	s_waitcnt lgkmcnt(1)
	v_mov_b32_e32 v65, v62
.LBB99_110:                             ;   in Loop: Header=BB99_2 Depth=1
	s_or_b64 exec, exec, s[16:17]
	v_add_u32_e32 v68, 1, v64
	v_add_u32_e32 v67, 1, v63
	v_cndmask_b32_e64 v68, v68, v64, s[14:15]
	v_cndmask_b32_e64 v67, v63, v67, s[14:15]
	v_cmp_ge_i32_e64 s[18:19], v68, v22
	s_waitcnt lgkmcnt(0)
	v_cmp_lt_u16_sdwa s[20:21], v66, v65 src0_sel:BYTE_0 src1_sel:BYTE_0
	v_cmp_lt_i32_e64 s[16:17], v67, v23
	s_or_b64 s[18:19], s[18:19], s[20:21]
	s_and_b64 s[16:17], s[16:17], s[18:19]
	s_xor_b64 s[18:19], s[16:17], -1
                                        ; implicit-def: $vgpr69
	s_and_saveexec_b64 s[20:21], s[18:19]
	s_xor_b64 s[18:19], exec, s[20:21]
	s_cbranch_execz .LBB99_112
; %bb.111:                              ;   in Loop: Header=BB99_2 Depth=1
	ds_read_u8 v69, v68 offset:1
.LBB99_112:                             ;   in Loop: Header=BB99_2 Depth=1
	s_or_saveexec_b64 s[18:19], s[18:19]
	v_mov_b32_e32 v70, v66
	s_xor_b64 exec, exec, s[18:19]
	s_cbranch_execz .LBB99_114
; %bb.113:                              ;   in Loop: Header=BB99_2 Depth=1
	ds_read_u8 v70, v67 offset:1
	s_waitcnt lgkmcnt(1)
	v_mov_b32_e32 v69, v65
.LBB99_114:                             ;   in Loop: Header=BB99_2 Depth=1
	s_or_b64 exec, exec, s[18:19]
	v_add_u32_e32 v72, 1, v68
	v_add_u32_e32 v71, 1, v67
	v_cndmask_b32_e64 v72, v72, v68, s[16:17]
	v_cndmask_b32_e64 v71, v67, v71, s[16:17]
	v_cmp_ge_i32_e64 s[20:21], v72, v22
	s_waitcnt lgkmcnt(0)
	v_cmp_lt_u16_sdwa s[22:23], v70, v69 src0_sel:BYTE_0 src1_sel:BYTE_0
	v_cmp_lt_i32_e64 s[18:19], v71, v23
	s_or_b64 s[20:21], s[20:21], s[22:23]
	s_and_b64 s[18:19], s[18:19], s[20:21]
	s_xor_b64 s[20:21], s[18:19], -1
                                        ; implicit-def: $vgpr73
	s_and_saveexec_b64 s[22:23], s[20:21]
	s_xor_b64 s[20:21], exec, s[22:23]
	s_cbranch_execz .LBB99_116
; %bb.115:                              ;   in Loop: Header=BB99_2 Depth=1
	ds_read_u8 v73, v72 offset:1
.LBB99_116:                             ;   in Loop: Header=BB99_2 Depth=1
	s_or_saveexec_b64 s[20:21], s[20:21]
	v_mov_b32_e32 v74, v70
	s_xor_b64 exec, exec, s[20:21]
	s_cbranch_execz .LBB99_118
; %bb.117:                              ;   in Loop: Header=BB99_2 Depth=1
	ds_read_u8 v74, v71 offset:1
	s_waitcnt lgkmcnt(1)
	v_mov_b32_e32 v73, v69
.LBB99_118:                             ;   in Loop: Header=BB99_2 Depth=1
	s_or_b64 exec, exec, s[20:21]
	v_add_u32_e32 v76, 1, v72
	v_add_u32_e32 v75, 1, v71
	v_cndmask_b32_e64 v76, v76, v72, s[18:19]
	v_cndmask_b32_e64 v75, v71, v75, s[18:19]
	v_cmp_ge_i32_e64 s[22:23], v76, v22
	s_waitcnt lgkmcnt(0)
	v_cmp_lt_u16_sdwa s[24:25], v74, v73 src0_sel:BYTE_0 src1_sel:BYTE_0
	v_cmp_lt_i32_e64 s[20:21], v75, v23
	s_or_b64 s[22:23], s[22:23], s[24:25]
	s_and_b64 s[20:21], s[20:21], s[22:23]
	s_xor_b64 s[22:23], s[20:21], -1
                                        ; implicit-def: $vgpr77
	s_and_saveexec_b64 s[24:25], s[22:23]
	s_xor_b64 s[22:23], exec, s[24:25]
	s_cbranch_execz .LBB99_120
; %bb.119:                              ;   in Loop: Header=BB99_2 Depth=1
	ds_read_u8 v77, v76 offset:1
.LBB99_120:                             ;   in Loop: Header=BB99_2 Depth=1
	s_or_saveexec_b64 s[22:23], s[22:23]
	v_mov_b32_e32 v78, v74
	s_xor_b64 exec, exec, s[22:23]
	s_cbranch_execz .LBB99_122
; %bb.121:                              ;   in Loop: Header=BB99_2 Depth=1
	ds_read_u8 v78, v75 offset:1
	s_waitcnt lgkmcnt(1)
	v_mov_b32_e32 v77, v73
.LBB99_122:                             ;   in Loop: Header=BB99_2 Depth=1
	s_or_b64 exec, exec, s[22:23]
	v_add_u32_e32 v80, 1, v76
	v_add_u32_e32 v79, 1, v75
	v_cndmask_b32_e64 v80, v80, v76, s[20:21]
	v_cndmask_b32_e64 v79, v75, v79, s[20:21]
	v_cmp_ge_i32_e64 s[24:25], v80, v22
	s_waitcnt lgkmcnt(0)
	v_cmp_lt_u16_sdwa s[26:27], v78, v77 src0_sel:BYTE_0 src1_sel:BYTE_0
	v_cmp_lt_i32_e64 s[22:23], v79, v23
	s_or_b64 s[24:25], s[24:25], s[26:27]
	s_and_b64 s[22:23], s[22:23], s[24:25]
	s_xor_b64 s[24:25], s[22:23], -1
                                        ; implicit-def: $vgpr81
	s_and_saveexec_b64 s[26:27], s[24:25]
	s_xor_b64 s[24:25], exec, s[26:27]
	s_cbranch_execz .LBB99_124
; %bb.123:                              ;   in Loop: Header=BB99_2 Depth=1
	ds_read_u8 v81, v80 offset:1
.LBB99_124:                             ;   in Loop: Header=BB99_2 Depth=1
	s_or_saveexec_b64 s[24:25], s[24:25]
	v_mov_b32_e32 v82, v78
	s_xor_b64 exec, exec, s[24:25]
	s_cbranch_execz .LBB99_126
; %bb.125:                              ;   in Loop: Header=BB99_2 Depth=1
	ds_read_u8 v82, v79 offset:1
	s_waitcnt lgkmcnt(1)
	v_mov_b32_e32 v81, v77
.LBB99_126:                             ;   in Loop: Header=BB99_2 Depth=1
	s_or_b64 exec, exec, s[24:25]
	v_add_u32_e32 v85, 1, v80
	v_add_u32_e32 v83, 1, v79
	v_cndmask_b32_e64 v85, v85, v80, s[22:23]
	v_cndmask_b32_e64 v84, v79, v83, s[22:23]
	v_cmp_ge_i32_e64 s[26:27], v85, v22
	s_waitcnt lgkmcnt(0)
	v_cmp_lt_u16_sdwa s[28:29], v82, v81 src0_sel:BYTE_0 src1_sel:BYTE_0
	v_cmp_lt_i32_e64 s[24:25], v84, v23
	s_or_b64 s[26:27], s[26:27], s[28:29]
	s_and_b64 s[24:25], s[24:25], s[26:27]
	s_xor_b64 s[26:27], s[24:25], -1
                                        ; implicit-def: $vgpr83
	s_and_saveexec_b64 s[28:29], s[26:27]
	s_xor_b64 s[26:27], exec, s[28:29]
	s_cbranch_execz .LBB99_128
; %bb.127:                              ;   in Loop: Header=BB99_2 Depth=1
	ds_read_u8 v83, v85 offset:1
.LBB99_128:                             ;   in Loop: Header=BB99_2 Depth=1
	s_or_saveexec_b64 s[26:27], s[26:27]
	v_mov_b32_e32 v86, v82
	s_xor_b64 exec, exec, s[26:27]
	s_cbranch_execz .LBB99_130
; %bb.129:                              ;   in Loop: Header=BB99_2 Depth=1
	ds_read_u8 v86, v84 offset:1
	s_waitcnt lgkmcnt(1)
	v_mov_b32_e32 v83, v81
.LBB99_130:                             ;   in Loop: Header=BB99_2 Depth=1
	s_or_b64 exec, exec, s[26:27]
	v_add_u32_e32 v87, 1, v85
	v_cndmask_b32_e64 v81, v81, v82, s[24:25]
	v_add_u32_e32 v82, 1, v84
	v_cndmask_b32_e64 v87, v87, v85, s[24:25]
	v_cndmask_b32_e64 v82, v84, v82, s[24:25]
	;; [unrolled: 1-line block ×6, first 2 shown]
	v_cmp_ge_i32_e64 s[14:15], v87, v22
	s_waitcnt lgkmcnt(0)
	v_cmp_lt_u16_sdwa s[16:17], v86, v83 src0_sel:BYTE_0 src1_sel:BYTE_0
	v_lshlrev_b16_e32 v51, 8, v51
	v_cndmask_b32_e64 v59, v59, v60, s[12:13]
	v_cndmask_b32_e64 v57, v57, v58, s[12:13]
	v_cmp_lt_i32_e64 s[12:13], v82, v23
	s_or_b64 s[14:15], s[14:15], s[16:17]
	v_lshlrev_b16_e32 v56, 8, v56
	v_lshlrev_b16_e32 v53, 8, v53
	v_or_b32_sdwa v49, v49, v51 dst_sel:DWORD dst_unused:UNUSED_PAD src0_sel:BYTE_0 src1_sel:DWORD
	v_lshlrev_b16_e32 v51, 8, v52
	s_and_b64 s[12:13], s[12:13], s[14:15]
	v_or_b32_sdwa v54, v54, v56 dst_sel:DWORD dst_unused:UNUSED_PAD src0_sel:BYTE_0 src1_sel:DWORD
	v_or_b32_sdwa v53, v55, v53 dst_sel:WORD_1 dst_unused:UNUSED_PAD src0_sel:BYTE_0 src1_sel:DWORD
	v_or_b32_sdwa v50, v50, v51 dst_sel:WORD_1 dst_unused:UNUSED_PAD src0_sel:BYTE_0 src1_sel:DWORD
	v_cndmask_b32_e64 v58, v87, v82, s[12:13]
	v_or_b32_sdwa v53, v54, v53 dst_sel:DWORD dst_unused:UNUSED_PAD src0_sel:WORD_0 src1_sel:DWORD
	v_or_b32_sdwa v52, v49, v50 dst_sel:DWORD dst_unused:UNUSED_PAD src0_sel:WORD_0 src1_sel:DWORD
	v_cndmask_b32_e64 v84, v85, v84, s[24:25]
	v_cndmask_b32_e64 v77, v77, v78, s[22:23]
	;; [unrolled: 1-line block ×7, first 2 shown]
	s_barrier
	ds_write_b64 v3, v[52:53]
	s_waitcnt lgkmcnt(0)
	s_barrier
	ds_read_u8 v53, v58
	ds_read_u8 v49, v57
	;; [unrolled: 1-line block ×8, first 2 shown]
	v_lshlrev_b16_e32 v57, 8, v61
	v_lshlrev_b16_e32 v58, 8, v69
	v_cndmask_b32_e64 v60, v83, v86, s[12:13]
	v_or_b32_sdwa v57, v59, v57 dst_sel:DWORD dst_unused:UNUSED_PAD src0_sel:BYTE_0 src1_sel:DWORD
	v_or_b32_sdwa v58, v65, v58 dst_sel:WORD_1 dst_unused:UNUSED_PAD src0_sel:BYTE_0 src1_sel:DWORD
	v_lshlrev_b16_e32 v59, 8, v60
	v_or_b32_sdwa v58, v57, v58 dst_sel:DWORD dst_unused:UNUSED_PAD src0_sel:WORD_0 src1_sel:DWORD
	v_lshlrev_b16_e32 v57, 8, v77
	v_or_b32_sdwa v57, v73, v57 dst_sel:DWORD dst_unused:UNUSED_PAD src0_sel:BYTE_0 src1_sel:DWORD
	v_or_b32_sdwa v59, v81, v59 dst_sel:WORD_1 dst_unused:UNUSED_PAD src0_sel:BYTE_0 src1_sel:DWORD
	s_waitcnt lgkmcnt(0)
	v_or_b32_sdwa v59, v57, v59 dst_sel:DWORD dst_unused:UNUSED_PAD src0_sel:WORD_0 src1_sel:DWORD
	s_barrier
	ds_write_b64 v3, v[58:59]
	v_mov_b32_e32 v58, v42
	s_waitcnt lgkmcnt(0)
	s_barrier
	s_and_saveexec_b64 s[14:15], s[6:7]
	s_cbranch_execz .LBB99_134
; %bb.131:                              ;   in Loop: Header=BB99_2 Depth=1
	s_mov_b64 s[16:17], 0
	v_mov_b32_e32 v58, v42
	v_mov_b32_e32 v57, v37
.LBB99_132:                             ;   Parent Loop BB99_2 Depth=1
                                        ; =>  This Inner Loop Header: Depth=2
	v_sub_u32_e32 v59, v57, v58
	v_lshrrev_b32_e32 v60, 31, v59
	v_add_u32_e32 v59, v59, v60
	v_ashrrev_i32_e32 v59, 1, v59
	v_add_u32_e32 v59, v59, v58
	v_not_b32_e32 v61, v59
	v_add_u32_e32 v60, v12, v59
	v_add3_u32 v61, v13, v61, v24
	ds_read_u8 v60, v60
	ds_read_u8 v61, v61
	v_add_u32_e32 v62, 1, v59
	s_waitcnt lgkmcnt(0)
	v_cmp_lt_u16_e64 s[12:13], v61, v60
	s_nop 1
	v_cndmask_b32_e64 v57, v57, v59, s[12:13]
	v_cndmask_b32_e64 v58, v62, v58, s[12:13]
	v_cmp_ge_i32_e64 s[12:13], v58, v57
	s_or_b64 s[16:17], s[12:13], s[16:17]
	s_andn2_b64 exec, exec, s[16:17]
	s_cbranch_execnz .LBB99_132
; %bb.133:                              ;   in Loop: Header=BB99_2 Depth=1
	s_or_b64 exec, exec, s[16:17]
.LBB99_134:                             ;   in Loop: Header=BB99_2 Depth=1
	s_or_b64 exec, exec, s[14:15]
	v_add_u32_e32 v57, v58, v12
	v_sub_u32_e32 v58, v32, v58
	ds_read_u8 v59, v57
	ds_read_u8 v60, v58
	v_cmp_le_i32_e64 s[14:15], v24, v57
	v_cmp_gt_i32_e64 s[12:13], v25, v58
                                        ; implicit-def: $vgpr61
                                        ; implicit-def: $vgpr62
	s_waitcnt lgkmcnt(0)
	v_cmp_lt_u16_sdwa s[16:17], v60, v59 src0_sel:BYTE_0 src1_sel:BYTE_0
	s_or_b64 s[14:15], s[14:15], s[16:17]
	s_and_b64 s[12:13], s[12:13], s[14:15]
	s_xor_b64 s[14:15], s[12:13], -1
	s_and_saveexec_b64 s[16:17], s[14:15]
	s_xor_b64 s[14:15], exec, s[16:17]
	s_cbranch_execz .LBB99_136
; %bb.135:                              ;   in Loop: Header=BB99_2 Depth=1
	ds_read_u8 v62, v57 offset:1
	v_mov_b32_e32 v61, v60
.LBB99_136:                             ;   in Loop: Header=BB99_2 Depth=1
	s_andn2_saveexec_b64 s[14:15], s[14:15]
	s_cbranch_execz .LBB99_138
; %bb.137:                              ;   in Loop: Header=BB99_2 Depth=1
	ds_read_u8 v61, v58 offset:1
	s_waitcnt lgkmcnt(1)
	v_mov_b32_e32 v62, v59
.LBB99_138:                             ;   in Loop: Header=BB99_2 Depth=1
	s_or_b64 exec, exec, s[14:15]
	v_add_u32_e32 v64, 1, v57
	v_add_u32_e32 v63, 1, v58
	v_cndmask_b32_e64 v64, v64, v57, s[12:13]
	v_cndmask_b32_e64 v63, v58, v63, s[12:13]
	v_cmp_ge_i32_e64 s[16:17], v64, v24
	s_waitcnt lgkmcnt(0)
	v_cmp_lt_u16_sdwa s[18:19], v61, v62 src0_sel:BYTE_0 src1_sel:BYTE_0
	v_cmp_lt_i32_e64 s[14:15], v63, v25
	s_or_b64 s[16:17], s[16:17], s[18:19]
	s_and_b64 s[14:15], s[14:15], s[16:17]
	s_xor_b64 s[16:17], s[14:15], -1
                                        ; implicit-def: $vgpr65
	s_and_saveexec_b64 s[18:19], s[16:17]
	s_xor_b64 s[16:17], exec, s[18:19]
	s_cbranch_execz .LBB99_140
; %bb.139:                              ;   in Loop: Header=BB99_2 Depth=1
	ds_read_u8 v65, v64 offset:1
.LBB99_140:                             ;   in Loop: Header=BB99_2 Depth=1
	s_or_saveexec_b64 s[16:17], s[16:17]
	v_mov_b32_e32 v66, v61
	s_xor_b64 exec, exec, s[16:17]
	s_cbranch_execz .LBB99_142
; %bb.141:                              ;   in Loop: Header=BB99_2 Depth=1
	ds_read_u8 v66, v63 offset:1
	s_waitcnt lgkmcnt(1)
	v_mov_b32_e32 v65, v62
.LBB99_142:                             ;   in Loop: Header=BB99_2 Depth=1
	s_or_b64 exec, exec, s[16:17]
	v_add_u32_e32 v68, 1, v64
	v_add_u32_e32 v67, 1, v63
	v_cndmask_b32_e64 v68, v68, v64, s[14:15]
	v_cndmask_b32_e64 v67, v63, v67, s[14:15]
	v_cmp_ge_i32_e64 s[18:19], v68, v24
	s_waitcnt lgkmcnt(0)
	v_cmp_lt_u16_sdwa s[20:21], v66, v65 src0_sel:BYTE_0 src1_sel:BYTE_0
	v_cmp_lt_i32_e64 s[16:17], v67, v25
	s_or_b64 s[18:19], s[18:19], s[20:21]
	s_and_b64 s[16:17], s[16:17], s[18:19]
	s_xor_b64 s[18:19], s[16:17], -1
                                        ; implicit-def: $vgpr69
	s_and_saveexec_b64 s[20:21], s[18:19]
	s_xor_b64 s[18:19], exec, s[20:21]
	s_cbranch_execz .LBB99_144
; %bb.143:                              ;   in Loop: Header=BB99_2 Depth=1
	ds_read_u8 v69, v68 offset:1
.LBB99_144:                             ;   in Loop: Header=BB99_2 Depth=1
	s_or_saveexec_b64 s[18:19], s[18:19]
	v_mov_b32_e32 v70, v66
	s_xor_b64 exec, exec, s[18:19]
	s_cbranch_execz .LBB99_146
; %bb.145:                              ;   in Loop: Header=BB99_2 Depth=1
	ds_read_u8 v70, v67 offset:1
	s_waitcnt lgkmcnt(1)
	v_mov_b32_e32 v69, v65
.LBB99_146:                             ;   in Loop: Header=BB99_2 Depth=1
	s_or_b64 exec, exec, s[18:19]
	v_add_u32_e32 v72, 1, v68
	v_add_u32_e32 v71, 1, v67
	v_cndmask_b32_e64 v72, v72, v68, s[16:17]
	v_cndmask_b32_e64 v71, v67, v71, s[16:17]
	v_cmp_ge_i32_e64 s[20:21], v72, v24
	s_waitcnt lgkmcnt(0)
	v_cmp_lt_u16_sdwa s[22:23], v70, v69 src0_sel:BYTE_0 src1_sel:BYTE_0
	v_cmp_lt_i32_e64 s[18:19], v71, v25
	s_or_b64 s[20:21], s[20:21], s[22:23]
	s_and_b64 s[18:19], s[18:19], s[20:21]
	s_xor_b64 s[20:21], s[18:19], -1
                                        ; implicit-def: $vgpr73
	s_and_saveexec_b64 s[22:23], s[20:21]
	s_xor_b64 s[20:21], exec, s[22:23]
	s_cbranch_execz .LBB99_148
; %bb.147:                              ;   in Loop: Header=BB99_2 Depth=1
	ds_read_u8 v73, v72 offset:1
.LBB99_148:                             ;   in Loop: Header=BB99_2 Depth=1
	s_or_saveexec_b64 s[20:21], s[20:21]
	v_mov_b32_e32 v74, v70
	s_xor_b64 exec, exec, s[20:21]
	s_cbranch_execz .LBB99_150
; %bb.149:                              ;   in Loop: Header=BB99_2 Depth=1
	ds_read_u8 v74, v71 offset:1
	s_waitcnt lgkmcnt(1)
	v_mov_b32_e32 v73, v69
.LBB99_150:                             ;   in Loop: Header=BB99_2 Depth=1
	s_or_b64 exec, exec, s[20:21]
	v_add_u32_e32 v76, 1, v72
	v_add_u32_e32 v75, 1, v71
	v_cndmask_b32_e64 v76, v76, v72, s[18:19]
	v_cndmask_b32_e64 v75, v71, v75, s[18:19]
	v_cmp_ge_i32_e64 s[22:23], v76, v24
	s_waitcnt lgkmcnt(0)
	v_cmp_lt_u16_sdwa s[24:25], v74, v73 src0_sel:BYTE_0 src1_sel:BYTE_0
	v_cmp_lt_i32_e64 s[20:21], v75, v25
	s_or_b64 s[22:23], s[22:23], s[24:25]
	s_and_b64 s[20:21], s[20:21], s[22:23]
	s_xor_b64 s[22:23], s[20:21], -1
                                        ; implicit-def: $vgpr77
	s_and_saveexec_b64 s[24:25], s[22:23]
	s_xor_b64 s[22:23], exec, s[24:25]
	s_cbranch_execz .LBB99_152
; %bb.151:                              ;   in Loop: Header=BB99_2 Depth=1
	ds_read_u8 v77, v76 offset:1
.LBB99_152:                             ;   in Loop: Header=BB99_2 Depth=1
	s_or_saveexec_b64 s[22:23], s[22:23]
	v_mov_b32_e32 v78, v74
	s_xor_b64 exec, exec, s[22:23]
	s_cbranch_execz .LBB99_154
; %bb.153:                              ;   in Loop: Header=BB99_2 Depth=1
	ds_read_u8 v78, v75 offset:1
	s_waitcnt lgkmcnt(1)
	v_mov_b32_e32 v77, v73
.LBB99_154:                             ;   in Loop: Header=BB99_2 Depth=1
	s_or_b64 exec, exec, s[22:23]
	v_add_u32_e32 v80, 1, v76
	v_add_u32_e32 v79, 1, v75
	v_cndmask_b32_e64 v80, v80, v76, s[20:21]
	v_cndmask_b32_e64 v79, v75, v79, s[20:21]
	v_cmp_ge_i32_e64 s[24:25], v80, v24
	s_waitcnt lgkmcnt(0)
	v_cmp_lt_u16_sdwa s[26:27], v78, v77 src0_sel:BYTE_0 src1_sel:BYTE_0
	v_cmp_lt_i32_e64 s[22:23], v79, v25
	s_or_b64 s[24:25], s[24:25], s[26:27]
	s_and_b64 s[22:23], s[22:23], s[24:25]
	s_xor_b64 s[24:25], s[22:23], -1
                                        ; implicit-def: $vgpr81
	s_and_saveexec_b64 s[26:27], s[24:25]
	s_xor_b64 s[24:25], exec, s[26:27]
	s_cbranch_execz .LBB99_156
; %bb.155:                              ;   in Loop: Header=BB99_2 Depth=1
	ds_read_u8 v81, v80 offset:1
.LBB99_156:                             ;   in Loop: Header=BB99_2 Depth=1
	s_or_saveexec_b64 s[24:25], s[24:25]
	v_mov_b32_e32 v82, v78
	s_xor_b64 exec, exec, s[24:25]
	s_cbranch_execz .LBB99_158
; %bb.157:                              ;   in Loop: Header=BB99_2 Depth=1
	ds_read_u8 v82, v79 offset:1
	s_waitcnt lgkmcnt(1)
	v_mov_b32_e32 v81, v77
.LBB99_158:                             ;   in Loop: Header=BB99_2 Depth=1
	s_or_b64 exec, exec, s[24:25]
	v_add_u32_e32 v85, 1, v80
	v_add_u32_e32 v83, 1, v79
	v_cndmask_b32_e64 v85, v85, v80, s[22:23]
	v_cndmask_b32_e64 v84, v79, v83, s[22:23]
	v_cmp_ge_i32_e64 s[26:27], v85, v24
	s_waitcnt lgkmcnt(0)
	v_cmp_lt_u16_sdwa s[28:29], v82, v81 src0_sel:BYTE_0 src1_sel:BYTE_0
	v_cmp_lt_i32_e64 s[24:25], v84, v25
	s_or_b64 s[26:27], s[26:27], s[28:29]
	s_and_b64 s[24:25], s[24:25], s[26:27]
	s_xor_b64 s[26:27], s[24:25], -1
                                        ; implicit-def: $vgpr83
	s_and_saveexec_b64 s[28:29], s[26:27]
	s_xor_b64 s[26:27], exec, s[28:29]
	s_cbranch_execz .LBB99_160
; %bb.159:                              ;   in Loop: Header=BB99_2 Depth=1
	ds_read_u8 v83, v85 offset:1
.LBB99_160:                             ;   in Loop: Header=BB99_2 Depth=1
	s_or_saveexec_b64 s[26:27], s[26:27]
	v_mov_b32_e32 v86, v82
	s_xor_b64 exec, exec, s[26:27]
	s_cbranch_execz .LBB99_162
; %bb.161:                              ;   in Loop: Header=BB99_2 Depth=1
	ds_read_u8 v86, v84 offset:1
	s_waitcnt lgkmcnt(1)
	v_mov_b32_e32 v83, v81
.LBB99_162:                             ;   in Loop: Header=BB99_2 Depth=1
	s_or_b64 exec, exec, s[26:27]
	v_add_u32_e32 v87, 1, v85
	v_cndmask_b32_e64 v81, v81, v82, s[24:25]
	v_add_u32_e32 v82, 1, v84
	v_cndmask_b32_e64 v87, v87, v85, s[24:25]
	v_cndmask_b32_e64 v82, v84, v82, s[24:25]
	;; [unrolled: 1-line block ×6, first 2 shown]
	v_cmp_ge_i32_e64 s[14:15], v87, v24
	s_waitcnt lgkmcnt(0)
	v_cmp_lt_u16_sdwa s[16:17], v86, v83 src0_sel:BYTE_0 src1_sel:BYTE_0
	v_lshlrev_b16_e32 v51, 8, v51
	v_cndmask_b32_e64 v59, v59, v60, s[12:13]
	v_cndmask_b32_e64 v57, v57, v58, s[12:13]
	v_cmp_lt_i32_e64 s[12:13], v82, v25
	s_or_b64 s[14:15], s[14:15], s[16:17]
	v_lshlrev_b16_e32 v56, 8, v56
	v_lshlrev_b16_e32 v53, 8, v53
	v_or_b32_sdwa v49, v49, v51 dst_sel:DWORD dst_unused:UNUSED_PAD src0_sel:BYTE_0 src1_sel:DWORD
	v_lshlrev_b16_e32 v51, 8, v52
	s_and_b64 s[12:13], s[12:13], s[14:15]
	v_or_b32_sdwa v54, v54, v56 dst_sel:DWORD dst_unused:UNUSED_PAD src0_sel:BYTE_0 src1_sel:DWORD
	v_or_b32_sdwa v53, v55, v53 dst_sel:WORD_1 dst_unused:UNUSED_PAD src0_sel:BYTE_0 src1_sel:DWORD
	v_or_b32_sdwa v50, v50, v51 dst_sel:WORD_1 dst_unused:UNUSED_PAD src0_sel:BYTE_0 src1_sel:DWORD
	v_cndmask_b32_e64 v58, v87, v82, s[12:13]
	v_or_b32_sdwa v53, v54, v53 dst_sel:DWORD dst_unused:UNUSED_PAD src0_sel:WORD_0 src1_sel:DWORD
	v_or_b32_sdwa v52, v49, v50 dst_sel:DWORD dst_unused:UNUSED_PAD src0_sel:WORD_0 src1_sel:DWORD
	v_cndmask_b32_e64 v84, v85, v84, s[24:25]
	v_cndmask_b32_e64 v77, v77, v78, s[22:23]
	;; [unrolled: 1-line block ×7, first 2 shown]
	s_barrier
	ds_write_b64 v3, v[52:53]
	s_waitcnt lgkmcnt(0)
	s_barrier
	ds_read_u8 v53, v58
	ds_read_u8 v49, v57
	;; [unrolled: 1-line block ×8, first 2 shown]
	v_lshlrev_b16_e32 v57, 8, v61
	v_lshlrev_b16_e32 v58, 8, v69
	v_cndmask_b32_e64 v60, v83, v86, s[12:13]
	v_or_b32_sdwa v57, v59, v57 dst_sel:DWORD dst_unused:UNUSED_PAD src0_sel:BYTE_0 src1_sel:DWORD
	v_or_b32_sdwa v58, v65, v58 dst_sel:WORD_1 dst_unused:UNUSED_PAD src0_sel:BYTE_0 src1_sel:DWORD
	v_lshlrev_b16_e32 v59, 8, v60
	v_or_b32_sdwa v58, v57, v58 dst_sel:DWORD dst_unused:UNUSED_PAD src0_sel:WORD_0 src1_sel:DWORD
	v_lshlrev_b16_e32 v57, 8, v77
	v_or_b32_sdwa v57, v73, v57 dst_sel:DWORD dst_unused:UNUSED_PAD src0_sel:BYTE_0 src1_sel:DWORD
	v_or_b32_sdwa v59, v81, v59 dst_sel:WORD_1 dst_unused:UNUSED_PAD src0_sel:BYTE_0 src1_sel:DWORD
	s_waitcnt lgkmcnt(0)
	v_or_b32_sdwa v59, v57, v59 dst_sel:DWORD dst_unused:UNUSED_PAD src0_sel:WORD_0 src1_sel:DWORD
	s_barrier
	ds_write_b64 v3, v[58:59]
	v_mov_b32_e32 v58, v43
	s_waitcnt lgkmcnt(0)
	s_barrier
	s_and_saveexec_b64 s[14:15], s[8:9]
	s_cbranch_execz .LBB99_166
; %bb.163:                              ;   in Loop: Header=BB99_2 Depth=1
	s_mov_b64 s[16:17], 0
	v_mov_b32_e32 v58, v43
	v_mov_b32_e32 v57, v44
.LBB99_164:                             ;   Parent Loop BB99_2 Depth=1
                                        ; =>  This Inner Loop Header: Depth=2
	v_sub_u32_e32 v59, v57, v58
	v_lshrrev_b32_e32 v60, 31, v59
	v_add_u32_e32 v59, v59, v60
	v_ashrrev_i32_e32 v59, 1, v59
	v_add_u32_e32 v59, v59, v58
	v_not_b32_e32 v61, v59
	v_add_u32_e32 v60, v14, v59
	v_add3_u32 v61, v15, v61, v26
	ds_read_u8 v60, v60
	ds_read_u8 v61, v61
	v_add_u32_e32 v62, 1, v59
	s_waitcnt lgkmcnt(0)
	v_cmp_lt_u16_e64 s[12:13], v61, v60
	s_nop 1
	v_cndmask_b32_e64 v57, v57, v59, s[12:13]
	v_cndmask_b32_e64 v58, v62, v58, s[12:13]
	v_cmp_ge_i32_e64 s[12:13], v58, v57
	s_or_b64 s[16:17], s[12:13], s[16:17]
	s_andn2_b64 exec, exec, s[16:17]
	s_cbranch_execnz .LBB99_164
; %bb.165:                              ;   in Loop: Header=BB99_2 Depth=1
	s_or_b64 exec, exec, s[16:17]
.LBB99_166:                             ;   in Loop: Header=BB99_2 Depth=1
	s_or_b64 exec, exec, s[14:15]
	v_add_u32_e32 v57, v58, v14
	v_sub_u32_e32 v58, v45, v58
	ds_read_u8 v59, v57
	ds_read_u8 v60, v58
	v_cmp_le_i32_e64 s[14:15], v26, v57
	v_cmp_gt_i32_e64 s[12:13], v27, v58
                                        ; implicit-def: $vgpr61
                                        ; implicit-def: $vgpr62
	s_waitcnt lgkmcnt(0)
	v_cmp_lt_u16_sdwa s[16:17], v60, v59 src0_sel:BYTE_0 src1_sel:BYTE_0
	s_or_b64 s[14:15], s[14:15], s[16:17]
	s_and_b64 s[12:13], s[12:13], s[14:15]
	s_xor_b64 s[14:15], s[12:13], -1
	s_and_saveexec_b64 s[16:17], s[14:15]
	s_xor_b64 s[14:15], exec, s[16:17]
	s_cbranch_execz .LBB99_168
; %bb.167:                              ;   in Loop: Header=BB99_2 Depth=1
	ds_read_u8 v62, v57 offset:1
	v_mov_b32_e32 v61, v60
.LBB99_168:                             ;   in Loop: Header=BB99_2 Depth=1
	s_andn2_saveexec_b64 s[14:15], s[14:15]
	s_cbranch_execz .LBB99_170
; %bb.169:                              ;   in Loop: Header=BB99_2 Depth=1
	ds_read_u8 v61, v58 offset:1
	s_waitcnt lgkmcnt(1)
	v_mov_b32_e32 v62, v59
.LBB99_170:                             ;   in Loop: Header=BB99_2 Depth=1
	s_or_b64 exec, exec, s[14:15]
	v_add_u32_e32 v64, 1, v57
	v_add_u32_e32 v63, 1, v58
	v_cndmask_b32_e64 v64, v64, v57, s[12:13]
	v_cndmask_b32_e64 v63, v58, v63, s[12:13]
	v_cmp_ge_i32_e64 s[16:17], v64, v26
	s_waitcnt lgkmcnt(0)
	v_cmp_lt_u16_sdwa s[18:19], v61, v62 src0_sel:BYTE_0 src1_sel:BYTE_0
	v_cmp_lt_i32_e64 s[14:15], v63, v27
	s_or_b64 s[16:17], s[16:17], s[18:19]
	s_and_b64 s[14:15], s[14:15], s[16:17]
	s_xor_b64 s[16:17], s[14:15], -1
                                        ; implicit-def: $vgpr65
	s_and_saveexec_b64 s[18:19], s[16:17]
	s_xor_b64 s[16:17], exec, s[18:19]
	s_cbranch_execz .LBB99_172
; %bb.171:                              ;   in Loop: Header=BB99_2 Depth=1
	ds_read_u8 v65, v64 offset:1
.LBB99_172:                             ;   in Loop: Header=BB99_2 Depth=1
	s_or_saveexec_b64 s[16:17], s[16:17]
	v_mov_b32_e32 v66, v61
	s_xor_b64 exec, exec, s[16:17]
	s_cbranch_execz .LBB99_174
; %bb.173:                              ;   in Loop: Header=BB99_2 Depth=1
	ds_read_u8 v66, v63 offset:1
	s_waitcnt lgkmcnt(1)
	v_mov_b32_e32 v65, v62
.LBB99_174:                             ;   in Loop: Header=BB99_2 Depth=1
	s_or_b64 exec, exec, s[16:17]
	v_add_u32_e32 v68, 1, v64
	v_add_u32_e32 v67, 1, v63
	v_cndmask_b32_e64 v68, v68, v64, s[14:15]
	v_cndmask_b32_e64 v67, v63, v67, s[14:15]
	v_cmp_ge_i32_e64 s[18:19], v68, v26
	s_waitcnt lgkmcnt(0)
	v_cmp_lt_u16_sdwa s[20:21], v66, v65 src0_sel:BYTE_0 src1_sel:BYTE_0
	v_cmp_lt_i32_e64 s[16:17], v67, v27
	s_or_b64 s[18:19], s[18:19], s[20:21]
	s_and_b64 s[16:17], s[16:17], s[18:19]
	s_xor_b64 s[18:19], s[16:17], -1
                                        ; implicit-def: $vgpr69
	s_and_saveexec_b64 s[20:21], s[18:19]
	s_xor_b64 s[18:19], exec, s[20:21]
	s_cbranch_execz .LBB99_176
; %bb.175:                              ;   in Loop: Header=BB99_2 Depth=1
	ds_read_u8 v69, v68 offset:1
.LBB99_176:                             ;   in Loop: Header=BB99_2 Depth=1
	s_or_saveexec_b64 s[18:19], s[18:19]
	v_mov_b32_e32 v70, v66
	s_xor_b64 exec, exec, s[18:19]
	s_cbranch_execz .LBB99_178
; %bb.177:                              ;   in Loop: Header=BB99_2 Depth=1
	ds_read_u8 v70, v67 offset:1
	s_waitcnt lgkmcnt(1)
	v_mov_b32_e32 v69, v65
.LBB99_178:                             ;   in Loop: Header=BB99_2 Depth=1
	s_or_b64 exec, exec, s[18:19]
	v_add_u32_e32 v72, 1, v68
	v_add_u32_e32 v71, 1, v67
	v_cndmask_b32_e64 v72, v72, v68, s[16:17]
	v_cndmask_b32_e64 v71, v67, v71, s[16:17]
	v_cmp_ge_i32_e64 s[20:21], v72, v26
	s_waitcnt lgkmcnt(0)
	v_cmp_lt_u16_sdwa s[22:23], v70, v69 src0_sel:BYTE_0 src1_sel:BYTE_0
	v_cmp_lt_i32_e64 s[18:19], v71, v27
	s_or_b64 s[20:21], s[20:21], s[22:23]
	s_and_b64 s[18:19], s[18:19], s[20:21]
	s_xor_b64 s[20:21], s[18:19], -1
                                        ; implicit-def: $vgpr73
	s_and_saveexec_b64 s[22:23], s[20:21]
	s_xor_b64 s[20:21], exec, s[22:23]
	s_cbranch_execz .LBB99_180
; %bb.179:                              ;   in Loop: Header=BB99_2 Depth=1
	ds_read_u8 v73, v72 offset:1
.LBB99_180:                             ;   in Loop: Header=BB99_2 Depth=1
	s_or_saveexec_b64 s[20:21], s[20:21]
	v_mov_b32_e32 v74, v70
	s_xor_b64 exec, exec, s[20:21]
	s_cbranch_execz .LBB99_182
; %bb.181:                              ;   in Loop: Header=BB99_2 Depth=1
	ds_read_u8 v74, v71 offset:1
	s_waitcnt lgkmcnt(1)
	v_mov_b32_e32 v73, v69
.LBB99_182:                             ;   in Loop: Header=BB99_2 Depth=1
	s_or_b64 exec, exec, s[20:21]
	v_add_u32_e32 v76, 1, v72
	v_add_u32_e32 v75, 1, v71
	v_cndmask_b32_e64 v76, v76, v72, s[18:19]
	v_cndmask_b32_e64 v75, v71, v75, s[18:19]
	v_cmp_ge_i32_e64 s[22:23], v76, v26
	s_waitcnt lgkmcnt(0)
	v_cmp_lt_u16_sdwa s[24:25], v74, v73 src0_sel:BYTE_0 src1_sel:BYTE_0
	v_cmp_lt_i32_e64 s[20:21], v75, v27
	s_or_b64 s[22:23], s[22:23], s[24:25]
	s_and_b64 s[20:21], s[20:21], s[22:23]
	s_xor_b64 s[22:23], s[20:21], -1
                                        ; implicit-def: $vgpr77
	s_and_saveexec_b64 s[24:25], s[22:23]
	s_xor_b64 s[22:23], exec, s[24:25]
	s_cbranch_execz .LBB99_184
; %bb.183:                              ;   in Loop: Header=BB99_2 Depth=1
	ds_read_u8 v77, v76 offset:1
.LBB99_184:                             ;   in Loop: Header=BB99_2 Depth=1
	s_or_saveexec_b64 s[22:23], s[22:23]
	v_mov_b32_e32 v78, v74
	s_xor_b64 exec, exec, s[22:23]
	s_cbranch_execz .LBB99_186
; %bb.185:                              ;   in Loop: Header=BB99_2 Depth=1
	ds_read_u8 v78, v75 offset:1
	s_waitcnt lgkmcnt(1)
	v_mov_b32_e32 v77, v73
.LBB99_186:                             ;   in Loop: Header=BB99_2 Depth=1
	s_or_b64 exec, exec, s[22:23]
	v_add_u32_e32 v80, 1, v76
	v_add_u32_e32 v79, 1, v75
	v_cndmask_b32_e64 v80, v80, v76, s[20:21]
	v_cndmask_b32_e64 v79, v75, v79, s[20:21]
	v_cmp_ge_i32_e64 s[24:25], v80, v26
	s_waitcnt lgkmcnt(0)
	v_cmp_lt_u16_sdwa s[26:27], v78, v77 src0_sel:BYTE_0 src1_sel:BYTE_0
	v_cmp_lt_i32_e64 s[22:23], v79, v27
	s_or_b64 s[24:25], s[24:25], s[26:27]
	s_and_b64 s[22:23], s[22:23], s[24:25]
	s_xor_b64 s[24:25], s[22:23], -1
                                        ; implicit-def: $vgpr81
	s_and_saveexec_b64 s[26:27], s[24:25]
	s_xor_b64 s[24:25], exec, s[26:27]
	s_cbranch_execz .LBB99_188
; %bb.187:                              ;   in Loop: Header=BB99_2 Depth=1
	ds_read_u8 v81, v80 offset:1
.LBB99_188:                             ;   in Loop: Header=BB99_2 Depth=1
	s_or_saveexec_b64 s[24:25], s[24:25]
	v_mov_b32_e32 v82, v78
	s_xor_b64 exec, exec, s[24:25]
	s_cbranch_execz .LBB99_190
; %bb.189:                              ;   in Loop: Header=BB99_2 Depth=1
	ds_read_u8 v82, v79 offset:1
	s_waitcnt lgkmcnt(1)
	v_mov_b32_e32 v81, v77
.LBB99_190:                             ;   in Loop: Header=BB99_2 Depth=1
	s_or_b64 exec, exec, s[24:25]
	v_add_u32_e32 v85, 1, v80
	v_add_u32_e32 v83, 1, v79
	v_cndmask_b32_e64 v85, v85, v80, s[22:23]
	v_cndmask_b32_e64 v84, v79, v83, s[22:23]
	v_cmp_ge_i32_e64 s[26:27], v85, v26
	s_waitcnt lgkmcnt(0)
	v_cmp_lt_u16_sdwa s[28:29], v82, v81 src0_sel:BYTE_0 src1_sel:BYTE_0
	v_cmp_lt_i32_e64 s[24:25], v84, v27
	s_or_b64 s[26:27], s[26:27], s[28:29]
	s_and_b64 s[24:25], s[24:25], s[26:27]
	s_xor_b64 s[26:27], s[24:25], -1
                                        ; implicit-def: $vgpr83
	s_and_saveexec_b64 s[28:29], s[26:27]
	s_xor_b64 s[26:27], exec, s[28:29]
	s_cbranch_execz .LBB99_192
; %bb.191:                              ;   in Loop: Header=BB99_2 Depth=1
	ds_read_u8 v83, v85 offset:1
.LBB99_192:                             ;   in Loop: Header=BB99_2 Depth=1
	s_or_saveexec_b64 s[26:27], s[26:27]
	v_mov_b32_e32 v86, v82
	s_xor_b64 exec, exec, s[26:27]
	s_cbranch_execz .LBB99_194
; %bb.193:                              ;   in Loop: Header=BB99_2 Depth=1
	ds_read_u8 v86, v84 offset:1
	s_waitcnt lgkmcnt(1)
	v_mov_b32_e32 v83, v81
.LBB99_194:                             ;   in Loop: Header=BB99_2 Depth=1
	s_or_b64 exec, exec, s[26:27]
	v_add_u32_e32 v87, 1, v85
	v_cndmask_b32_e64 v81, v81, v82, s[24:25]
	v_add_u32_e32 v82, 1, v84
	v_cndmask_b32_e64 v87, v87, v85, s[24:25]
	v_cndmask_b32_e64 v82, v84, v82, s[24:25]
	;; [unrolled: 1-line block ×6, first 2 shown]
	v_cmp_ge_i32_e64 s[14:15], v87, v26
	s_waitcnt lgkmcnt(0)
	v_cmp_lt_u16_sdwa s[16:17], v86, v83 src0_sel:BYTE_0 src1_sel:BYTE_0
	v_lshlrev_b16_e32 v51, 8, v51
	v_cndmask_b32_e64 v59, v59, v60, s[12:13]
	v_cndmask_b32_e64 v57, v57, v58, s[12:13]
	v_cmp_lt_i32_e64 s[12:13], v82, v27
	s_or_b64 s[14:15], s[14:15], s[16:17]
	v_lshlrev_b16_e32 v56, 8, v56
	v_lshlrev_b16_e32 v53, 8, v53
	v_or_b32_sdwa v49, v49, v51 dst_sel:DWORD dst_unused:UNUSED_PAD src0_sel:BYTE_0 src1_sel:DWORD
	v_lshlrev_b16_e32 v51, 8, v52
	s_and_b64 s[12:13], s[12:13], s[14:15]
	v_or_b32_sdwa v54, v54, v56 dst_sel:DWORD dst_unused:UNUSED_PAD src0_sel:BYTE_0 src1_sel:DWORD
	v_or_b32_sdwa v53, v55, v53 dst_sel:WORD_1 dst_unused:UNUSED_PAD src0_sel:BYTE_0 src1_sel:DWORD
	v_or_b32_sdwa v50, v50, v51 dst_sel:WORD_1 dst_unused:UNUSED_PAD src0_sel:BYTE_0 src1_sel:DWORD
	v_cndmask_b32_e64 v58, v87, v82, s[12:13]
	v_or_b32_sdwa v53, v54, v53 dst_sel:DWORD dst_unused:UNUSED_PAD src0_sel:WORD_0 src1_sel:DWORD
	v_or_b32_sdwa v52, v49, v50 dst_sel:DWORD dst_unused:UNUSED_PAD src0_sel:WORD_0 src1_sel:DWORD
	v_cndmask_b32_e64 v84, v85, v84, s[24:25]
	v_cndmask_b32_e64 v77, v77, v78, s[22:23]
	;; [unrolled: 1-line block ×7, first 2 shown]
	s_barrier
	ds_write_b64 v3, v[52:53]
	s_waitcnt lgkmcnt(0)
	s_barrier
	ds_read_u8 v53, v58
	ds_read_u8 v49, v57
	;; [unrolled: 1-line block ×8, first 2 shown]
	v_lshlrev_b16_e32 v57, 8, v61
	v_lshlrev_b16_e32 v58, 8, v69
	v_cndmask_b32_e64 v60, v83, v86, s[12:13]
	v_or_b32_sdwa v57, v59, v57 dst_sel:DWORD dst_unused:UNUSED_PAD src0_sel:BYTE_0 src1_sel:DWORD
	v_or_b32_sdwa v58, v65, v58 dst_sel:WORD_1 dst_unused:UNUSED_PAD src0_sel:BYTE_0 src1_sel:DWORD
	v_lshlrev_b16_e32 v59, 8, v60
	v_or_b32_sdwa v58, v57, v58 dst_sel:DWORD dst_unused:UNUSED_PAD src0_sel:WORD_0 src1_sel:DWORD
	v_lshlrev_b16_e32 v57, 8, v77
	v_or_b32_sdwa v57, v73, v57 dst_sel:DWORD dst_unused:UNUSED_PAD src0_sel:BYTE_0 src1_sel:DWORD
	v_or_b32_sdwa v59, v81, v59 dst_sel:WORD_1 dst_unused:UNUSED_PAD src0_sel:BYTE_0 src1_sel:DWORD
	s_waitcnt lgkmcnt(0)
	v_or_b32_sdwa v59, v57, v59 dst_sel:DWORD dst_unused:UNUSED_PAD src0_sel:WORD_0 src1_sel:DWORD
	v_mov_b32_e32 v57, v46
	s_barrier
	ds_write_b64 v3, v[58:59]
	s_waitcnt lgkmcnt(0)
	s_barrier
	s_and_saveexec_b64 s[14:15], s[10:11]
	s_cbranch_execz .LBB99_198
; %bb.195:                              ;   in Loop: Header=BB99_2 Depth=1
	s_mov_b64 s[16:17], 0
	v_mov_b32_e32 v57, v46
	v_mov_b32_e32 v58, v47
.LBB99_196:                             ;   Parent Loop BB99_2 Depth=1
                                        ; =>  This Inner Loop Header: Depth=2
	v_sub_u32_e32 v59, v58, v57
	v_lshrrev_b32_e32 v60, 31, v59
	v_add_u32_e32 v59, v59, v60
	v_ashrrev_i32_e32 v59, 1, v59
	v_add_u32_e32 v59, v59, v57
	v_not_b32_e32 v60, v59
	v_add3_u32 v60, v3, v60, v2
	ds_read_u8 v61, v59
	ds_read_u8 v60, v60
	v_add_u32_e32 v62, 1, v59
	s_waitcnt lgkmcnt(0)
	v_cmp_lt_u16_e64 s[12:13], v60, v61
	s_nop 1
	v_cndmask_b32_e64 v58, v58, v59, s[12:13]
	v_cndmask_b32_e64 v57, v62, v57, s[12:13]
	v_cmp_ge_i32_e64 s[12:13], v57, v58
	s_or_b64 s[16:17], s[12:13], s[16:17]
	s_andn2_b64 exec, exec, s[16:17]
	s_cbranch_execnz .LBB99_196
; %bb.197:                              ;   in Loop: Header=BB99_2 Depth=1
	s_or_b64 exec, exec, s[16:17]
.LBB99_198:                             ;   in Loop: Header=BB99_2 Depth=1
	s_or_b64 exec, exec, s[14:15]
	v_sub_u32_e32 v58, v48, v57
	ds_read_u8 v59, v57
	ds_read_u8 v60, v58
	v_cmp_le_i32_e64 s[14:15], v2, v57
	v_cmp_gt_i32_e64 s[12:13], s97, v58
                                        ; implicit-def: $vgpr61
                                        ; implicit-def: $vgpr62
	s_waitcnt lgkmcnt(0)
	v_cmp_lt_u16_sdwa s[16:17], v60, v59 src0_sel:BYTE_0 src1_sel:BYTE_0
	s_or_b64 s[14:15], s[14:15], s[16:17]
	s_and_b64 s[12:13], s[12:13], s[14:15]
	s_xor_b64 s[14:15], s[12:13], -1
	s_and_saveexec_b64 s[16:17], s[14:15]
	s_xor_b64 s[14:15], exec, s[16:17]
	s_cbranch_execz .LBB99_200
; %bb.199:                              ;   in Loop: Header=BB99_2 Depth=1
	ds_read_u8 v62, v57 offset:1
	v_mov_b32_e32 v61, v60
.LBB99_200:                             ;   in Loop: Header=BB99_2 Depth=1
	s_andn2_saveexec_b64 s[14:15], s[14:15]
	s_cbranch_execz .LBB99_202
; %bb.201:                              ;   in Loop: Header=BB99_2 Depth=1
	ds_read_u8 v61, v58 offset:1
	s_waitcnt lgkmcnt(1)
	v_mov_b32_e32 v62, v59
.LBB99_202:                             ;   in Loop: Header=BB99_2 Depth=1
	s_or_b64 exec, exec, s[14:15]
	v_add_u32_e32 v64, 1, v57
	v_add_u32_e32 v63, 1, v58
	v_cndmask_b32_e64 v64, v64, v57, s[12:13]
	v_cndmask_b32_e64 v63, v58, v63, s[12:13]
	v_cmp_ge_i32_e64 s[16:17], v64, v2
	s_waitcnt lgkmcnt(0)
	v_cmp_lt_u16_sdwa s[18:19], v61, v62 src0_sel:BYTE_0 src1_sel:BYTE_0
	v_cmp_gt_i32_e64 s[14:15], s97, v63
	s_or_b64 s[16:17], s[16:17], s[18:19]
	s_and_b64 s[14:15], s[14:15], s[16:17]
	s_xor_b64 s[16:17], s[14:15], -1
                                        ; implicit-def: $vgpr65
	s_and_saveexec_b64 s[18:19], s[16:17]
	s_xor_b64 s[16:17], exec, s[18:19]
	s_cbranch_execz .LBB99_204
; %bb.203:                              ;   in Loop: Header=BB99_2 Depth=1
	ds_read_u8 v65, v64 offset:1
.LBB99_204:                             ;   in Loop: Header=BB99_2 Depth=1
	s_or_saveexec_b64 s[16:17], s[16:17]
	v_mov_b32_e32 v66, v61
	s_xor_b64 exec, exec, s[16:17]
	s_cbranch_execz .LBB99_206
; %bb.205:                              ;   in Loop: Header=BB99_2 Depth=1
	ds_read_u8 v66, v63 offset:1
	s_waitcnt lgkmcnt(1)
	v_mov_b32_e32 v65, v62
.LBB99_206:                             ;   in Loop: Header=BB99_2 Depth=1
	s_or_b64 exec, exec, s[16:17]
	v_add_u32_e32 v68, 1, v64
	v_add_u32_e32 v67, 1, v63
	v_cndmask_b32_e64 v68, v68, v64, s[14:15]
	v_cndmask_b32_e64 v67, v63, v67, s[14:15]
	v_cmp_ge_i32_e64 s[18:19], v68, v2
	s_waitcnt lgkmcnt(0)
	v_cmp_lt_u16_sdwa s[20:21], v66, v65 src0_sel:BYTE_0 src1_sel:BYTE_0
	v_cmp_gt_i32_e64 s[16:17], s97, v67
	s_or_b64 s[18:19], s[18:19], s[20:21]
	s_and_b64 s[16:17], s[16:17], s[18:19]
	s_xor_b64 s[18:19], s[16:17], -1
                                        ; implicit-def: $vgpr69
	s_and_saveexec_b64 s[20:21], s[18:19]
	s_xor_b64 s[18:19], exec, s[20:21]
	s_cbranch_execz .LBB99_208
; %bb.207:                              ;   in Loop: Header=BB99_2 Depth=1
	ds_read_u8 v69, v68 offset:1
.LBB99_208:                             ;   in Loop: Header=BB99_2 Depth=1
	s_or_saveexec_b64 s[18:19], s[18:19]
	v_mov_b32_e32 v70, v66
	s_xor_b64 exec, exec, s[18:19]
	s_cbranch_execz .LBB99_210
; %bb.209:                              ;   in Loop: Header=BB99_2 Depth=1
	ds_read_u8 v70, v67 offset:1
	s_waitcnt lgkmcnt(1)
	v_mov_b32_e32 v69, v65
.LBB99_210:                             ;   in Loop: Header=BB99_2 Depth=1
	s_or_b64 exec, exec, s[18:19]
	v_add_u32_e32 v72, 1, v68
	v_add_u32_e32 v71, 1, v67
	v_cndmask_b32_e64 v72, v72, v68, s[16:17]
	v_cndmask_b32_e64 v71, v67, v71, s[16:17]
	v_cmp_ge_i32_e64 s[20:21], v72, v2
	s_waitcnt lgkmcnt(0)
	v_cmp_lt_u16_sdwa s[22:23], v70, v69 src0_sel:BYTE_0 src1_sel:BYTE_0
	v_cmp_gt_i32_e64 s[18:19], s97, v71
	s_or_b64 s[20:21], s[20:21], s[22:23]
	s_and_b64 s[18:19], s[18:19], s[20:21]
	s_xor_b64 s[20:21], s[18:19], -1
                                        ; implicit-def: $vgpr73
	s_and_saveexec_b64 s[22:23], s[20:21]
	s_xor_b64 s[20:21], exec, s[22:23]
	s_cbranch_execz .LBB99_212
; %bb.211:                              ;   in Loop: Header=BB99_2 Depth=1
	ds_read_u8 v73, v72 offset:1
.LBB99_212:                             ;   in Loop: Header=BB99_2 Depth=1
	s_or_saveexec_b64 s[20:21], s[20:21]
	v_mov_b32_e32 v74, v70
	s_xor_b64 exec, exec, s[20:21]
	s_cbranch_execz .LBB99_214
; %bb.213:                              ;   in Loop: Header=BB99_2 Depth=1
	ds_read_u8 v74, v71 offset:1
	s_waitcnt lgkmcnt(1)
	v_mov_b32_e32 v73, v69
.LBB99_214:                             ;   in Loop: Header=BB99_2 Depth=1
	s_or_b64 exec, exec, s[20:21]
	v_add_u32_e32 v76, 1, v72
	v_add_u32_e32 v75, 1, v71
	v_cndmask_b32_e64 v76, v76, v72, s[18:19]
	v_cndmask_b32_e64 v75, v71, v75, s[18:19]
	v_cmp_ge_i32_e64 s[22:23], v76, v2
	s_waitcnt lgkmcnt(0)
	v_cmp_lt_u16_sdwa s[24:25], v74, v73 src0_sel:BYTE_0 src1_sel:BYTE_0
	v_cmp_gt_i32_e64 s[20:21], s97, v75
	s_or_b64 s[22:23], s[22:23], s[24:25]
	s_and_b64 s[20:21], s[20:21], s[22:23]
	s_xor_b64 s[22:23], s[20:21], -1
                                        ; implicit-def: $vgpr77
	s_and_saveexec_b64 s[24:25], s[22:23]
	s_xor_b64 s[22:23], exec, s[24:25]
	s_cbranch_execz .LBB99_216
; %bb.215:                              ;   in Loop: Header=BB99_2 Depth=1
	ds_read_u8 v77, v76 offset:1
.LBB99_216:                             ;   in Loop: Header=BB99_2 Depth=1
	s_or_saveexec_b64 s[22:23], s[22:23]
	v_mov_b32_e32 v78, v74
	s_xor_b64 exec, exec, s[22:23]
	s_cbranch_execz .LBB99_218
; %bb.217:                              ;   in Loop: Header=BB99_2 Depth=1
	ds_read_u8 v78, v75 offset:1
	s_waitcnt lgkmcnt(1)
	v_mov_b32_e32 v77, v73
.LBB99_218:                             ;   in Loop: Header=BB99_2 Depth=1
	s_or_b64 exec, exec, s[22:23]
	v_add_u32_e32 v80, 1, v76
	v_add_u32_e32 v79, 1, v75
	v_cndmask_b32_e64 v80, v80, v76, s[20:21]
	v_cndmask_b32_e64 v79, v75, v79, s[20:21]
	v_cmp_ge_i32_e64 s[24:25], v80, v2
	s_waitcnt lgkmcnt(0)
	v_cmp_lt_u16_sdwa s[26:27], v78, v77 src0_sel:BYTE_0 src1_sel:BYTE_0
	v_cmp_gt_i32_e64 s[22:23], s97, v79
	s_or_b64 s[24:25], s[24:25], s[26:27]
	s_and_b64 s[22:23], s[22:23], s[24:25]
	s_xor_b64 s[24:25], s[22:23], -1
                                        ; implicit-def: $vgpr81
	s_and_saveexec_b64 s[26:27], s[24:25]
	s_xor_b64 s[24:25], exec, s[26:27]
	s_cbranch_execz .LBB99_220
; %bb.219:                              ;   in Loop: Header=BB99_2 Depth=1
	ds_read_u8 v81, v80 offset:1
.LBB99_220:                             ;   in Loop: Header=BB99_2 Depth=1
	s_or_saveexec_b64 s[24:25], s[24:25]
	v_mov_b32_e32 v82, v78
	s_xor_b64 exec, exec, s[24:25]
	s_cbranch_execz .LBB99_222
; %bb.221:                              ;   in Loop: Header=BB99_2 Depth=1
	ds_read_u8 v82, v79 offset:1
	s_waitcnt lgkmcnt(1)
	v_mov_b32_e32 v81, v77
.LBB99_222:                             ;   in Loop: Header=BB99_2 Depth=1
	s_or_b64 exec, exec, s[24:25]
	v_add_u32_e32 v84, 1, v80
	v_add_u32_e32 v83, 1, v79
	v_cndmask_b32_e64 v87, v84, v80, s[22:23]
	v_cndmask_b32_e64 v83, v79, v83, s[22:23]
	v_cmp_ge_i32_e64 s[26:27], v87, v2
	s_waitcnt lgkmcnt(0)
	v_cmp_lt_u16_sdwa s[28:29], v82, v81 src0_sel:BYTE_0 src1_sel:BYTE_0
	v_cmp_gt_i32_e64 s[24:25], s97, v83
	s_or_b64 s[26:27], s[26:27], s[28:29]
	s_and_b64 s[24:25], s[24:25], s[26:27]
	s_xor_b64 s[26:27], s[24:25], -1
                                        ; implicit-def: $vgpr86
                                        ; implicit-def: $vgpr85
	s_and_saveexec_b64 s[28:29], s[26:27]
	s_xor_b64 s[26:27], exec, s[28:29]
	s_cbranch_execz .LBB99_224
; %bb.223:                              ;   in Loop: Header=BB99_2 Depth=1
	ds_read_u8 v86, v87 offset:1
	v_add_u32_e32 v85, 1, v87
.LBB99_224:                             ;   in Loop: Header=BB99_2 Depth=1
	s_or_saveexec_b64 s[26:27], s[26:27]
	v_mov_b32_e32 v84, v87
	v_mov_b32_e32 v88, v82
	s_xor_b64 exec, exec, s[26:27]
	s_cbranch_execz .LBB99_1
; %bb.225:                              ;   in Loop: Header=BB99_2 Depth=1
	ds_read_u8 v88, v83 offset:1
	s_waitcnt lgkmcnt(1)
	v_add_u32_e32 v86, 1, v83
	v_mov_b32_e32 v84, v83
	v_mov_b32_e32 v85, v87
	;; [unrolled: 1-line block ×4, first 2 shown]
	s_branch .LBB99_1
.LBB99_226:
	v_readlane_b32 s0, v89, 0
	v_readlane_b32 s2, v89, 2
	;; [unrolled: 1-line block ×4, first 2 shown]
	s_add_u32 s0, s2, s33
	s_addc_u32 s1, s3, 0
	v_add_u16_e32 v2, v59, v55
	v_lshl_add_u64 v[0:1], s[0:1], 0, v[0:1]
	v_add_u16_e32 v3, v60, v56
	v_add_u16_e32 v4, v61, v58
	;; [unrolled: 1-line block ×7, first 2 shown]
	global_store_byte v[0:1], v2, off
	global_store_byte v[0:1], v3, off offset:128
	global_store_byte v[0:1], v4, off offset:256
	;; [unrolled: 1-line block ×7, first 2 shown]
	s_endpgm
	.section	.rodata,"a",@progbits
	.p2align	6, 0x0
	.amdhsa_kernel _Z17sort_pairs_kernelIhLj128ELj8EN10test_utils4lessELj10EEvPKT_PS2_T2_
		.amdhsa_group_segment_fixed_size 1025
		.amdhsa_private_segment_fixed_size 0
		.amdhsa_kernarg_size 20
		.amdhsa_user_sgpr_count 2
		.amdhsa_user_sgpr_dispatch_ptr 0
		.amdhsa_user_sgpr_queue_ptr 0
		.amdhsa_user_sgpr_kernarg_segment_ptr 1
		.amdhsa_user_sgpr_dispatch_id 0
		.amdhsa_user_sgpr_kernarg_preload_length 0
		.amdhsa_user_sgpr_kernarg_preload_offset 0
		.amdhsa_user_sgpr_private_segment_size 0
		.amdhsa_uses_dynamic_stack 0
		.amdhsa_enable_private_segment 0
		.amdhsa_system_sgpr_workgroup_id_x 1
		.amdhsa_system_sgpr_workgroup_id_y 0
		.amdhsa_system_sgpr_workgroup_id_z 0
		.amdhsa_system_sgpr_workgroup_info 0
		.amdhsa_system_vgpr_workitem_id 0
		.amdhsa_next_free_vgpr 90
		.amdhsa_next_free_sgpr 100
		.amdhsa_accum_offset 92
		.amdhsa_reserve_vcc 1
		.amdhsa_float_round_mode_32 0
		.amdhsa_float_round_mode_16_64 0
		.amdhsa_float_denorm_mode_32 3
		.amdhsa_float_denorm_mode_16_64 3
		.amdhsa_dx10_clamp 1
		.amdhsa_ieee_mode 1
		.amdhsa_fp16_overflow 0
		.amdhsa_tg_split 0
		.amdhsa_exception_fp_ieee_invalid_op 0
		.amdhsa_exception_fp_denorm_src 0
		.amdhsa_exception_fp_ieee_div_zero 0
		.amdhsa_exception_fp_ieee_overflow 0
		.amdhsa_exception_fp_ieee_underflow 0
		.amdhsa_exception_fp_ieee_inexact 0
		.amdhsa_exception_int_div_zero 0
	.end_amdhsa_kernel
	.section	.text._Z17sort_pairs_kernelIhLj128ELj8EN10test_utils4lessELj10EEvPKT_PS2_T2_,"axG",@progbits,_Z17sort_pairs_kernelIhLj128ELj8EN10test_utils4lessELj10EEvPKT_PS2_T2_,comdat
.Lfunc_end99:
	.size	_Z17sort_pairs_kernelIhLj128ELj8EN10test_utils4lessELj10EEvPKT_PS2_T2_, .Lfunc_end99-_Z17sort_pairs_kernelIhLj128ELj8EN10test_utils4lessELj10EEvPKT_PS2_T2_
                                        ; -- End function
	.section	.AMDGPU.csdata,"",@progbits
; Kernel info:
; codeLenInByte = 12576
; NumSgprs: 106
; NumVgprs: 90
; NumAgprs: 0
; TotalNumVgprs: 90
; ScratchSize: 0
; MemoryBound: 0
; FloatMode: 240
; IeeeMode: 1
; LDSByteSize: 1025 bytes/workgroup (compile time only)
; SGPRBlocks: 13
; VGPRBlocks: 11
; NumSGPRsForWavesPerEU: 106
; NumVGPRsForWavesPerEU: 90
; AccumOffset: 92
; Occupancy: 5
; WaveLimiterHint : 1
; COMPUTE_PGM_RSRC2:SCRATCH_EN: 0
; COMPUTE_PGM_RSRC2:USER_SGPR: 2
; COMPUTE_PGM_RSRC2:TRAP_HANDLER: 0
; COMPUTE_PGM_RSRC2:TGID_X_EN: 1
; COMPUTE_PGM_RSRC2:TGID_Y_EN: 0
; COMPUTE_PGM_RSRC2:TGID_Z_EN: 0
; COMPUTE_PGM_RSRC2:TIDIG_COMP_CNT: 0
; COMPUTE_PGM_RSRC3_GFX90A:ACCUM_OFFSET: 22
; COMPUTE_PGM_RSRC3_GFX90A:TG_SPLIT: 0
	.section	.text._Z16sort_keys_kernelIhLj256ELj1EN10test_utils4lessELj10EEvPKT_PS2_T2_,"axG",@progbits,_Z16sort_keys_kernelIhLj256ELj1EN10test_utils4lessELj10EEvPKT_PS2_T2_,comdat
	.protected	_Z16sort_keys_kernelIhLj256ELj1EN10test_utils4lessELj10EEvPKT_PS2_T2_ ; -- Begin function _Z16sort_keys_kernelIhLj256ELj1EN10test_utils4lessELj10EEvPKT_PS2_T2_
	.globl	_Z16sort_keys_kernelIhLj256ELj1EN10test_utils4lessELj10EEvPKT_PS2_T2_
	.p2align	8
	.type	_Z16sort_keys_kernelIhLj256ELj1EN10test_utils4lessELj10EEvPKT_PS2_T2_,@function
_Z16sort_keys_kernelIhLj256ELj1EN10test_utils4lessELj10EEvPKT_PS2_T2_: ; @_Z16sort_keys_kernelIhLj256ELj1EN10test_utils4lessELj10EEvPKT_PS2_T2_
; %bb.0:
	s_load_dwordx4 s[16:19], s[0:1], 0x0
	s_lshl_b32 s22, s2, 8
	v_and_b32_e32 v9, 0xfc, v0
	v_and_b32_e32 v17, 0xf8, v0
	;; [unrolled: 1-line block ×3, first 2 shown]
	s_waitcnt lgkmcnt(0)
	s_add_u32 s0, s16, s22
	s_addc_u32 s1, s17, 0
	global_load_ubyte v61, v0, s[0:1]
	v_and_b32_e32 v33, 0xe0, v0
	v_and_b32_e32 v41, 0xc0, v0
	;; [unrolled: 1-line block ×4, first 2 shown]
	v_or_b32_e32 v11, 2, v9
	v_add_u32_e32 v12, 4, v9
	v_or_b32_e32 v19, 4, v17
	v_add_u32_e32 v20, 8, v17
	;; [unrolled: 2-line block ×6, first 2 shown]
	v_and_b32_e32 v3, 1, v0
	v_or_b32_e32 v4, 1, v2
	v_and_b32_e32 v10, 3, v0
	v_sub_u32_e32 v14, v12, v11
	v_and_b32_e32 v18, 7, v0
	v_sub_u32_e32 v22, v20, v19
	;; [unrolled: 2-line block ×6, first 2 shown]
	v_sub_u32_e32 v5, v4, v2
	v_add_u32_e32 v6, -1, v3
	v_cmp_lt_i32_e32 vcc, 0, v3
	v_sub_u32_e32 v13, v11, v9
	v_sub_u32_e32 v15, v10, v14
	v_cmp_ge_i32_e64 s[0:1], v10, v14
	v_sub_u32_e32 v21, v19, v17
	v_sub_u32_e32 v23, v18, v22
	v_cmp_ge_i32_e64 s[2:3], v18, v22
	;; [unrolled: 3-line block ×5, first 2 shown]
	v_mov_b32_e32 v49, 0x80
	v_sub_u32_e32 v54, v52, v50
	v_sub_u32_e32 v56, v51, v55
	v_cmp_ge_i32_e64 s[10:11], v51, v55
	v_cndmask_b32_e32 v6, 0, v6, vcc
	v_min_i32_e32 v7, v3, v5
	v_cndmask_b32_e64 v14, 0, v15, s[0:1]
	v_min_i32_e32 v15, v10, v13
	v_cndmask_b32_e64 v22, 0, v23, s[2:3]
	;; [unrolled: 2-line block ×6, first 2 shown]
	v_min_i32_e32 v56, v51, v54
	v_sub_u32_e64 v57, v0, v49 clamp
	v_min_i32_e32 v58, 0x80, v0
	s_mov_b32 s23, 0
	v_mov_b32_e32 v1, 0
	v_cmp_lt_i32_e32 vcc, v6, v7
	v_add_u32_e32 v8, v4, v3
	v_cmp_lt_i32_e64 s[0:1], v14, v15
	v_add_u32_e32 v16, v11, v10
	v_cmp_lt_i32_e64 s[2:3], v22, v23
	;; [unrolled: 2-line block ×6, first 2 shown]
	v_cmp_lt_i32_e64 s[12:13], v57, v58
	s_movk_i32 s24, 0x100
	v_add_u32_e32 v59, v52, v51
	v_add_u32_e32 v60, 0x80, v0
	s_branch .LBB100_2
.LBB100_1:                              ;   in Loop: Header=BB100_2 Depth=1
	s_or_b64 exec, exec, s[16:17]
	v_sub_u32_e32 v62, v60, v61
	ds_read_u8 v63, v61
	ds_read_u8 v64, v62
	v_cmp_ge_i32_e64 s[14:15], v61, v49
	v_cmp_gt_i32_e64 s[16:17], s24, v62
	s_add_i32 s23, s23, 1
	s_waitcnt lgkmcnt(0)
	v_cmp_lt_u16_sdwa s[20:21], v64, v63 src0_sel:BYTE_0 src1_sel:BYTE_0
	s_or_b64 s[14:15], s[14:15], s[20:21]
	s_and_b64 s[14:15], s[16:17], s[14:15]
	s_cmp_eq_u32 s23, 10
	v_cndmask_b32_e64 v61, v63, v64, s[14:15]
	s_cbranch_scc1 .LBB100_34
.LBB100_2:                              ; =>This Loop Header: Depth=1
                                        ;     Child Loop BB100_4 Depth 2
                                        ;     Child Loop BB100_8 Depth 2
	;; [unrolled: 1-line block ×8, first 2 shown]
	s_barrier
	s_waitcnt vmcnt(0)
	ds_write_b8 v0, v61
	v_mov_b32_e32 v61, v6
	s_waitcnt lgkmcnt(0)
	s_barrier
	s_and_saveexec_b64 s[16:17], vcc
	s_cbranch_execz .LBB100_6
; %bb.3:                                ;   in Loop: Header=BB100_2 Depth=1
	s_mov_b64 s[20:21], 0
	v_mov_b32_e32 v61, v6
	v_mov_b32_e32 v62, v7
.LBB100_4:                              ;   Parent Loop BB100_2 Depth=1
                                        ; =>  This Inner Loop Header: Depth=2
	v_sub_u32_e32 v63, v62, v61
	v_lshrrev_b32_e32 v64, 31, v63
	v_add_u32_e32 v63, v63, v64
	v_ashrrev_i32_e32 v63, 1, v63
	v_add_u32_e32 v63, v63, v61
	v_not_b32_e32 v65, v63
	v_add_u32_e32 v64, v2, v63
	v_add3_u32 v65, v3, v65, v4
	ds_read_u8 v64, v64
	ds_read_u8 v65, v65
	v_add_u32_e32 v66, 1, v63
	s_waitcnt lgkmcnt(0)
	v_cmp_lt_u16_e64 s[14:15], v65, v64
	s_nop 1
	v_cndmask_b32_e64 v62, v62, v63, s[14:15]
	v_cndmask_b32_e64 v61, v66, v61, s[14:15]
	v_cmp_ge_i32_e64 s[14:15], v61, v62
	s_or_b64 s[20:21], s[14:15], s[20:21]
	s_andn2_b64 exec, exec, s[20:21]
	s_cbranch_execnz .LBB100_4
; %bb.5:                                ;   in Loop: Header=BB100_2 Depth=1
	s_or_b64 exec, exec, s[20:21]
.LBB100_6:                              ;   in Loop: Header=BB100_2 Depth=1
	s_or_b64 exec, exec, s[16:17]
	v_add_u32_e32 v63, v2, v61
	v_sub_u32_e32 v62, v8, v61
	ds_read_u8 v63, v63
	ds_read_u8 v64, v62
	v_cmp_ge_i32_e64 s[14:15], v61, v5
	v_cmp_ge_i32_e64 s[16:17], v4, v62
	s_waitcnt lgkmcnt(0)
	s_barrier
	v_cmp_lt_u16_sdwa s[20:21], v64, v63 src0_sel:BYTE_0 src1_sel:BYTE_0
	s_or_b64 s[14:15], s[14:15], s[20:21]
	s_and_b64 s[14:15], s[16:17], s[14:15]
	v_cndmask_b32_e64 v61, v63, v64, s[14:15]
	ds_write_b8 v0, v61
	v_mov_b32_e32 v61, v14
	s_waitcnt lgkmcnt(0)
	s_barrier
	s_and_saveexec_b64 s[16:17], s[0:1]
	s_cbranch_execz .LBB100_10
; %bb.7:                                ;   in Loop: Header=BB100_2 Depth=1
	s_mov_b64 s[20:21], 0
	v_mov_b32_e32 v61, v14
	v_mov_b32_e32 v62, v15
.LBB100_8:                              ;   Parent Loop BB100_2 Depth=1
                                        ; =>  This Inner Loop Header: Depth=2
	v_sub_u32_e32 v63, v62, v61
	v_lshrrev_b32_e32 v64, 31, v63
	v_add_u32_e32 v63, v63, v64
	v_ashrrev_i32_e32 v63, 1, v63
	v_add_u32_e32 v63, v63, v61
	v_not_b32_e32 v65, v63
	v_add_u32_e32 v64, v9, v63
	v_add3_u32 v65, v10, v65, v11
	ds_read_u8 v64, v64
	ds_read_u8 v65, v65
	v_add_u32_e32 v66, 1, v63
	s_waitcnt lgkmcnt(0)
	v_cmp_lt_u16_e64 s[14:15], v65, v64
	s_nop 1
	v_cndmask_b32_e64 v62, v62, v63, s[14:15]
	v_cndmask_b32_e64 v61, v66, v61, s[14:15]
	v_cmp_ge_i32_e64 s[14:15], v61, v62
	s_or_b64 s[20:21], s[14:15], s[20:21]
	s_andn2_b64 exec, exec, s[20:21]
	s_cbranch_execnz .LBB100_8
; %bb.9:                                ;   in Loop: Header=BB100_2 Depth=1
	s_or_b64 exec, exec, s[20:21]
.LBB100_10:                             ;   in Loop: Header=BB100_2 Depth=1
	s_or_b64 exec, exec, s[16:17]
	v_add_u32_e32 v63, v9, v61
	v_sub_u32_e32 v62, v16, v61
	ds_read_u8 v63, v63
	ds_read_u8 v64, v62
	v_cmp_ge_i32_e64 s[14:15], v61, v13
	v_cmp_gt_i32_e64 s[16:17], v12, v62
	s_waitcnt lgkmcnt(0)
	s_barrier
	v_cmp_lt_u16_sdwa s[20:21], v64, v63 src0_sel:BYTE_0 src1_sel:BYTE_0
	s_or_b64 s[14:15], s[14:15], s[20:21]
	s_and_b64 s[14:15], s[16:17], s[14:15]
	v_cndmask_b32_e64 v61, v63, v64, s[14:15]
	ds_write_b8 v0, v61
	v_mov_b32_e32 v61, v22
	s_waitcnt lgkmcnt(0)
	s_barrier
	s_and_saveexec_b64 s[16:17], s[2:3]
	s_cbranch_execz .LBB100_14
; %bb.11:                               ;   in Loop: Header=BB100_2 Depth=1
	s_mov_b64 s[20:21], 0
	v_mov_b32_e32 v61, v22
	v_mov_b32_e32 v62, v23
.LBB100_12:                             ;   Parent Loop BB100_2 Depth=1
                                        ; =>  This Inner Loop Header: Depth=2
	v_sub_u32_e32 v63, v62, v61
	v_lshrrev_b32_e32 v64, 31, v63
	v_add_u32_e32 v63, v63, v64
	v_ashrrev_i32_e32 v63, 1, v63
	v_add_u32_e32 v63, v63, v61
	v_not_b32_e32 v65, v63
	v_add_u32_e32 v64, v17, v63
	v_add3_u32 v65, v18, v65, v19
	ds_read_u8 v64, v64
	ds_read_u8 v65, v65
	v_add_u32_e32 v66, 1, v63
	s_waitcnt lgkmcnt(0)
	v_cmp_lt_u16_e64 s[14:15], v65, v64
	s_nop 1
	v_cndmask_b32_e64 v62, v62, v63, s[14:15]
	v_cndmask_b32_e64 v61, v66, v61, s[14:15]
	v_cmp_ge_i32_e64 s[14:15], v61, v62
	s_or_b64 s[20:21], s[14:15], s[20:21]
	s_andn2_b64 exec, exec, s[20:21]
	s_cbranch_execnz .LBB100_12
; %bb.13:                               ;   in Loop: Header=BB100_2 Depth=1
	s_or_b64 exec, exec, s[20:21]
.LBB100_14:                             ;   in Loop: Header=BB100_2 Depth=1
	s_or_b64 exec, exec, s[16:17]
	v_add_u32_e32 v63, v17, v61
	v_sub_u32_e32 v62, v24, v61
	ds_read_u8 v63, v63
	ds_read_u8 v64, v62
	v_cmp_ge_i32_e64 s[14:15], v61, v21
	v_cmp_gt_i32_e64 s[16:17], v20, v62
	s_waitcnt lgkmcnt(0)
	s_barrier
	v_cmp_lt_u16_sdwa s[20:21], v64, v63 src0_sel:BYTE_0 src1_sel:BYTE_0
	s_or_b64 s[14:15], s[14:15], s[20:21]
	s_and_b64 s[14:15], s[16:17], s[14:15]
	v_cndmask_b32_e64 v61, v63, v64, s[14:15]
	ds_write_b8 v0, v61
	v_mov_b32_e32 v61, v30
	s_waitcnt lgkmcnt(0)
	s_barrier
	s_and_saveexec_b64 s[16:17], s[4:5]
	s_cbranch_execz .LBB100_18
; %bb.15:                               ;   in Loop: Header=BB100_2 Depth=1
	s_mov_b64 s[20:21], 0
	v_mov_b32_e32 v61, v30
	v_mov_b32_e32 v62, v31
.LBB100_16:                             ;   Parent Loop BB100_2 Depth=1
                                        ; =>  This Inner Loop Header: Depth=2
	v_sub_u32_e32 v63, v62, v61
	v_lshrrev_b32_e32 v64, 31, v63
	v_add_u32_e32 v63, v63, v64
	v_ashrrev_i32_e32 v63, 1, v63
	v_add_u32_e32 v63, v63, v61
	v_not_b32_e32 v65, v63
	v_add_u32_e32 v64, v25, v63
	v_add3_u32 v65, v26, v65, v27
	ds_read_u8 v64, v64
	ds_read_u8 v65, v65
	v_add_u32_e32 v66, 1, v63
	s_waitcnt lgkmcnt(0)
	v_cmp_lt_u16_e64 s[14:15], v65, v64
	s_nop 1
	v_cndmask_b32_e64 v62, v62, v63, s[14:15]
	v_cndmask_b32_e64 v61, v66, v61, s[14:15]
	v_cmp_ge_i32_e64 s[14:15], v61, v62
	s_or_b64 s[20:21], s[14:15], s[20:21]
	s_andn2_b64 exec, exec, s[20:21]
	s_cbranch_execnz .LBB100_16
; %bb.17:                               ;   in Loop: Header=BB100_2 Depth=1
	s_or_b64 exec, exec, s[20:21]
.LBB100_18:                             ;   in Loop: Header=BB100_2 Depth=1
	s_or_b64 exec, exec, s[16:17]
	v_add_u32_e32 v63, v25, v61
	v_sub_u32_e32 v62, v32, v61
	ds_read_u8 v63, v63
	ds_read_u8 v64, v62
	v_cmp_ge_i32_e64 s[14:15], v61, v29
	v_cmp_gt_i32_e64 s[16:17], v28, v62
	s_waitcnt lgkmcnt(0)
	s_barrier
	v_cmp_lt_u16_sdwa s[20:21], v64, v63 src0_sel:BYTE_0 src1_sel:BYTE_0
	s_or_b64 s[14:15], s[14:15], s[20:21]
	s_and_b64 s[14:15], s[16:17], s[14:15]
	v_cndmask_b32_e64 v61, v63, v64, s[14:15]
	ds_write_b8 v0, v61
	v_mov_b32_e32 v61, v38
	s_waitcnt lgkmcnt(0)
	s_barrier
	s_and_saveexec_b64 s[16:17], s[6:7]
	s_cbranch_execz .LBB100_22
; %bb.19:                               ;   in Loop: Header=BB100_2 Depth=1
	s_mov_b64 s[20:21], 0
	v_mov_b32_e32 v61, v38
	v_mov_b32_e32 v62, v39
.LBB100_20:                             ;   Parent Loop BB100_2 Depth=1
                                        ; =>  This Inner Loop Header: Depth=2
	v_sub_u32_e32 v63, v62, v61
	v_lshrrev_b32_e32 v64, 31, v63
	v_add_u32_e32 v63, v63, v64
	v_ashrrev_i32_e32 v63, 1, v63
	v_add_u32_e32 v63, v63, v61
	v_not_b32_e32 v65, v63
	v_add_u32_e32 v64, v33, v63
	v_add3_u32 v65, v34, v65, v35
	ds_read_u8 v64, v64
	ds_read_u8 v65, v65
	v_add_u32_e32 v66, 1, v63
	s_waitcnt lgkmcnt(0)
	v_cmp_lt_u16_e64 s[14:15], v65, v64
	s_nop 1
	v_cndmask_b32_e64 v62, v62, v63, s[14:15]
	v_cndmask_b32_e64 v61, v66, v61, s[14:15]
	v_cmp_ge_i32_e64 s[14:15], v61, v62
	s_or_b64 s[20:21], s[14:15], s[20:21]
	s_andn2_b64 exec, exec, s[20:21]
	s_cbranch_execnz .LBB100_20
; %bb.21:                               ;   in Loop: Header=BB100_2 Depth=1
	s_or_b64 exec, exec, s[20:21]
.LBB100_22:                             ;   in Loop: Header=BB100_2 Depth=1
	s_or_b64 exec, exec, s[16:17]
	v_add_u32_e32 v63, v33, v61
	v_sub_u32_e32 v62, v40, v61
	ds_read_u8 v63, v63
	ds_read_u8 v64, v62
	v_cmp_ge_i32_e64 s[14:15], v61, v37
	v_cmp_gt_i32_e64 s[16:17], v36, v62
	s_waitcnt lgkmcnt(0)
	s_barrier
	v_cmp_lt_u16_sdwa s[20:21], v64, v63 src0_sel:BYTE_0 src1_sel:BYTE_0
	s_or_b64 s[14:15], s[14:15], s[20:21]
	s_and_b64 s[14:15], s[16:17], s[14:15]
	v_cndmask_b32_e64 v61, v63, v64, s[14:15]
	ds_write_b8 v0, v61
	v_mov_b32_e32 v61, v46
	s_waitcnt lgkmcnt(0)
	s_barrier
	s_and_saveexec_b64 s[16:17], s[8:9]
	s_cbranch_execz .LBB100_26
; %bb.23:                               ;   in Loop: Header=BB100_2 Depth=1
	s_mov_b64 s[20:21], 0
	v_mov_b32_e32 v61, v46
	v_mov_b32_e32 v62, v47
.LBB100_24:                             ;   Parent Loop BB100_2 Depth=1
                                        ; =>  This Inner Loop Header: Depth=2
	v_sub_u32_e32 v63, v62, v61
	v_lshrrev_b32_e32 v64, 31, v63
	v_add_u32_e32 v63, v63, v64
	v_ashrrev_i32_e32 v63, 1, v63
	v_add_u32_e32 v63, v63, v61
	v_not_b32_e32 v65, v63
	v_add_u32_e32 v64, v41, v63
	v_add3_u32 v65, v42, v65, v43
	ds_read_u8 v64, v64
	ds_read_u8 v65, v65
	v_add_u32_e32 v66, 1, v63
	s_waitcnt lgkmcnt(0)
	v_cmp_lt_u16_e64 s[14:15], v65, v64
	s_nop 1
	v_cndmask_b32_e64 v62, v62, v63, s[14:15]
	v_cndmask_b32_e64 v61, v66, v61, s[14:15]
	v_cmp_ge_i32_e64 s[14:15], v61, v62
	s_or_b64 s[20:21], s[14:15], s[20:21]
	s_andn2_b64 exec, exec, s[20:21]
	s_cbranch_execnz .LBB100_24
; %bb.25:                               ;   in Loop: Header=BB100_2 Depth=1
	s_or_b64 exec, exec, s[20:21]
.LBB100_26:                             ;   in Loop: Header=BB100_2 Depth=1
	s_or_b64 exec, exec, s[16:17]
	v_add_u32_e32 v63, v41, v61
	v_sub_u32_e32 v62, v48, v61
	ds_read_u8 v63, v63
	ds_read_u8 v64, v62
	v_cmp_ge_i32_e64 s[14:15], v61, v45
	v_cmp_gt_i32_e64 s[16:17], v44, v62
	s_waitcnt lgkmcnt(0)
	s_barrier
	v_cmp_lt_u16_sdwa s[20:21], v64, v63 src0_sel:BYTE_0 src1_sel:BYTE_0
	s_or_b64 s[14:15], s[14:15], s[20:21]
	s_and_b64 s[14:15], s[16:17], s[14:15]
	v_cndmask_b32_e64 v61, v63, v64, s[14:15]
	ds_write_b8 v0, v61
	v_mov_b32_e32 v61, v55
	s_waitcnt lgkmcnt(0)
	s_barrier
	s_and_saveexec_b64 s[16:17], s[10:11]
	s_cbranch_execz .LBB100_30
; %bb.27:                               ;   in Loop: Header=BB100_2 Depth=1
	s_mov_b64 s[20:21], 0
	v_mov_b32_e32 v61, v55
	v_mov_b32_e32 v62, v56
.LBB100_28:                             ;   Parent Loop BB100_2 Depth=1
                                        ; =>  This Inner Loop Header: Depth=2
	v_sub_u32_e32 v63, v62, v61
	v_lshrrev_b32_e32 v64, 31, v63
	v_add_u32_e32 v63, v63, v64
	v_ashrrev_i32_e32 v63, 1, v63
	v_add_u32_e32 v63, v63, v61
	v_not_b32_e32 v65, v63
	v_add_u32_e32 v64, v50, v63
	v_add3_u32 v65, v51, v65, v52
	ds_read_u8 v64, v64
	ds_read_u8 v65, v65
	v_add_u32_e32 v66, 1, v63
	s_waitcnt lgkmcnt(0)
	v_cmp_lt_u16_e64 s[14:15], v65, v64
	s_nop 1
	v_cndmask_b32_e64 v62, v62, v63, s[14:15]
	v_cndmask_b32_e64 v61, v66, v61, s[14:15]
	v_cmp_ge_i32_e64 s[14:15], v61, v62
	s_or_b64 s[20:21], s[14:15], s[20:21]
	s_andn2_b64 exec, exec, s[20:21]
	s_cbranch_execnz .LBB100_28
; %bb.29:                               ;   in Loop: Header=BB100_2 Depth=1
	s_or_b64 exec, exec, s[20:21]
.LBB100_30:                             ;   in Loop: Header=BB100_2 Depth=1
	s_or_b64 exec, exec, s[16:17]
	v_add_u32_e32 v63, v50, v61
	v_sub_u32_e32 v62, v59, v61
	ds_read_u8 v63, v63
	ds_read_u8 v64, v62
	v_cmp_ge_i32_e64 s[14:15], v61, v54
	v_cmp_gt_i32_e64 s[16:17], v53, v62
	s_waitcnt lgkmcnt(0)
	s_barrier
	v_cmp_lt_u16_sdwa s[20:21], v64, v63 src0_sel:BYTE_0 src1_sel:BYTE_0
	s_or_b64 s[14:15], s[14:15], s[20:21]
	s_and_b64 s[14:15], s[16:17], s[14:15]
	v_cndmask_b32_e64 v61, v63, v64, s[14:15]
	ds_write_b8 v0, v61
	v_mov_b32_e32 v61, v57
	s_waitcnt lgkmcnt(0)
	s_barrier
	s_and_saveexec_b64 s[16:17], s[12:13]
	s_cbranch_execz .LBB100_1
; %bb.31:                               ;   in Loop: Header=BB100_2 Depth=1
	s_mov_b64 s[20:21], 0
	v_mov_b32_e32 v61, v57
	v_mov_b32_e32 v62, v58
.LBB100_32:                             ;   Parent Loop BB100_2 Depth=1
                                        ; =>  This Inner Loop Header: Depth=2
	v_sub_u32_e32 v63, v62, v61
	v_lshrrev_b32_e32 v64, 31, v63
	v_add_u32_e32 v63, v63, v64
	v_ashrrev_i32_e32 v63, 1, v63
	v_add_u32_e32 v63, v63, v61
	v_not_b32_e32 v64, v63
	v_add3_u32 v64, v0, v64, v49
	ds_read_u8 v65, v63
	ds_read_u8 v64, v64
	v_add_u32_e32 v66, 1, v63
	s_waitcnt lgkmcnt(0)
	v_cmp_lt_u16_e64 s[14:15], v64, v65
	s_nop 1
	v_cndmask_b32_e64 v62, v62, v63, s[14:15]
	v_cndmask_b32_e64 v61, v66, v61, s[14:15]
	v_cmp_ge_i32_e64 s[14:15], v61, v62
	s_or_b64 s[20:21], s[14:15], s[20:21]
	s_andn2_b64 exec, exec, s[20:21]
	s_cbranch_execnz .LBB100_32
; %bb.33:                               ;   in Loop: Header=BB100_2 Depth=1
	s_or_b64 exec, exec, s[20:21]
	s_branch .LBB100_1
.LBB100_34:
	s_add_u32 s0, s18, s22
	s_addc_u32 s1, s19, 0
	v_lshl_add_u64 v[0:1], s[0:1], 0, v[0:1]
	global_store_byte v[0:1], v61, off
	s_endpgm
	.section	.rodata,"a",@progbits
	.p2align	6, 0x0
	.amdhsa_kernel _Z16sort_keys_kernelIhLj256ELj1EN10test_utils4lessELj10EEvPKT_PS2_T2_
		.amdhsa_group_segment_fixed_size 257
		.amdhsa_private_segment_fixed_size 0
		.amdhsa_kernarg_size 20
		.amdhsa_user_sgpr_count 2
		.amdhsa_user_sgpr_dispatch_ptr 0
		.amdhsa_user_sgpr_queue_ptr 0
		.amdhsa_user_sgpr_kernarg_segment_ptr 1
		.amdhsa_user_sgpr_dispatch_id 0
		.amdhsa_user_sgpr_kernarg_preload_length 0
		.amdhsa_user_sgpr_kernarg_preload_offset 0
		.amdhsa_user_sgpr_private_segment_size 0
		.amdhsa_uses_dynamic_stack 0
		.amdhsa_enable_private_segment 0
		.amdhsa_system_sgpr_workgroup_id_x 1
		.amdhsa_system_sgpr_workgroup_id_y 0
		.amdhsa_system_sgpr_workgroup_id_z 0
		.amdhsa_system_sgpr_workgroup_info 0
		.amdhsa_system_vgpr_workitem_id 0
		.amdhsa_next_free_vgpr 67
		.amdhsa_next_free_sgpr 25
		.amdhsa_accum_offset 68
		.amdhsa_reserve_vcc 1
		.amdhsa_float_round_mode_32 0
		.amdhsa_float_round_mode_16_64 0
		.amdhsa_float_denorm_mode_32 3
		.amdhsa_float_denorm_mode_16_64 3
		.amdhsa_dx10_clamp 1
		.amdhsa_ieee_mode 1
		.amdhsa_fp16_overflow 0
		.amdhsa_tg_split 0
		.amdhsa_exception_fp_ieee_invalid_op 0
		.amdhsa_exception_fp_denorm_src 0
		.amdhsa_exception_fp_ieee_div_zero 0
		.amdhsa_exception_fp_ieee_overflow 0
		.amdhsa_exception_fp_ieee_underflow 0
		.amdhsa_exception_fp_ieee_inexact 0
		.amdhsa_exception_int_div_zero 0
	.end_amdhsa_kernel
	.section	.text._Z16sort_keys_kernelIhLj256ELj1EN10test_utils4lessELj10EEvPKT_PS2_T2_,"axG",@progbits,_Z16sort_keys_kernelIhLj256ELj1EN10test_utils4lessELj10EEvPKT_PS2_T2_,comdat
.Lfunc_end100:
	.size	_Z16sort_keys_kernelIhLj256ELj1EN10test_utils4lessELj10EEvPKT_PS2_T2_, .Lfunc_end100-_Z16sort_keys_kernelIhLj256ELj1EN10test_utils4lessELj10EEvPKT_PS2_T2_
                                        ; -- End function
	.section	.AMDGPU.csdata,"",@progbits
; Kernel info:
; codeLenInByte = 2388
; NumSgprs: 31
; NumVgprs: 67
; NumAgprs: 0
; TotalNumVgprs: 67
; ScratchSize: 0
; MemoryBound: 0
; FloatMode: 240
; IeeeMode: 1
; LDSByteSize: 257 bytes/workgroup (compile time only)
; SGPRBlocks: 3
; VGPRBlocks: 8
; NumSGPRsForWavesPerEU: 31
; NumVGPRsForWavesPerEU: 67
; AccumOffset: 68
; Occupancy: 7
; WaveLimiterHint : 0
; COMPUTE_PGM_RSRC2:SCRATCH_EN: 0
; COMPUTE_PGM_RSRC2:USER_SGPR: 2
; COMPUTE_PGM_RSRC2:TRAP_HANDLER: 0
; COMPUTE_PGM_RSRC2:TGID_X_EN: 1
; COMPUTE_PGM_RSRC2:TGID_Y_EN: 0
; COMPUTE_PGM_RSRC2:TGID_Z_EN: 0
; COMPUTE_PGM_RSRC2:TIDIG_COMP_CNT: 0
; COMPUTE_PGM_RSRC3_GFX90A:ACCUM_OFFSET: 16
; COMPUTE_PGM_RSRC3_GFX90A:TG_SPLIT: 0
	.section	.text._Z17sort_pairs_kernelIhLj256ELj1EN10test_utils4lessELj10EEvPKT_PS2_T2_,"axG",@progbits,_Z17sort_pairs_kernelIhLj256ELj1EN10test_utils4lessELj10EEvPKT_PS2_T2_,comdat
	.protected	_Z17sort_pairs_kernelIhLj256ELj1EN10test_utils4lessELj10EEvPKT_PS2_T2_ ; -- Begin function _Z17sort_pairs_kernelIhLj256ELj1EN10test_utils4lessELj10EEvPKT_PS2_T2_
	.globl	_Z17sort_pairs_kernelIhLj256ELj1EN10test_utils4lessELj10EEvPKT_PS2_T2_
	.p2align	8
	.type	_Z17sort_pairs_kernelIhLj256ELj1EN10test_utils4lessELj10EEvPKT_PS2_T2_,@function
_Z17sort_pairs_kernelIhLj256ELj1EN10test_utils4lessELj10EEvPKT_PS2_T2_: ; @_Z17sort_pairs_kernelIhLj256ELj1EN10test_utils4lessELj10EEvPKT_PS2_T2_
; %bb.0:
	s_load_dwordx4 s[16:19], s[0:1], 0x0
	s_lshl_b32 s22, s2, 8
	v_and_b32_e32 v5, 0xfc, v0
	v_and_b32_e32 v7, 0xf8, v0
	v_or_b32_e32 v18, 2, v5
	s_waitcnt lgkmcnt(0)
	s_add_u32 s0, s16, s22
	s_addc_u32 s1, s17, 0
	global_load_ubyte v54, v0, s[0:1]
	v_add_u32_e32 v19, 4, v5
	v_and_b32_e32 v6, 3, v0
	v_and_b32_e32 v9, 0xf0, v0
	v_or_b32_e32 v20, 4, v7
	v_add_u32_e32 v21, 8, v7
	v_sub_u32_e32 v43, v19, v18
	v_and_b32_e32 v8, 7, v0
	v_and_b32_e32 v11, 0xe0, v0
	v_or_b32_e32 v22, 8, v9
	v_add_u32_e32 v23, 16, v9
	v_sub_u32_e32 v44, v21, v20
	v_sub_u32_e32 v50, v6, v43
	v_cmp_ge_i32_e64 s[0:1], v6, v43
	v_and_b32_e32 v10, 15, v0
	v_and_b32_e32 v13, 0xc0, v0
	;; [unrolled: 1-line block ×3, first 2 shown]
	v_or_b32_e32 v24, 16, v11
	v_add_u32_e32 v25, 32, v11
	v_sub_u32_e32 v45, v23, v22
	v_sub_u32_e32 v51, v8, v44
	v_cndmask_b32_e64 v43, 0, v50, s[0:1]
	v_cmp_ge_i32_e64 s[0:1], v8, v44
	v_and_b32_e32 v3, 0xfe, v0
	v_and_b32_e32 v12, 31, v0
	v_or_b32_e32 v26, 32, v13
	v_add_u32_e32 v27, 64, v13
	v_or_b32_e32 v28, 64, v15
	v_add_u32_e32 v29, 0x80, v15
	v_sub_u32_e32 v46, v25, v24
	v_sub_u32_e32 v52, v10, v45
	v_cndmask_b32_e64 v44, 0, v51, s[0:1]
	v_cmp_ge_i32_e64 s[0:1], v10, v45
	v_and_b32_e32 v4, 1, v0
	v_and_b32_e32 v14, 63, v0
	;; [unrolled: 1-line block ×3, first 2 shown]
	v_or_b32_e32 v17, 1, v3
	v_sub_u32_e32 v47, v27, v26
	v_sub_u32_e32 v48, v29, v28
	;; [unrolled: 1-line block ×3, first 2 shown]
	v_cndmask_b32_e64 v45, 0, v52, s[0:1]
	v_cmp_ge_i32_e64 s[0:1], v12, v46
	v_mov_b32_e32 v2, 0x80
	v_add_u32_e32 v30, -1, v4
	v_sub_u32_e32 v37, v17, v3
	v_cmp_lt_i32_e32 vcc, 0, v4
	v_sub_u32_e32 v38, v18, v5
	v_sub_u32_e32 v39, v20, v7
	;; [unrolled: 1-line block ×8, first 2 shown]
	v_cndmask_b32_e64 v46, 0, v53, s[0:1]
	v_cmp_ge_i32_e64 s[0:1], v14, v47
	v_cmp_ge_i32_e64 s[10:11], v16, v48
	v_cndmask_b32_e32 v30, 0, v30, vcc
	v_min_i32_e32 v37, v4, v37
	v_min_i32_e32 v38, v6, v38
	;; [unrolled: 1-line block ×6, first 2 shown]
	v_cndmask_b32_e64 v47, 0, v55, s[0:1]
	v_cndmask_b32_e64 v48, 0, v56, s[10:11]
	v_min_i32_e32 v49, v16, v49
	v_sub_u32_e64 v51, v0, v2 clamp
	v_min_i32_e32 v52, 0x80, v0
	s_mov_b32 s23, 0
	v_mov_b32_e32 v1, 0
	v_add_u32_e32 v31, v17, v4
	v_add_u32_e32 v32, v18, v6
	;; [unrolled: 1-line block ×6, first 2 shown]
	v_cmp_lt_i32_e32 vcc, v30, v37
	v_cmp_lt_i32_e64 s[0:1], v43, v38
	v_cmp_lt_i32_e64 s[2:3], v44, v39
	;; [unrolled: 1-line block ×5, first 2 shown]
	s_waitcnt vmcnt(0)
	v_add_u16_e32 v55, 1, v54
	v_cmp_lt_i32_e64 s[10:11], v48, v49
	v_add_u32_e32 v50, v28, v16
	v_cmp_lt_i32_e64 s[12:13], v51, v52
	v_add_u32_e32 v53, 0x80, v0
	s_movk_i32 s24, 0x100
	s_branch .LBB101_2
.LBB101_1:                              ;   in Loop: Header=BB101_2 Depth=1
	s_or_b64 exec, exec, s[16:17]
	v_sub_u32_e32 v57, v53, v56
	ds_read_u8 v54, v56
	ds_read_u8 v58, v57
	v_cmp_le_i32_e64 s[14:15], v2, v56
	v_cmp_gt_i32_e64 s[16:17], s24, v57
	s_waitcnt lgkmcnt(0)
	s_barrier
	v_cmp_lt_u16_sdwa s[20:21], v58, v54 src0_sel:BYTE_0 src1_sel:BYTE_0
	s_or_b64 s[14:15], s[14:15], s[20:21]
	s_and_b64 s[14:15], s[16:17], s[14:15]
	v_cndmask_b32_e64 v56, v56, v57, s[14:15]
	ds_write_b8 v0, v55
	s_waitcnt lgkmcnt(0)
	s_barrier
	ds_read_u8 v55, v56
	s_add_i32 s23, s23, 1
	v_cndmask_b32_e64 v54, v54, v58, s[14:15]
	s_cmp_lg_u32 s23, 10
	s_cbranch_scc0 .LBB101_34
.LBB101_2:                              ; =>This Loop Header: Depth=1
                                        ;     Child Loop BB101_4 Depth 2
                                        ;     Child Loop BB101_8 Depth 2
	;; [unrolled: 1-line block ×8, first 2 shown]
	s_barrier
	ds_write_b8 v0, v54
	v_mov_b32_e32 v54, v30
	s_waitcnt lgkmcnt(0)
	s_barrier
	s_and_saveexec_b64 s[16:17], vcc
	s_cbranch_execz .LBB101_6
; %bb.3:                                ;   in Loop: Header=BB101_2 Depth=1
	s_mov_b64 s[20:21], 0
	v_mov_b32_e32 v54, v30
	v_mov_b32_e32 v56, v37
.LBB101_4:                              ;   Parent Loop BB101_2 Depth=1
                                        ; =>  This Inner Loop Header: Depth=2
	v_sub_u32_e32 v57, v56, v54
	v_lshrrev_b32_e32 v58, 31, v57
	v_add_u32_e32 v57, v57, v58
	v_ashrrev_i32_e32 v57, 1, v57
	v_add_u32_e32 v57, v57, v54
	v_not_b32_e32 v59, v57
	v_add_u32_e32 v58, v3, v57
	v_add3_u32 v59, v4, v59, v17
	ds_read_u8 v58, v58
	ds_read_u8 v59, v59
	v_add_u32_e32 v60, 1, v57
	s_waitcnt lgkmcnt(0)
	v_cmp_lt_u16_e64 s[14:15], v59, v58
	s_nop 1
	v_cndmask_b32_e64 v56, v56, v57, s[14:15]
	v_cndmask_b32_e64 v54, v60, v54, s[14:15]
	v_cmp_ge_i32_e64 s[14:15], v54, v56
	s_or_b64 s[20:21], s[14:15], s[20:21]
	s_andn2_b64 exec, exec, s[20:21]
	s_cbranch_execnz .LBB101_4
; %bb.5:                                ;   in Loop: Header=BB101_2 Depth=1
	s_or_b64 exec, exec, s[20:21]
.LBB101_6:                              ;   in Loop: Header=BB101_2 Depth=1
	s_or_b64 exec, exec, s[16:17]
	v_add_u32_e32 v56, v54, v3
	v_sub_u32_e32 v54, v31, v54
	ds_read_u8 v57, v56
	ds_read_u8 v58, v54
	v_cmp_le_i32_e64 s[16:17], v17, v56
	v_cmp_ge_i32_e64 s[14:15], v17, v54
	s_waitcnt lgkmcnt(0)
	s_barrier
	v_cmp_lt_u16_sdwa s[20:21], v58, v57 src0_sel:BYTE_0 src1_sel:BYTE_0
	s_or_b64 s[16:17], s[16:17], s[20:21]
	s_and_b64 s[14:15], s[14:15], s[16:17]
	v_cndmask_b32_e64 v54, v56, v54, s[14:15]
	ds_write_b8 v0, v55
	s_waitcnt lgkmcnt(0)
	s_barrier
	ds_read_u8 v54, v54
	v_cndmask_b32_e64 v57, v57, v58, s[14:15]
	v_mov_b32_e32 v55, v43
	s_waitcnt lgkmcnt(0)
	s_barrier
	ds_write_b8 v0, v57
	s_waitcnt lgkmcnt(0)
	s_barrier
	s_and_saveexec_b64 s[16:17], s[0:1]
	s_cbranch_execz .LBB101_10
; %bb.7:                                ;   in Loop: Header=BB101_2 Depth=1
	s_mov_b64 s[20:21], 0
	v_mov_b32_e32 v55, v43
	v_mov_b32_e32 v56, v38
.LBB101_8:                              ;   Parent Loop BB101_2 Depth=1
                                        ; =>  This Inner Loop Header: Depth=2
	v_sub_u32_e32 v57, v56, v55
	v_lshrrev_b32_e32 v58, 31, v57
	v_add_u32_e32 v57, v57, v58
	v_ashrrev_i32_e32 v57, 1, v57
	v_add_u32_e32 v57, v57, v55
	v_not_b32_e32 v59, v57
	v_add_u32_e32 v58, v5, v57
	v_add3_u32 v59, v6, v59, v18
	ds_read_u8 v58, v58
	ds_read_u8 v59, v59
	v_add_u32_e32 v60, 1, v57
	s_waitcnt lgkmcnt(0)
	v_cmp_lt_u16_e64 s[14:15], v59, v58
	s_nop 1
	v_cndmask_b32_e64 v56, v56, v57, s[14:15]
	v_cndmask_b32_e64 v55, v60, v55, s[14:15]
	v_cmp_ge_i32_e64 s[14:15], v55, v56
	s_or_b64 s[20:21], s[14:15], s[20:21]
	s_andn2_b64 exec, exec, s[20:21]
	s_cbranch_execnz .LBB101_8
; %bb.9:                                ;   in Loop: Header=BB101_2 Depth=1
	s_or_b64 exec, exec, s[20:21]
.LBB101_10:                             ;   in Loop: Header=BB101_2 Depth=1
	s_or_b64 exec, exec, s[16:17]
	v_add_u32_e32 v56, v55, v5
	v_sub_u32_e32 v55, v32, v55
	ds_read_u8 v57, v56
	ds_read_u8 v58, v55
	v_cmp_le_i32_e64 s[16:17], v18, v56
	v_cmp_gt_i32_e64 s[14:15], v19, v55
	s_waitcnt lgkmcnt(0)
	s_barrier
	v_cmp_lt_u16_sdwa s[20:21], v58, v57 src0_sel:BYTE_0 src1_sel:BYTE_0
	s_or_b64 s[16:17], s[16:17], s[20:21]
	s_and_b64 s[14:15], s[14:15], s[16:17]
	v_cndmask_b32_e64 v55, v56, v55, s[14:15]
	ds_write_b8 v0, v54
	s_waitcnt lgkmcnt(0)
	s_barrier
	ds_read_u8 v54, v55
	v_cndmask_b32_e64 v57, v57, v58, s[14:15]
	v_mov_b32_e32 v55, v44
	s_waitcnt lgkmcnt(0)
	s_barrier
	ds_write_b8 v0, v57
	s_waitcnt lgkmcnt(0)
	s_barrier
	s_and_saveexec_b64 s[16:17], s[2:3]
	s_cbranch_execz .LBB101_14
; %bb.11:                               ;   in Loop: Header=BB101_2 Depth=1
	s_mov_b64 s[20:21], 0
	v_mov_b32_e32 v55, v44
	v_mov_b32_e32 v56, v39
.LBB101_12:                             ;   Parent Loop BB101_2 Depth=1
                                        ; =>  This Inner Loop Header: Depth=2
	v_sub_u32_e32 v57, v56, v55
	v_lshrrev_b32_e32 v58, 31, v57
	v_add_u32_e32 v57, v57, v58
	v_ashrrev_i32_e32 v57, 1, v57
	v_add_u32_e32 v57, v57, v55
	v_not_b32_e32 v59, v57
	v_add_u32_e32 v58, v7, v57
	v_add3_u32 v59, v8, v59, v20
	ds_read_u8 v58, v58
	ds_read_u8 v59, v59
	v_add_u32_e32 v60, 1, v57
	s_waitcnt lgkmcnt(0)
	v_cmp_lt_u16_e64 s[14:15], v59, v58
	s_nop 1
	v_cndmask_b32_e64 v56, v56, v57, s[14:15]
	v_cndmask_b32_e64 v55, v60, v55, s[14:15]
	v_cmp_ge_i32_e64 s[14:15], v55, v56
	s_or_b64 s[20:21], s[14:15], s[20:21]
	s_andn2_b64 exec, exec, s[20:21]
	s_cbranch_execnz .LBB101_12
; %bb.13:                               ;   in Loop: Header=BB101_2 Depth=1
	s_or_b64 exec, exec, s[20:21]
.LBB101_14:                             ;   in Loop: Header=BB101_2 Depth=1
	s_or_b64 exec, exec, s[16:17]
	v_add_u32_e32 v56, v55, v7
	v_sub_u32_e32 v55, v33, v55
	ds_read_u8 v57, v56
	ds_read_u8 v58, v55
	v_cmp_le_i32_e64 s[16:17], v20, v56
	v_cmp_gt_i32_e64 s[14:15], v21, v55
	s_waitcnt lgkmcnt(0)
	s_barrier
	v_cmp_lt_u16_sdwa s[20:21], v58, v57 src0_sel:BYTE_0 src1_sel:BYTE_0
	s_or_b64 s[16:17], s[16:17], s[20:21]
	s_and_b64 s[14:15], s[14:15], s[16:17]
	v_cndmask_b32_e64 v55, v56, v55, s[14:15]
	ds_write_b8 v0, v54
	s_waitcnt lgkmcnt(0)
	s_barrier
	ds_read_u8 v54, v55
	v_cndmask_b32_e64 v57, v57, v58, s[14:15]
	v_mov_b32_e32 v55, v45
	s_waitcnt lgkmcnt(0)
	s_barrier
	ds_write_b8 v0, v57
	s_waitcnt lgkmcnt(0)
	s_barrier
	s_and_saveexec_b64 s[16:17], s[4:5]
	s_cbranch_execz .LBB101_18
; %bb.15:                               ;   in Loop: Header=BB101_2 Depth=1
	s_mov_b64 s[20:21], 0
	v_mov_b32_e32 v55, v45
	v_mov_b32_e32 v56, v40
.LBB101_16:                             ;   Parent Loop BB101_2 Depth=1
                                        ; =>  This Inner Loop Header: Depth=2
	v_sub_u32_e32 v57, v56, v55
	v_lshrrev_b32_e32 v58, 31, v57
	v_add_u32_e32 v57, v57, v58
	v_ashrrev_i32_e32 v57, 1, v57
	v_add_u32_e32 v57, v57, v55
	v_not_b32_e32 v59, v57
	v_add_u32_e32 v58, v9, v57
	v_add3_u32 v59, v10, v59, v22
	ds_read_u8 v58, v58
	ds_read_u8 v59, v59
	v_add_u32_e32 v60, 1, v57
	s_waitcnt lgkmcnt(0)
	v_cmp_lt_u16_e64 s[14:15], v59, v58
	s_nop 1
	v_cndmask_b32_e64 v56, v56, v57, s[14:15]
	v_cndmask_b32_e64 v55, v60, v55, s[14:15]
	v_cmp_ge_i32_e64 s[14:15], v55, v56
	s_or_b64 s[20:21], s[14:15], s[20:21]
	s_andn2_b64 exec, exec, s[20:21]
	s_cbranch_execnz .LBB101_16
; %bb.17:                               ;   in Loop: Header=BB101_2 Depth=1
	s_or_b64 exec, exec, s[20:21]
.LBB101_18:                             ;   in Loop: Header=BB101_2 Depth=1
	;; [unrolled: 55-line block ×5, first 2 shown]
	s_or_b64 exec, exec, s[16:17]
	v_add_u32_e32 v56, v55, v15
	v_sub_u32_e32 v55, v50, v55
	ds_read_u8 v57, v56
	ds_read_u8 v58, v55
	v_cmp_le_i32_e64 s[16:17], v28, v56
	v_cmp_gt_i32_e64 s[14:15], v29, v55
	s_waitcnt lgkmcnt(0)
	s_barrier
	v_cmp_lt_u16_sdwa s[20:21], v58, v57 src0_sel:BYTE_0 src1_sel:BYTE_0
	s_or_b64 s[16:17], s[16:17], s[20:21]
	s_and_b64 s[14:15], s[14:15], s[16:17]
	v_cndmask_b32_e64 v55, v56, v55, s[14:15]
	ds_write_b8 v0, v54
	s_waitcnt lgkmcnt(0)
	s_barrier
	ds_read_u8 v55, v55
	v_cndmask_b32_e64 v57, v57, v58, s[14:15]
	v_mov_b32_e32 v56, v51
	s_waitcnt lgkmcnt(0)
	s_barrier
	ds_write_b8 v0, v57
	s_waitcnt lgkmcnt(0)
	s_barrier
	s_and_saveexec_b64 s[16:17], s[12:13]
	s_cbranch_execz .LBB101_1
; %bb.31:                               ;   in Loop: Header=BB101_2 Depth=1
	s_mov_b64 s[20:21], 0
	v_mov_b32_e32 v56, v51
	v_mov_b32_e32 v54, v52
.LBB101_32:                             ;   Parent Loop BB101_2 Depth=1
                                        ; =>  This Inner Loop Header: Depth=2
	v_sub_u32_e32 v57, v54, v56
	v_lshrrev_b32_e32 v58, 31, v57
	v_add_u32_e32 v57, v57, v58
	v_ashrrev_i32_e32 v57, 1, v57
	v_add_u32_e32 v57, v57, v56
	v_not_b32_e32 v58, v57
	v_add3_u32 v58, v0, v58, v2
	ds_read_u8 v59, v57
	ds_read_u8 v58, v58
	v_add_u32_e32 v60, 1, v57
	s_waitcnt lgkmcnt(0)
	v_cmp_lt_u16_e64 s[14:15], v58, v59
	s_nop 1
	v_cndmask_b32_e64 v54, v54, v57, s[14:15]
	v_cndmask_b32_e64 v56, v60, v56, s[14:15]
	v_cmp_ge_i32_e64 s[14:15], v56, v54
	s_or_b64 s[20:21], s[14:15], s[20:21]
	s_andn2_b64 exec, exec, s[20:21]
	s_cbranch_execnz .LBB101_32
; %bb.33:                               ;   in Loop: Header=BB101_2 Depth=1
	s_or_b64 exec, exec, s[20:21]
	s_branch .LBB101_1
.LBB101_34:
	s_add_u32 s0, s18, s22
	s_addc_u32 s1, s19, 0
	s_waitcnt lgkmcnt(0)
	v_add_u16_e32 v2, v54, v55
	v_lshl_add_u64 v[0:1], s[0:1], 0, v[0:1]
	global_store_byte v[0:1], v2, off
	s_endpgm
	.section	.rodata,"a",@progbits
	.p2align	6, 0x0
	.amdhsa_kernel _Z17sort_pairs_kernelIhLj256ELj1EN10test_utils4lessELj10EEvPKT_PS2_T2_
		.amdhsa_group_segment_fixed_size 257
		.amdhsa_private_segment_fixed_size 0
		.amdhsa_kernarg_size 20
		.amdhsa_user_sgpr_count 2
		.amdhsa_user_sgpr_dispatch_ptr 0
		.amdhsa_user_sgpr_queue_ptr 0
		.amdhsa_user_sgpr_kernarg_segment_ptr 1
		.amdhsa_user_sgpr_dispatch_id 0
		.amdhsa_user_sgpr_kernarg_preload_length 0
		.amdhsa_user_sgpr_kernarg_preload_offset 0
		.amdhsa_user_sgpr_private_segment_size 0
		.amdhsa_uses_dynamic_stack 0
		.amdhsa_enable_private_segment 0
		.amdhsa_system_sgpr_workgroup_id_x 1
		.amdhsa_system_sgpr_workgroup_id_y 0
		.amdhsa_system_sgpr_workgroup_id_z 0
		.amdhsa_system_sgpr_workgroup_info 0
		.amdhsa_system_vgpr_workitem_id 0
		.amdhsa_next_free_vgpr 61
		.amdhsa_next_free_sgpr 25
		.amdhsa_accum_offset 64
		.amdhsa_reserve_vcc 1
		.amdhsa_float_round_mode_32 0
		.amdhsa_float_round_mode_16_64 0
		.amdhsa_float_denorm_mode_32 3
		.amdhsa_float_denorm_mode_16_64 3
		.amdhsa_dx10_clamp 1
		.amdhsa_ieee_mode 1
		.amdhsa_fp16_overflow 0
		.amdhsa_tg_split 0
		.amdhsa_exception_fp_ieee_invalid_op 0
		.amdhsa_exception_fp_denorm_src 0
		.amdhsa_exception_fp_ieee_div_zero 0
		.amdhsa_exception_fp_ieee_overflow 0
		.amdhsa_exception_fp_ieee_underflow 0
		.amdhsa_exception_fp_ieee_inexact 0
		.amdhsa_exception_int_div_zero 0
	.end_amdhsa_kernel
	.section	.text._Z17sort_pairs_kernelIhLj256ELj1EN10test_utils4lessELj10EEvPKT_PS2_T2_,"axG",@progbits,_Z17sort_pairs_kernelIhLj256ELj1EN10test_utils4lessELj10EEvPKT_PS2_T2_,comdat
.Lfunc_end101:
	.size	_Z17sort_pairs_kernelIhLj256ELj1EN10test_utils4lessELj10EEvPKT_PS2_T2_, .Lfunc_end101-_Z17sort_pairs_kernelIhLj256ELj1EN10test_utils4lessELj10EEvPKT_PS2_T2_
                                        ; -- End function
	.section	.AMDGPU.csdata,"",@progbits
; Kernel info:
; codeLenInByte = 2716
; NumSgprs: 31
; NumVgprs: 61
; NumAgprs: 0
; TotalNumVgprs: 61
; ScratchSize: 0
; MemoryBound: 0
; FloatMode: 240
; IeeeMode: 1
; LDSByteSize: 257 bytes/workgroup (compile time only)
; SGPRBlocks: 3
; VGPRBlocks: 7
; NumSGPRsForWavesPerEU: 31
; NumVGPRsForWavesPerEU: 61
; AccumOffset: 64
; Occupancy: 8
; WaveLimiterHint : 0
; COMPUTE_PGM_RSRC2:SCRATCH_EN: 0
; COMPUTE_PGM_RSRC2:USER_SGPR: 2
; COMPUTE_PGM_RSRC2:TRAP_HANDLER: 0
; COMPUTE_PGM_RSRC2:TGID_X_EN: 1
; COMPUTE_PGM_RSRC2:TGID_Y_EN: 0
; COMPUTE_PGM_RSRC2:TGID_Z_EN: 0
; COMPUTE_PGM_RSRC2:TIDIG_COMP_CNT: 0
; COMPUTE_PGM_RSRC3_GFX90A:ACCUM_OFFSET: 15
; COMPUTE_PGM_RSRC3_GFX90A:TG_SPLIT: 0
	.section	.text._Z16sort_keys_kernelIhLj256ELj2EN10test_utils4lessELj10EEvPKT_PS2_T2_,"axG",@progbits,_Z16sort_keys_kernelIhLj256ELj2EN10test_utils4lessELj10EEvPKT_PS2_T2_,comdat
	.protected	_Z16sort_keys_kernelIhLj256ELj2EN10test_utils4lessELj10EEvPKT_PS2_T2_ ; -- Begin function _Z16sort_keys_kernelIhLj256ELj2EN10test_utils4lessELj10EEvPKT_PS2_T2_
	.globl	_Z16sort_keys_kernelIhLj256ELj2EN10test_utils4lessELj10EEvPKT_PS2_T2_
	.p2align	8
	.type	_Z16sort_keys_kernelIhLj256ELj2EN10test_utils4lessELj10EEvPKT_PS2_T2_,@function
_Z16sort_keys_kernelIhLj256ELj2EN10test_utils4lessELj10EEvPKT_PS2_T2_: ; @_Z16sort_keys_kernelIhLj256ELj2EN10test_utils4lessELj10EEvPKT_PS2_T2_
; %bb.0:
	s_load_dwordx4 s[16:19], s[0:1], 0x0
	s_lshl_b32 s22, s2, 9
	v_lshlrev_b32_e32 v3, 1, v0
	v_and_b32_e32 v4, 0x1fc, v3
	v_and_b32_e32 v6, 0x1f8, v3
	s_waitcnt lgkmcnt(0)
	s_add_u32 s0, s16, s22
	s_addc_u32 s1, s17, 0
	global_load_ubyte v49, v0, s[0:1]
	global_load_ubyte v50, v0, s[0:1] offset:256
	v_or_b32_e32 v18, 2, v4
	v_add_u32_e32 v19, 4, v4
	v_and_b32_e32 v5, 2, v3
	v_and_b32_e32 v8, 0x1f0, v3
	v_or_b32_e32 v20, 4, v6
	v_add_u32_e32 v21, 8, v6
	v_sub_u32_e32 v43, v19, v18
	v_and_b32_e32 v7, 6, v3
	v_and_b32_e32 v10, 0x1e0, v3
	v_or_b32_e32 v22, 8, v8
	v_add_u32_e32 v23, 16, v8
	v_sub_u32_e32 v44, v21, v20
	v_sub_u32_e32 v51, v5, v43
	v_cmp_ge_i32_e32 vcc, v5, v43
	v_and_b32_e32 v9, 14, v3
	v_and_b32_e32 v12, 0x1c0, v3
	v_or_b32_e32 v24, 16, v10
	v_add_u32_e32 v25, 32, v10
	v_sub_u32_e32 v45, v23, v22
	v_sub_u32_e32 v52, v7, v44
	v_cndmask_b32_e32 v43, 0, v51, vcc
	v_cmp_ge_i32_e32 vcc, v7, v44
	v_and_b32_e32 v11, 30, v3
	v_and_b32_e32 v14, 0x180, v3
	v_or_b32_e32 v26, 32, v12
	v_add_u32_e32 v27, 64, v12
	v_sub_u32_e32 v46, v25, v24
	v_sub_u32_e32 v53, v9, v45
	v_cndmask_b32_e32 v44, 0, v52, vcc
	v_cmp_ge_i32_e32 vcc, v9, v45
	v_and_b32_e32 v13, 62, v3
	v_or_b32_e32 v28, 64, v14
	v_add_u32_e32 v29, 0x80, v14
	v_sub_u32_e32 v47, v27, v26
	v_sub_u32_e32 v54, v11, v46
	v_cndmask_b32_e32 v45, 0, v53, vcc
	v_cmp_ge_i32_e32 vcc, v11, v46
	v_and_b32_e32 v15, 0x7e, v3
	v_sub_u32_e32 v48, v29, v28
	v_sub_u32_e32 v55, v13, v47
	v_cndmask_b32_e32 v46, 0, v54, vcc
	v_cmp_ge_i32_e32 vcc, v13, v47
	v_and_b32_e32 v16, 0x100, v3
	v_sub_u32_e32 v56, v15, v48
	v_cndmask_b32_e32 v47, 0, v55, vcc
	v_cmp_ge_i32_e32 vcc, v15, v48
	v_or_b32_e32 v30, 0x80, v16
	v_and_b32_e32 v17, 0xfe, v3
	v_cndmask_b32_e32 v48, 0, v56, vcc
	v_mov_b32_e32 v2, 0x100
	v_sub_u32_e32 v37, v18, v4
	v_sub_u32_e32 v38, v20, v6
	;; [unrolled: 1-line block ×7, first 2 shown]
	v_min_i32_e32 v37, v5, v37
	v_min_i32_e32 v38, v7, v38
	;; [unrolled: 1-line block ×7, first 2 shown]
	v_sub_u32_e64 v53, v3, v2 clamp
	v_min_i32_e32 v54, 0x100, v3
	s_mov_b32 s23, 0
	v_mov_b32_e32 v1, 0
	v_add_u32_e32 v31, v18, v5
	v_add_u32_e32 v32, v20, v7
	;; [unrolled: 1-line block ×6, first 2 shown]
	v_cmp_lt_i32_e32 vcc, v43, v37
	v_cmp_lt_i32_e64 s[0:1], v44, v38
	v_cmp_lt_i32_e64 s[2:3], v45, v39
	;; [unrolled: 1-line block ×4, first 2 shown]
	s_waitcnt vmcnt(0)
	v_lshlrev_b16_e32 v50, 8, v50
	v_or_b32_e32 v49, v49, v50
	v_and_b32_e32 v56, 0xffff, v49
	v_add_u32_e32 v49, 0x100, v16
	v_sub_u32_e32 v50, v49, v30
	v_sub_u32_e32 v52, v17, v50
	v_cmp_ge_i32_e64 s[10:11], v17, v50
	v_cmp_lt_i32_e64 s[8:9], v48, v42
	v_cmp_lt_i32_e64 s[12:13], v53, v54
	v_cndmask_b32_e64 v50, 0, v52, s[10:11]
	v_cmp_lt_i32_e64 s[10:11], v50, v51
	v_add_u32_e32 v52, v30, v17
	v_add_u32_e32 v55, 0x100, v3
	s_mov_b32 s24, 0xc0c0001
	s_movk_i32 s25, 0x200
	s_branch .LBB102_2
.LBB102_1:                              ;   in Loop: Header=BB102_2 Depth=1
	s_or_b64 exec, exec, s[16:17]
	v_cmp_ge_i32_e64 s[16:17], v62, v2
	s_waitcnt lgkmcnt(0)
	v_cmp_lt_u16_sdwa s[20:21], v60, v61 src0_sel:BYTE_0 src1_sel:BYTE_0
	v_cndmask_b32_e64 v57, v57, v59, s[14:15]
	v_cmp_gt_i32_e64 s[14:15], s25, v58
	s_or_b64 s[16:17], s[16:17], s[20:21]
	s_and_b64 s[14:15], s[14:15], s[16:17]
	v_cndmask_b32_e64 v58, v61, v60, s[14:15]
	v_lshlrev_b16_e32 v56, 8, v58
	v_or_b32_sdwa v56, v57, v56 dst_sel:DWORD dst_unused:UNUSED_PAD src0_sel:BYTE_0 src1_sel:DWORD
	s_add_i32 s23, s23, 1
	s_cmp_eq_u32 s23, 10
	v_and_b32_e32 v56, 0xffff, v56
	s_cbranch_scc1 .LBB102_66
.LBB102_2:                              ; =>This Loop Header: Depth=1
                                        ;     Child Loop BB102_4 Depth 2
                                        ;     Child Loop BB102_12 Depth 2
	;; [unrolled: 1-line block ×8, first 2 shown]
	v_perm_b32 v57, 0, v56, s24
	v_cmp_lt_u16_sdwa s[14:15], v56, v56 src0_sel:BYTE_1 src1_sel:BYTE_0
	s_barrier
	s_nop 0
	v_cndmask_b32_e64 v56, v56, v57, s[14:15]
	ds_write_b8 v3, v56
	v_lshrrev_b16_e32 v56, 8, v56
	v_mov_b32_e32 v57, v43
	ds_write_b8 v3, v56 offset:1
	s_waitcnt lgkmcnt(0)
	s_barrier
	s_and_saveexec_b64 s[16:17], vcc
	s_cbranch_execz .LBB102_6
; %bb.3:                                ;   in Loop: Header=BB102_2 Depth=1
	s_mov_b64 s[20:21], 0
	v_mov_b32_e32 v57, v43
	v_mov_b32_e32 v56, v37
.LBB102_4:                              ;   Parent Loop BB102_2 Depth=1
                                        ; =>  This Inner Loop Header: Depth=2
	v_sub_u32_e32 v58, v56, v57
	v_lshrrev_b32_e32 v59, 31, v58
	v_add_u32_e32 v58, v58, v59
	v_ashrrev_i32_e32 v58, 1, v58
	v_add_u32_e32 v58, v58, v57
	v_not_b32_e32 v60, v58
	v_add_u32_e32 v59, v4, v58
	v_add3_u32 v60, v5, v60, v18
	ds_read_u8 v59, v59
	ds_read_u8 v60, v60
	v_add_u32_e32 v61, 1, v58
	s_waitcnt lgkmcnt(0)
	v_cmp_lt_u16_e64 s[14:15], v60, v59
	s_nop 1
	v_cndmask_b32_e64 v56, v56, v58, s[14:15]
	v_cndmask_b32_e64 v57, v61, v57, s[14:15]
	v_cmp_ge_i32_e64 s[14:15], v57, v56
	s_or_b64 s[20:21], s[14:15], s[20:21]
	s_andn2_b64 exec, exec, s[20:21]
	s_cbranch_execnz .LBB102_4
; %bb.5:                                ;   in Loop: Header=BB102_2 Depth=1
	s_or_b64 exec, exec, s[20:21]
.LBB102_6:                              ;   in Loop: Header=BB102_2 Depth=1
	s_or_b64 exec, exec, s[16:17]
	v_add_u32_e32 v56, v57, v4
	v_sub_u32_e32 v57, v31, v57
	ds_read_u8 v58, v56
	ds_read_u8 v59, v57
	v_cmp_le_i32_e64 s[16:17], v18, v56
	v_cmp_gt_i32_e64 s[14:15], v19, v57
                                        ; implicit-def: $vgpr60
                                        ; implicit-def: $vgpr61
	s_waitcnt lgkmcnt(0)
	v_cmp_lt_u16_sdwa s[20:21], v59, v58 src0_sel:BYTE_0 src1_sel:BYTE_0
	s_or_b64 s[16:17], s[16:17], s[20:21]
	s_and_b64 s[14:15], s[14:15], s[16:17]
	s_xor_b64 s[16:17], s[14:15], -1
	s_and_saveexec_b64 s[20:21], s[16:17]
	s_xor_b64 s[16:17], exec, s[20:21]
	s_cbranch_execz .LBB102_8
; %bb.7:                                ;   in Loop: Header=BB102_2 Depth=1
	ds_read_u8 v61, v56 offset:1
	v_mov_b32_e32 v60, v59
.LBB102_8:                              ;   in Loop: Header=BB102_2 Depth=1
	s_andn2_saveexec_b64 s[16:17], s[16:17]
	s_cbranch_execz .LBB102_10
; %bb.9:                                ;   in Loop: Header=BB102_2 Depth=1
	ds_read_u8 v60, v57 offset:1
	s_waitcnt lgkmcnt(1)
	v_mov_b32_e32 v61, v58
.LBB102_10:                             ;   in Loop: Header=BB102_2 Depth=1
	s_or_b64 exec, exec, s[16:17]
	v_add_u32_e32 v62, 1, v56
	v_cndmask_b32_e64 v58, v58, v59, s[14:15]
	v_add_u32_e32 v59, 1, v57
	v_cndmask_b32_e64 v56, v62, v56, s[14:15]
	v_cndmask_b32_e64 v57, v57, v59, s[14:15]
	v_cmp_ge_i32_e64 s[16:17], v56, v18
	s_waitcnt lgkmcnt(0)
	v_cmp_lt_u16_sdwa s[20:21], v60, v61 src0_sel:BYTE_0 src1_sel:BYTE_0
	v_cmp_lt_i32_e64 s[14:15], v57, v19
	s_or_b64 s[16:17], s[16:17], s[20:21]
	s_and_b64 s[14:15], s[14:15], s[16:17]
	v_cndmask_b32_e64 v56, v61, v60, s[14:15]
	s_barrier
	ds_write_b8 v3, v58
	ds_write_b8 v3, v56 offset:1
	v_mov_b32_e32 v56, v44
	s_waitcnt lgkmcnt(0)
	s_barrier
	s_and_saveexec_b64 s[16:17], s[0:1]
	s_cbranch_execz .LBB102_14
; %bb.11:                               ;   in Loop: Header=BB102_2 Depth=1
	s_mov_b64 s[20:21], 0
	v_mov_b32_e32 v56, v44
	v_mov_b32_e32 v57, v38
.LBB102_12:                             ;   Parent Loop BB102_2 Depth=1
                                        ; =>  This Inner Loop Header: Depth=2
	v_sub_u32_e32 v58, v57, v56
	v_lshrrev_b32_e32 v59, 31, v58
	v_add_u32_e32 v58, v58, v59
	v_ashrrev_i32_e32 v58, 1, v58
	v_add_u32_e32 v58, v58, v56
	v_not_b32_e32 v60, v58
	v_add_u32_e32 v59, v6, v58
	v_add3_u32 v60, v7, v60, v20
	ds_read_u8 v59, v59
	ds_read_u8 v60, v60
	v_add_u32_e32 v61, 1, v58
	s_waitcnt lgkmcnt(0)
	v_cmp_lt_u16_e64 s[14:15], v60, v59
	s_nop 1
	v_cndmask_b32_e64 v57, v57, v58, s[14:15]
	v_cndmask_b32_e64 v56, v61, v56, s[14:15]
	v_cmp_ge_i32_e64 s[14:15], v56, v57
	s_or_b64 s[20:21], s[14:15], s[20:21]
	s_andn2_b64 exec, exec, s[20:21]
	s_cbranch_execnz .LBB102_12
; %bb.13:                               ;   in Loop: Header=BB102_2 Depth=1
	s_or_b64 exec, exec, s[20:21]
.LBB102_14:                             ;   in Loop: Header=BB102_2 Depth=1
	s_or_b64 exec, exec, s[16:17]
	v_add_u32_e32 v57, v56, v6
	v_sub_u32_e32 v56, v32, v56
	ds_read_u8 v58, v57
	ds_read_u8 v59, v56
	v_cmp_le_i32_e64 s[16:17], v20, v57
	v_cmp_gt_i32_e64 s[14:15], v21, v56
                                        ; implicit-def: $vgpr60
                                        ; implicit-def: $vgpr61
	s_waitcnt lgkmcnt(0)
	v_cmp_lt_u16_sdwa s[20:21], v59, v58 src0_sel:BYTE_0 src1_sel:BYTE_0
	s_or_b64 s[16:17], s[16:17], s[20:21]
	s_and_b64 s[14:15], s[14:15], s[16:17]
	s_xor_b64 s[16:17], s[14:15], -1
	s_and_saveexec_b64 s[20:21], s[16:17]
	s_xor_b64 s[16:17], exec, s[20:21]
	s_cbranch_execz .LBB102_16
; %bb.15:                               ;   in Loop: Header=BB102_2 Depth=1
	ds_read_u8 v61, v57 offset:1
	v_mov_b32_e32 v60, v59
.LBB102_16:                             ;   in Loop: Header=BB102_2 Depth=1
	s_andn2_saveexec_b64 s[16:17], s[16:17]
	s_cbranch_execz .LBB102_18
; %bb.17:                               ;   in Loop: Header=BB102_2 Depth=1
	ds_read_u8 v60, v56 offset:1
	s_waitcnt lgkmcnt(1)
	v_mov_b32_e32 v61, v58
.LBB102_18:                             ;   in Loop: Header=BB102_2 Depth=1
	s_or_b64 exec, exec, s[16:17]
	v_add_u32_e32 v62, 1, v57
	v_cndmask_b32_e64 v58, v58, v59, s[14:15]
	v_add_u32_e32 v59, 1, v56
	v_cndmask_b32_e64 v57, v62, v57, s[14:15]
	v_cndmask_b32_e64 v56, v56, v59, s[14:15]
	v_cmp_ge_i32_e64 s[16:17], v57, v20
	s_waitcnt lgkmcnt(0)
	v_cmp_lt_u16_sdwa s[20:21], v60, v61 src0_sel:BYTE_0 src1_sel:BYTE_0
	v_cmp_lt_i32_e64 s[14:15], v56, v21
	s_or_b64 s[16:17], s[16:17], s[20:21]
	s_and_b64 s[14:15], s[14:15], s[16:17]
	v_cndmask_b32_e64 v56, v61, v60, s[14:15]
	s_barrier
	ds_write_b8 v3, v58
	ds_write_b8 v3, v56 offset:1
	v_mov_b32_e32 v56, v45
	s_waitcnt lgkmcnt(0)
	s_barrier
	s_and_saveexec_b64 s[16:17], s[2:3]
	s_cbranch_execz .LBB102_22
; %bb.19:                               ;   in Loop: Header=BB102_2 Depth=1
	s_mov_b64 s[20:21], 0
	v_mov_b32_e32 v56, v45
	v_mov_b32_e32 v57, v39
.LBB102_20:                             ;   Parent Loop BB102_2 Depth=1
                                        ; =>  This Inner Loop Header: Depth=2
	v_sub_u32_e32 v58, v57, v56
	v_lshrrev_b32_e32 v59, 31, v58
	v_add_u32_e32 v58, v58, v59
	v_ashrrev_i32_e32 v58, 1, v58
	v_add_u32_e32 v58, v58, v56
	v_not_b32_e32 v60, v58
	v_add_u32_e32 v59, v8, v58
	v_add3_u32 v60, v9, v60, v22
	ds_read_u8 v59, v59
	ds_read_u8 v60, v60
	v_add_u32_e32 v61, 1, v58
	s_waitcnt lgkmcnt(0)
	v_cmp_lt_u16_e64 s[14:15], v60, v59
	s_nop 1
	v_cndmask_b32_e64 v57, v57, v58, s[14:15]
	v_cndmask_b32_e64 v56, v61, v56, s[14:15]
	v_cmp_ge_i32_e64 s[14:15], v56, v57
	s_or_b64 s[20:21], s[14:15], s[20:21]
	s_andn2_b64 exec, exec, s[20:21]
	s_cbranch_execnz .LBB102_20
; %bb.21:                               ;   in Loop: Header=BB102_2 Depth=1
	s_or_b64 exec, exec, s[20:21]
.LBB102_22:                             ;   in Loop: Header=BB102_2 Depth=1
	s_or_b64 exec, exec, s[16:17]
	v_add_u32_e32 v57, v56, v8
	v_sub_u32_e32 v56, v33, v56
	ds_read_u8 v58, v57
	ds_read_u8 v59, v56
	v_cmp_le_i32_e64 s[16:17], v22, v57
	v_cmp_gt_i32_e64 s[14:15], v23, v56
                                        ; implicit-def: $vgpr60
                                        ; implicit-def: $vgpr61
	s_waitcnt lgkmcnt(0)
	v_cmp_lt_u16_sdwa s[20:21], v59, v58 src0_sel:BYTE_0 src1_sel:BYTE_0
	s_or_b64 s[16:17], s[16:17], s[20:21]
	s_and_b64 s[14:15], s[14:15], s[16:17]
	s_xor_b64 s[16:17], s[14:15], -1
	s_and_saveexec_b64 s[20:21], s[16:17]
	s_xor_b64 s[16:17], exec, s[20:21]
	s_cbranch_execz .LBB102_24
; %bb.23:                               ;   in Loop: Header=BB102_2 Depth=1
	ds_read_u8 v61, v57 offset:1
	v_mov_b32_e32 v60, v59
.LBB102_24:                             ;   in Loop: Header=BB102_2 Depth=1
	s_andn2_saveexec_b64 s[16:17], s[16:17]
	s_cbranch_execz .LBB102_26
; %bb.25:                               ;   in Loop: Header=BB102_2 Depth=1
	ds_read_u8 v60, v56 offset:1
	s_waitcnt lgkmcnt(1)
	v_mov_b32_e32 v61, v58
.LBB102_26:                             ;   in Loop: Header=BB102_2 Depth=1
	s_or_b64 exec, exec, s[16:17]
	v_add_u32_e32 v62, 1, v57
	v_cndmask_b32_e64 v58, v58, v59, s[14:15]
	v_add_u32_e32 v59, 1, v56
	v_cndmask_b32_e64 v57, v62, v57, s[14:15]
	v_cndmask_b32_e64 v56, v56, v59, s[14:15]
	v_cmp_ge_i32_e64 s[16:17], v57, v22
	s_waitcnt lgkmcnt(0)
	v_cmp_lt_u16_sdwa s[20:21], v60, v61 src0_sel:BYTE_0 src1_sel:BYTE_0
	v_cmp_lt_i32_e64 s[14:15], v56, v23
	s_or_b64 s[16:17], s[16:17], s[20:21]
	s_and_b64 s[14:15], s[14:15], s[16:17]
	v_cndmask_b32_e64 v56, v61, v60, s[14:15]
	s_barrier
	ds_write_b8 v3, v58
	ds_write_b8 v3, v56 offset:1
	v_mov_b32_e32 v56, v46
	s_waitcnt lgkmcnt(0)
	s_barrier
	s_and_saveexec_b64 s[16:17], s[4:5]
	s_cbranch_execz .LBB102_30
; %bb.27:                               ;   in Loop: Header=BB102_2 Depth=1
	s_mov_b64 s[20:21], 0
	v_mov_b32_e32 v56, v46
	v_mov_b32_e32 v57, v40
.LBB102_28:                             ;   Parent Loop BB102_2 Depth=1
                                        ; =>  This Inner Loop Header: Depth=2
	v_sub_u32_e32 v58, v57, v56
	v_lshrrev_b32_e32 v59, 31, v58
	v_add_u32_e32 v58, v58, v59
	v_ashrrev_i32_e32 v58, 1, v58
	v_add_u32_e32 v58, v58, v56
	v_not_b32_e32 v60, v58
	v_add_u32_e32 v59, v10, v58
	v_add3_u32 v60, v11, v60, v24
	ds_read_u8 v59, v59
	ds_read_u8 v60, v60
	v_add_u32_e32 v61, 1, v58
	s_waitcnt lgkmcnt(0)
	v_cmp_lt_u16_e64 s[14:15], v60, v59
	s_nop 1
	v_cndmask_b32_e64 v57, v57, v58, s[14:15]
	v_cndmask_b32_e64 v56, v61, v56, s[14:15]
	v_cmp_ge_i32_e64 s[14:15], v56, v57
	s_or_b64 s[20:21], s[14:15], s[20:21]
	s_andn2_b64 exec, exec, s[20:21]
	s_cbranch_execnz .LBB102_28
; %bb.29:                               ;   in Loop: Header=BB102_2 Depth=1
	s_or_b64 exec, exec, s[20:21]
.LBB102_30:                             ;   in Loop: Header=BB102_2 Depth=1
	s_or_b64 exec, exec, s[16:17]
	v_add_u32_e32 v57, v56, v10
	v_sub_u32_e32 v56, v34, v56
	ds_read_u8 v58, v57
	ds_read_u8 v59, v56
	v_cmp_le_i32_e64 s[16:17], v24, v57
	v_cmp_gt_i32_e64 s[14:15], v25, v56
                                        ; implicit-def: $vgpr60
                                        ; implicit-def: $vgpr61
	s_waitcnt lgkmcnt(0)
	v_cmp_lt_u16_sdwa s[20:21], v59, v58 src0_sel:BYTE_0 src1_sel:BYTE_0
	s_or_b64 s[16:17], s[16:17], s[20:21]
	s_and_b64 s[14:15], s[14:15], s[16:17]
	s_xor_b64 s[16:17], s[14:15], -1
	s_and_saveexec_b64 s[20:21], s[16:17]
	s_xor_b64 s[16:17], exec, s[20:21]
	s_cbranch_execz .LBB102_32
; %bb.31:                               ;   in Loop: Header=BB102_2 Depth=1
	ds_read_u8 v61, v57 offset:1
	v_mov_b32_e32 v60, v59
.LBB102_32:                             ;   in Loop: Header=BB102_2 Depth=1
	s_andn2_saveexec_b64 s[16:17], s[16:17]
	s_cbranch_execz .LBB102_34
; %bb.33:                               ;   in Loop: Header=BB102_2 Depth=1
	ds_read_u8 v60, v56 offset:1
	s_waitcnt lgkmcnt(1)
	v_mov_b32_e32 v61, v58
.LBB102_34:                             ;   in Loop: Header=BB102_2 Depth=1
	s_or_b64 exec, exec, s[16:17]
	v_add_u32_e32 v62, 1, v57
	v_cndmask_b32_e64 v58, v58, v59, s[14:15]
	v_add_u32_e32 v59, 1, v56
	v_cndmask_b32_e64 v57, v62, v57, s[14:15]
	v_cndmask_b32_e64 v56, v56, v59, s[14:15]
	v_cmp_ge_i32_e64 s[16:17], v57, v24
	s_waitcnt lgkmcnt(0)
	v_cmp_lt_u16_sdwa s[20:21], v60, v61 src0_sel:BYTE_0 src1_sel:BYTE_0
	v_cmp_lt_i32_e64 s[14:15], v56, v25
	s_or_b64 s[16:17], s[16:17], s[20:21]
	s_and_b64 s[14:15], s[14:15], s[16:17]
	v_cndmask_b32_e64 v56, v61, v60, s[14:15]
	s_barrier
	ds_write_b8 v3, v58
	ds_write_b8 v3, v56 offset:1
	v_mov_b32_e32 v56, v47
	s_waitcnt lgkmcnt(0)
	s_barrier
	s_and_saveexec_b64 s[16:17], s[6:7]
	s_cbranch_execz .LBB102_38
; %bb.35:                               ;   in Loop: Header=BB102_2 Depth=1
	s_mov_b64 s[20:21], 0
	v_mov_b32_e32 v56, v47
	v_mov_b32_e32 v57, v41
.LBB102_36:                             ;   Parent Loop BB102_2 Depth=1
                                        ; =>  This Inner Loop Header: Depth=2
	v_sub_u32_e32 v58, v57, v56
	v_lshrrev_b32_e32 v59, 31, v58
	v_add_u32_e32 v58, v58, v59
	v_ashrrev_i32_e32 v58, 1, v58
	v_add_u32_e32 v58, v58, v56
	v_not_b32_e32 v60, v58
	v_add_u32_e32 v59, v12, v58
	v_add3_u32 v60, v13, v60, v26
	ds_read_u8 v59, v59
	ds_read_u8 v60, v60
	v_add_u32_e32 v61, 1, v58
	s_waitcnt lgkmcnt(0)
	v_cmp_lt_u16_e64 s[14:15], v60, v59
	s_nop 1
	v_cndmask_b32_e64 v57, v57, v58, s[14:15]
	v_cndmask_b32_e64 v56, v61, v56, s[14:15]
	v_cmp_ge_i32_e64 s[14:15], v56, v57
	s_or_b64 s[20:21], s[14:15], s[20:21]
	s_andn2_b64 exec, exec, s[20:21]
	s_cbranch_execnz .LBB102_36
; %bb.37:                               ;   in Loop: Header=BB102_2 Depth=1
	s_or_b64 exec, exec, s[20:21]
.LBB102_38:                             ;   in Loop: Header=BB102_2 Depth=1
	s_or_b64 exec, exec, s[16:17]
	v_add_u32_e32 v57, v56, v12
	v_sub_u32_e32 v56, v35, v56
	ds_read_u8 v58, v57
	ds_read_u8 v59, v56
	v_cmp_le_i32_e64 s[16:17], v26, v57
	v_cmp_gt_i32_e64 s[14:15], v27, v56
                                        ; implicit-def: $vgpr60
                                        ; implicit-def: $vgpr61
	s_waitcnt lgkmcnt(0)
	v_cmp_lt_u16_sdwa s[20:21], v59, v58 src0_sel:BYTE_0 src1_sel:BYTE_0
	s_or_b64 s[16:17], s[16:17], s[20:21]
	s_and_b64 s[14:15], s[14:15], s[16:17]
	s_xor_b64 s[16:17], s[14:15], -1
	s_and_saveexec_b64 s[20:21], s[16:17]
	s_xor_b64 s[16:17], exec, s[20:21]
	s_cbranch_execz .LBB102_40
; %bb.39:                               ;   in Loop: Header=BB102_2 Depth=1
	ds_read_u8 v61, v57 offset:1
	v_mov_b32_e32 v60, v59
.LBB102_40:                             ;   in Loop: Header=BB102_2 Depth=1
	s_andn2_saveexec_b64 s[16:17], s[16:17]
	s_cbranch_execz .LBB102_42
; %bb.41:                               ;   in Loop: Header=BB102_2 Depth=1
	ds_read_u8 v60, v56 offset:1
	s_waitcnt lgkmcnt(1)
	v_mov_b32_e32 v61, v58
.LBB102_42:                             ;   in Loop: Header=BB102_2 Depth=1
	s_or_b64 exec, exec, s[16:17]
	v_add_u32_e32 v62, 1, v57
	v_cndmask_b32_e64 v58, v58, v59, s[14:15]
	v_add_u32_e32 v59, 1, v56
	v_cndmask_b32_e64 v57, v62, v57, s[14:15]
	v_cndmask_b32_e64 v56, v56, v59, s[14:15]
	v_cmp_ge_i32_e64 s[16:17], v57, v26
	s_waitcnt lgkmcnt(0)
	v_cmp_lt_u16_sdwa s[20:21], v60, v61 src0_sel:BYTE_0 src1_sel:BYTE_0
	v_cmp_lt_i32_e64 s[14:15], v56, v27
	s_or_b64 s[16:17], s[16:17], s[20:21]
	s_and_b64 s[14:15], s[14:15], s[16:17]
	v_cndmask_b32_e64 v56, v61, v60, s[14:15]
	s_barrier
	ds_write_b8 v3, v58
	ds_write_b8 v3, v56 offset:1
	v_mov_b32_e32 v56, v48
	s_waitcnt lgkmcnt(0)
	s_barrier
	s_and_saveexec_b64 s[16:17], s[8:9]
	s_cbranch_execz .LBB102_46
; %bb.43:                               ;   in Loop: Header=BB102_2 Depth=1
	s_mov_b64 s[20:21], 0
	v_mov_b32_e32 v56, v48
	v_mov_b32_e32 v57, v42
.LBB102_44:                             ;   Parent Loop BB102_2 Depth=1
                                        ; =>  This Inner Loop Header: Depth=2
	v_sub_u32_e32 v58, v57, v56
	v_lshrrev_b32_e32 v59, 31, v58
	v_add_u32_e32 v58, v58, v59
	v_ashrrev_i32_e32 v58, 1, v58
	v_add_u32_e32 v58, v58, v56
	v_not_b32_e32 v60, v58
	v_add_u32_e32 v59, v14, v58
	v_add3_u32 v60, v15, v60, v28
	ds_read_u8 v59, v59
	ds_read_u8 v60, v60
	v_add_u32_e32 v61, 1, v58
	s_waitcnt lgkmcnt(0)
	v_cmp_lt_u16_e64 s[14:15], v60, v59
	s_nop 1
	v_cndmask_b32_e64 v57, v57, v58, s[14:15]
	v_cndmask_b32_e64 v56, v61, v56, s[14:15]
	v_cmp_ge_i32_e64 s[14:15], v56, v57
	s_or_b64 s[20:21], s[14:15], s[20:21]
	s_andn2_b64 exec, exec, s[20:21]
	s_cbranch_execnz .LBB102_44
; %bb.45:                               ;   in Loop: Header=BB102_2 Depth=1
	s_or_b64 exec, exec, s[20:21]
.LBB102_46:                             ;   in Loop: Header=BB102_2 Depth=1
	s_or_b64 exec, exec, s[16:17]
	v_add_u32_e32 v57, v56, v14
	v_sub_u32_e32 v56, v36, v56
	ds_read_u8 v58, v57
	ds_read_u8 v59, v56
	v_cmp_le_i32_e64 s[16:17], v28, v57
	v_cmp_gt_i32_e64 s[14:15], v29, v56
                                        ; implicit-def: $vgpr60
                                        ; implicit-def: $vgpr61
	s_waitcnt lgkmcnt(0)
	v_cmp_lt_u16_sdwa s[20:21], v59, v58 src0_sel:BYTE_0 src1_sel:BYTE_0
	s_or_b64 s[16:17], s[16:17], s[20:21]
	s_and_b64 s[14:15], s[14:15], s[16:17]
	s_xor_b64 s[16:17], s[14:15], -1
	s_and_saveexec_b64 s[20:21], s[16:17]
	s_xor_b64 s[16:17], exec, s[20:21]
	s_cbranch_execz .LBB102_48
; %bb.47:                               ;   in Loop: Header=BB102_2 Depth=1
	ds_read_u8 v61, v57 offset:1
	v_mov_b32_e32 v60, v59
.LBB102_48:                             ;   in Loop: Header=BB102_2 Depth=1
	s_andn2_saveexec_b64 s[16:17], s[16:17]
	s_cbranch_execz .LBB102_50
; %bb.49:                               ;   in Loop: Header=BB102_2 Depth=1
	ds_read_u8 v60, v56 offset:1
	s_waitcnt lgkmcnt(1)
	v_mov_b32_e32 v61, v58
.LBB102_50:                             ;   in Loop: Header=BB102_2 Depth=1
	s_or_b64 exec, exec, s[16:17]
	v_add_u32_e32 v62, 1, v57
	v_cndmask_b32_e64 v58, v58, v59, s[14:15]
	v_add_u32_e32 v59, 1, v56
	v_cndmask_b32_e64 v57, v62, v57, s[14:15]
	v_cndmask_b32_e64 v56, v56, v59, s[14:15]
	v_cmp_ge_i32_e64 s[16:17], v57, v28
	s_waitcnt lgkmcnt(0)
	v_cmp_lt_u16_sdwa s[20:21], v60, v61 src0_sel:BYTE_0 src1_sel:BYTE_0
	v_cmp_lt_i32_e64 s[14:15], v56, v29
	s_or_b64 s[16:17], s[16:17], s[20:21]
	s_and_b64 s[14:15], s[14:15], s[16:17]
	v_cndmask_b32_e64 v56, v61, v60, s[14:15]
	s_barrier
	ds_write_b8 v3, v58
	ds_write_b8 v3, v56 offset:1
	v_mov_b32_e32 v56, v50
	s_waitcnt lgkmcnt(0)
	s_barrier
	s_and_saveexec_b64 s[16:17], s[10:11]
	s_cbranch_execz .LBB102_54
; %bb.51:                               ;   in Loop: Header=BB102_2 Depth=1
	s_mov_b64 s[20:21], 0
	v_mov_b32_e32 v56, v50
	v_mov_b32_e32 v57, v51
.LBB102_52:                             ;   Parent Loop BB102_2 Depth=1
                                        ; =>  This Inner Loop Header: Depth=2
	v_sub_u32_e32 v58, v57, v56
	v_lshrrev_b32_e32 v59, 31, v58
	v_add_u32_e32 v58, v58, v59
	v_ashrrev_i32_e32 v58, 1, v58
	v_add_u32_e32 v58, v58, v56
	v_not_b32_e32 v60, v58
	v_add_u32_e32 v59, v16, v58
	v_add3_u32 v60, v17, v60, v30
	ds_read_u8 v59, v59
	ds_read_u8 v60, v60
	v_add_u32_e32 v61, 1, v58
	s_waitcnt lgkmcnt(0)
	v_cmp_lt_u16_e64 s[14:15], v60, v59
	s_nop 1
	v_cndmask_b32_e64 v57, v57, v58, s[14:15]
	v_cndmask_b32_e64 v56, v61, v56, s[14:15]
	v_cmp_ge_i32_e64 s[14:15], v56, v57
	s_or_b64 s[20:21], s[14:15], s[20:21]
	s_andn2_b64 exec, exec, s[20:21]
	s_cbranch_execnz .LBB102_52
; %bb.53:                               ;   in Loop: Header=BB102_2 Depth=1
	s_or_b64 exec, exec, s[20:21]
.LBB102_54:                             ;   in Loop: Header=BB102_2 Depth=1
	s_or_b64 exec, exec, s[16:17]
	v_add_u32_e32 v57, v56, v16
	v_sub_u32_e32 v56, v52, v56
	ds_read_u8 v58, v57
	ds_read_u8 v59, v56
	v_cmp_le_i32_e64 s[16:17], v30, v57
	v_cmp_gt_i32_e64 s[14:15], v49, v56
                                        ; implicit-def: $vgpr60
                                        ; implicit-def: $vgpr61
	s_waitcnt lgkmcnt(0)
	v_cmp_lt_u16_sdwa s[20:21], v59, v58 src0_sel:BYTE_0 src1_sel:BYTE_0
	s_or_b64 s[16:17], s[16:17], s[20:21]
	s_and_b64 s[14:15], s[14:15], s[16:17]
	s_xor_b64 s[16:17], s[14:15], -1
	s_and_saveexec_b64 s[20:21], s[16:17]
	s_xor_b64 s[16:17], exec, s[20:21]
	s_cbranch_execz .LBB102_56
; %bb.55:                               ;   in Loop: Header=BB102_2 Depth=1
	ds_read_u8 v61, v57 offset:1
	v_mov_b32_e32 v60, v59
.LBB102_56:                             ;   in Loop: Header=BB102_2 Depth=1
	s_andn2_saveexec_b64 s[16:17], s[16:17]
	s_cbranch_execz .LBB102_58
; %bb.57:                               ;   in Loop: Header=BB102_2 Depth=1
	ds_read_u8 v60, v56 offset:1
	s_waitcnt lgkmcnt(1)
	v_mov_b32_e32 v61, v58
.LBB102_58:                             ;   in Loop: Header=BB102_2 Depth=1
	s_or_b64 exec, exec, s[16:17]
	v_add_u32_e32 v62, 1, v57
	v_cndmask_b32_e64 v58, v58, v59, s[14:15]
	v_add_u32_e32 v59, 1, v56
	v_cndmask_b32_e64 v57, v62, v57, s[14:15]
	v_cndmask_b32_e64 v56, v56, v59, s[14:15]
	v_cmp_ge_i32_e64 s[16:17], v57, v30
	s_waitcnt lgkmcnt(0)
	v_cmp_lt_u16_sdwa s[20:21], v60, v61 src0_sel:BYTE_0 src1_sel:BYTE_0
	v_cmp_lt_i32_e64 s[14:15], v56, v49
	s_or_b64 s[16:17], s[16:17], s[20:21]
	s_and_b64 s[14:15], s[14:15], s[16:17]
	v_cndmask_b32_e64 v56, v61, v60, s[14:15]
	s_barrier
	ds_write_b8 v3, v58
	ds_write_b8 v3, v56 offset:1
	v_mov_b32_e32 v56, v53
	s_waitcnt lgkmcnt(0)
	s_barrier
	s_and_saveexec_b64 s[16:17], s[12:13]
	s_cbranch_execz .LBB102_62
; %bb.59:                               ;   in Loop: Header=BB102_2 Depth=1
	s_mov_b64 s[20:21], 0
	v_mov_b32_e32 v56, v53
	v_mov_b32_e32 v57, v54
.LBB102_60:                             ;   Parent Loop BB102_2 Depth=1
                                        ; =>  This Inner Loop Header: Depth=2
	v_sub_u32_e32 v58, v57, v56
	v_lshrrev_b32_e32 v59, 31, v58
	v_add_u32_e32 v58, v58, v59
	v_ashrrev_i32_e32 v58, 1, v58
	v_add_u32_e32 v58, v58, v56
	v_not_b32_e32 v59, v58
	v_add3_u32 v59, v3, v59, v2
	ds_read_u8 v60, v58
	ds_read_u8 v59, v59
	v_add_u32_e32 v61, 1, v58
	s_waitcnt lgkmcnt(0)
	v_cmp_lt_u16_e64 s[14:15], v59, v60
	s_nop 1
	v_cndmask_b32_e64 v57, v57, v58, s[14:15]
	v_cndmask_b32_e64 v56, v61, v56, s[14:15]
	v_cmp_ge_i32_e64 s[14:15], v56, v57
	s_or_b64 s[20:21], s[14:15], s[20:21]
	s_andn2_b64 exec, exec, s[20:21]
	s_cbranch_execnz .LBB102_60
; %bb.61:                               ;   in Loop: Header=BB102_2 Depth=1
	s_or_b64 exec, exec, s[20:21]
.LBB102_62:                             ;   in Loop: Header=BB102_2 Depth=1
	s_or_b64 exec, exec, s[16:17]
	v_sub_u32_e32 v58, v55, v56
	ds_read_u8 v57, v56
	ds_read_u8 v59, v58
	v_cmp_le_i32_e64 s[16:17], v2, v56
	v_cmp_gt_i32_e64 s[14:15], s25, v58
                                        ; implicit-def: $vgpr60
                                        ; implicit-def: $vgpr61
                                        ; implicit-def: $vgpr62
	s_waitcnt lgkmcnt(0)
	v_cmp_lt_u16_sdwa s[20:21], v59, v57 src0_sel:BYTE_0 src1_sel:BYTE_0
	s_or_b64 s[16:17], s[16:17], s[20:21]
	s_and_b64 s[14:15], s[14:15], s[16:17]
	s_xor_b64 s[16:17], s[14:15], -1
	s_and_saveexec_b64 s[20:21], s[16:17]
	s_xor_b64 s[16:17], exec, s[20:21]
	s_cbranch_execz .LBB102_64
; %bb.63:                               ;   in Loop: Header=BB102_2 Depth=1
	ds_read_u8 v61, v56 offset:1
	v_add_u32_e32 v62, 1, v56
	v_mov_b32_e32 v60, v59
                                        ; implicit-def: $vgpr56
.LBB102_64:                             ;   in Loop: Header=BB102_2 Depth=1
	s_andn2_saveexec_b64 s[16:17], s[16:17]
	s_cbranch_execz .LBB102_1
; %bb.65:                               ;   in Loop: Header=BB102_2 Depth=1
	ds_read_u8 v60, v58 offset:1
	v_add_u32_e32 v58, 1, v58
	v_mov_b32_e32 v62, v56
	s_waitcnt lgkmcnt(1)
	v_mov_b32_e32 v61, v57
	s_branch .LBB102_1
.LBB102_66:
	s_add_u32 s0, s18, s22
	s_addc_u32 s1, s19, 0
	v_lshl_add_u64 v[0:1], s[0:1], 0, v[0:1]
	global_store_byte v[0:1], v57, off
	global_store_byte v[0:1], v58, off offset:256
	s_endpgm
	.section	.rodata,"a",@progbits
	.p2align	6, 0x0
	.amdhsa_kernel _Z16sort_keys_kernelIhLj256ELj2EN10test_utils4lessELj10EEvPKT_PS2_T2_
		.amdhsa_group_segment_fixed_size 513
		.amdhsa_private_segment_fixed_size 0
		.amdhsa_kernarg_size 20
		.amdhsa_user_sgpr_count 2
		.amdhsa_user_sgpr_dispatch_ptr 0
		.amdhsa_user_sgpr_queue_ptr 0
		.amdhsa_user_sgpr_kernarg_segment_ptr 1
		.amdhsa_user_sgpr_dispatch_id 0
		.amdhsa_user_sgpr_kernarg_preload_length 0
		.amdhsa_user_sgpr_kernarg_preload_offset 0
		.amdhsa_user_sgpr_private_segment_size 0
		.amdhsa_uses_dynamic_stack 0
		.amdhsa_enable_private_segment 0
		.amdhsa_system_sgpr_workgroup_id_x 1
		.amdhsa_system_sgpr_workgroup_id_y 0
		.amdhsa_system_sgpr_workgroup_id_z 0
		.amdhsa_system_sgpr_workgroup_info 0
		.amdhsa_system_vgpr_workitem_id 0
		.amdhsa_next_free_vgpr 63
		.amdhsa_next_free_sgpr 26
		.amdhsa_accum_offset 64
		.amdhsa_reserve_vcc 1
		.amdhsa_float_round_mode_32 0
		.amdhsa_float_round_mode_16_64 0
		.amdhsa_float_denorm_mode_32 3
		.amdhsa_float_denorm_mode_16_64 3
		.amdhsa_dx10_clamp 1
		.amdhsa_ieee_mode 1
		.amdhsa_fp16_overflow 0
		.amdhsa_tg_split 0
		.amdhsa_exception_fp_ieee_invalid_op 0
		.amdhsa_exception_fp_denorm_src 0
		.amdhsa_exception_fp_ieee_div_zero 0
		.amdhsa_exception_fp_ieee_overflow 0
		.amdhsa_exception_fp_ieee_underflow 0
		.amdhsa_exception_fp_ieee_inexact 0
		.amdhsa_exception_int_div_zero 0
	.end_amdhsa_kernel
	.section	.text._Z16sort_keys_kernelIhLj256ELj2EN10test_utils4lessELj10EEvPKT_PS2_T2_,"axG",@progbits,_Z16sort_keys_kernelIhLj256ELj2EN10test_utils4lessELj10EEvPKT_PS2_T2_,comdat
.Lfunc_end102:
	.size	_Z16sort_keys_kernelIhLj256ELj2EN10test_utils4lessELj10EEvPKT_PS2_T2_, .Lfunc_end102-_Z16sort_keys_kernelIhLj256ELj2EN10test_utils4lessELj10EEvPKT_PS2_T2_
                                        ; -- End function
	.section	.AMDGPU.csdata,"",@progbits
; Kernel info:
; codeLenInByte = 3508
; NumSgprs: 32
; NumVgprs: 63
; NumAgprs: 0
; TotalNumVgprs: 63
; ScratchSize: 0
; MemoryBound: 0
; FloatMode: 240
; IeeeMode: 1
; LDSByteSize: 513 bytes/workgroup (compile time only)
; SGPRBlocks: 3
; VGPRBlocks: 7
; NumSGPRsForWavesPerEU: 32
; NumVGPRsForWavesPerEU: 63
; AccumOffset: 64
; Occupancy: 8
; WaveLimiterHint : 1
; COMPUTE_PGM_RSRC2:SCRATCH_EN: 0
; COMPUTE_PGM_RSRC2:USER_SGPR: 2
; COMPUTE_PGM_RSRC2:TRAP_HANDLER: 0
; COMPUTE_PGM_RSRC2:TGID_X_EN: 1
; COMPUTE_PGM_RSRC2:TGID_Y_EN: 0
; COMPUTE_PGM_RSRC2:TGID_Z_EN: 0
; COMPUTE_PGM_RSRC2:TIDIG_COMP_CNT: 0
; COMPUTE_PGM_RSRC3_GFX90A:ACCUM_OFFSET: 15
; COMPUTE_PGM_RSRC3_GFX90A:TG_SPLIT: 0
	.section	.text._Z17sort_pairs_kernelIhLj256ELj2EN10test_utils4lessELj10EEvPKT_PS2_T2_,"axG",@progbits,_Z17sort_pairs_kernelIhLj256ELj2EN10test_utils4lessELj10EEvPKT_PS2_T2_,comdat
	.protected	_Z17sort_pairs_kernelIhLj256ELj2EN10test_utils4lessELj10EEvPKT_PS2_T2_ ; -- Begin function _Z17sort_pairs_kernelIhLj256ELj2EN10test_utils4lessELj10EEvPKT_PS2_T2_
	.globl	_Z17sort_pairs_kernelIhLj256ELj2EN10test_utils4lessELj10EEvPKT_PS2_T2_
	.p2align	8
	.type	_Z17sort_pairs_kernelIhLj256ELj2EN10test_utils4lessELj10EEvPKT_PS2_T2_,@function
_Z17sort_pairs_kernelIhLj256ELj2EN10test_utils4lessELj10EEvPKT_PS2_T2_: ; @_Z17sort_pairs_kernelIhLj256ELj2EN10test_utils4lessELj10EEvPKT_PS2_T2_
; %bb.0:
	s_load_dwordx4 s[20:23], s[0:1], 0x0
	s_lshl_b32 s24, s2, 9
	v_lshlrev_b32_e32 v6, 1, v0
	v_and_b32_e32 v7, 0x1fc, v6
	v_and_b32_e32 v9, 0x1f8, v6
	s_waitcnt lgkmcnt(0)
	s_add_u32 s0, s20, s24
	s_addc_u32 s1, s21, 0
	global_load_ubyte v2, v0, s[0:1] offset:256
	global_load_ubyte v3, v0, s[0:1]
	v_or_b32_e32 v19, 2, v7
	v_add_u32_e32 v20, 4, v7
	v_and_b32_e32 v8, 2, v6
	v_and_b32_e32 v11, 0x1f0, v6
	v_or_b32_e32 v21, 4, v9
	v_add_u32_e32 v22, 8, v9
	v_sub_u32_e32 v43, v20, v19
	v_and_b32_e32 v10, 6, v6
	v_and_b32_e32 v13, 0x1e0, v6
	v_or_b32_e32 v23, 8, v11
	v_add_u32_e32 v24, 16, v11
	v_sub_u32_e32 v4, v19, v7
	v_sub_u32_e32 v44, v22, v21
	;; [unrolled: 1-line block ×3, first 2 shown]
	v_cmp_ge_i32_e32 vcc, v8, v43
	v_and_b32_e32 v12, 14, v6
	v_and_b32_e32 v15, 0x1c0, v6
	v_or_b32_e32 v25, 16, v13
	v_add_u32_e32 v26, 32, v13
	v_sub_u32_e32 v45, v24, v23
	v_min_i32_e32 v37, v8, v4
	v_sub_u32_e32 v4, v10, v44
	v_cndmask_b32_e32 v43, 0, v49, vcc
	v_cmp_ge_i32_e32 vcc, v10, v44
	v_and_b32_e32 v14, 30, v6
	v_and_b32_e32 v17, 0x180, v6
	v_or_b32_e32 v27, 32, v15
	v_add_u32_e32 v28, 64, v15
	v_sub_u32_e32 v46, v26, v25
	v_sub_u32_e32 v50, v12, v45
	v_cndmask_b32_e32 v44, 0, v4, vcc
	v_cmp_ge_i32_e32 vcc, v12, v45
	v_and_b32_e32 v16, 62, v6
	v_or_b32_e32 v29, 64, v17
	v_add_u32_e32 v30, 0x80, v17
	v_sub_u32_e32 v47, v28, v27
	v_sub_u32_e32 v51, v14, v46
	v_cndmask_b32_e32 v45, 0, v50, vcc
	v_cmp_ge_i32_e32 vcc, v14, v46
	v_and_b32_e32 v18, 0x7e, v6
	v_sub_u32_e32 v48, v30, v29
	v_sub_u32_e32 v52, v16, v47
	v_cndmask_b32_e32 v46, 0, v51, vcc
	v_cmp_ge_i32_e32 vcc, v16, v47
	v_and_b32_e32 v49, 0x100, v6
	v_sub_u32_e32 v53, v18, v48
	v_cndmask_b32_e32 v47, 0, v52, vcc
	v_cmp_ge_i32_e32 vcc, v18, v48
	v_or_b32_e32 v51, 0x80, v49
	v_add_u32_e32 v52, 0x100, v49
	v_cndmask_b32_e32 v48, 0, v53, vcc
	v_and_b32_e32 v50, 0xfe, v6
	v_sub_u32_e32 v53, v52, v51
	v_mov_b32_e32 v5, 0x100
	v_sub_u32_e32 v38, v21, v9
	v_sub_u32_e32 v39, v23, v11
	;; [unrolled: 1-line block ×6, first 2 shown]
	v_cmp_ge_i32_e64 s[10:11], v50, v53
	v_min_i32_e32 v38, v10, v38
	v_min_i32_e32 v39, v12, v39
	;; [unrolled: 1-line block ×5, first 2 shown]
	v_cndmask_b32_e64 v53, 0, v54, s[10:11]
	v_sub_u32_e64 v56, v6, v5 clamp
	v_min_i32_e32 v57, 0x100, v6
	s_mov_b32 s25, 0
	v_mov_b32_e32 v1, 0
	v_add_u32_e32 v31, v19, v8
	v_add_u32_e32 v32, v21, v10
	;; [unrolled: 1-line block ×6, first 2 shown]
	v_cmp_lt_i32_e32 vcc, v43, v37
	s_waitcnt vmcnt(1)
	v_lshlrev_b16_e32 v2, 8, v2
	s_waitcnt vmcnt(0)
	v_add_u16_e32 v4, 1, v3
	v_or_b32_e32 v3, v3, v2
	v_or_b32_sdwa v2, v2, v4 dst_sel:DWORD dst_unused:UNUSED_PAD src0_sel:DWORD src1_sel:BYTE_0
	v_sub_u32_e32 v4, v51, v49
	v_min_i32_e32 v54, v50, v4
	v_cmp_lt_i32_e64 s[0:1], v44, v38
	v_cmp_lt_i32_e64 s[2:3], v45, v39
	;; [unrolled: 1-line block ×5, first 2 shown]
	v_and_b32_e32 v3, 0xffff, v3
	v_add_u16_e32 v2, 0x100, v2
	v_cmp_lt_i32_e64 s[10:11], v53, v54
	v_add_u32_e32 v55, v51, v50
	v_cmp_lt_i32_e64 s[12:13], v56, v57
	v_add_u32_e32 v58, 0x100, v6
	s_mov_b32 s26, 0xc0c0001
	s_movk_i32 s27, 0x200
	s_branch .LBB103_2
.LBB103_1:                              ;   in Loop: Header=BB103_2 Depth=1
	s_or_b64 exec, exec, s[16:17]
	v_cmp_ge_i32_e64 s[18:19], v63, v5
	s_waitcnt lgkmcnt(0)
	v_cmp_lt_u16_sdwa s[20:21], v64, v3 src0_sel:BYTE_0 src1_sel:BYTE_0
	v_cmp_gt_i32_e64 s[16:17], s27, v4
	s_or_b64 s[18:19], s[18:19], s[20:21]
	s_and_b64 s[16:17], s[16:17], s[18:19]
	v_cndmask_b32_e64 v64, v3, v64, s[16:17]
	v_cndmask_b32_e64 v3, v63, v4, s[16:17]
	s_barrier
	ds_write_b8 v6, v59
	ds_write_b8 v6, v60 offset:1
	s_waitcnt lgkmcnt(0)
	s_barrier
	ds_read_u8 v4, v2
	ds_read_u8 v59, v3
	v_cndmask_b32_e64 v60, v61, v62, s[14:15]
	v_lshlrev_b16_e32 v2, 8, v64
	v_or_b32_sdwa v2, v60, v2 dst_sel:DWORD dst_unused:UNUSED_PAD src0_sel:BYTE_0 src1_sel:DWORD
	v_and_b32_e32 v3, 0xffff, v2
	s_waitcnt lgkmcnt(0)
	v_lshlrev_b16_e32 v2, 8, v59
	v_or_b32_e32 v2, v4, v2
	s_add_i32 s25, s25, 1
	s_cmp_eq_u32 s25, 10
	v_and_b32_e32 v2, 0xffff, v2
	s_cbranch_scc1 .LBB103_66
.LBB103_2:                              ; =>This Loop Header: Depth=1
                                        ;     Child Loop BB103_4 Depth 2
                                        ;     Child Loop BB103_12 Depth 2
	;; [unrolled: 1-line block ×8, first 2 shown]
	v_perm_b32 v4, 0, v3, s26
	v_cmp_lt_u16_sdwa s[14:15], v3, v3 src0_sel:BYTE_1 src1_sel:BYTE_0
	s_barrier
	s_nop 0
	v_cndmask_b32_e64 v3, v3, v4, s[14:15]
	ds_write_b8 v6, v3
	v_lshrrev_b16_e32 v3, 8, v3
	v_mov_b32_e32 v4, v43
	ds_write_b8 v6, v3 offset:1
	s_waitcnt lgkmcnt(0)
	s_barrier
	s_and_saveexec_b64 s[18:19], vcc
	s_cbranch_execz .LBB103_6
; %bb.3:                                ;   in Loop: Header=BB103_2 Depth=1
	s_mov_b64 s[20:21], 0
	v_mov_b32_e32 v4, v43
	v_mov_b32_e32 v3, v37
.LBB103_4:                              ;   Parent Loop BB103_2 Depth=1
                                        ; =>  This Inner Loop Header: Depth=2
	v_sub_u32_e32 v59, v3, v4
	v_lshrrev_b32_e32 v60, 31, v59
	v_add_u32_e32 v59, v59, v60
	v_ashrrev_i32_e32 v59, 1, v59
	v_add_u32_e32 v59, v59, v4
	v_not_b32_e32 v61, v59
	v_add_u32_e32 v60, v7, v59
	v_add3_u32 v61, v8, v61, v19
	ds_read_u8 v60, v60
	ds_read_u8 v61, v61
	v_add_u32_e32 v62, 1, v59
	s_waitcnt lgkmcnt(0)
	v_cmp_lt_u16_e64 s[16:17], v61, v60
	s_nop 1
	v_cndmask_b32_e64 v3, v3, v59, s[16:17]
	v_cndmask_b32_e64 v4, v62, v4, s[16:17]
	v_cmp_ge_i32_e64 s[16:17], v4, v3
	s_or_b64 s[20:21], s[16:17], s[20:21]
	s_andn2_b64 exec, exec, s[20:21]
	s_cbranch_execnz .LBB103_4
; %bb.5:                                ;   in Loop: Header=BB103_2 Depth=1
	s_or_b64 exec, exec, s[20:21]
.LBB103_6:                              ;   in Loop: Header=BB103_2 Depth=1
	s_or_b64 exec, exec, s[18:19]
	v_add_u32_e32 v3, v4, v7
	v_sub_u32_e32 v4, v31, v4
	ds_read_u8 v59, v3
	ds_read_u8 v60, v4
	v_cmp_le_i32_e64 s[18:19], v19, v3
	v_cmp_gt_i32_e64 s[16:17], v20, v4
                                        ; implicit-def: $vgpr61
                                        ; implicit-def: $vgpr62
	s_waitcnt lgkmcnt(0)
	v_cmp_lt_u16_sdwa s[20:21], v60, v59 src0_sel:BYTE_0 src1_sel:BYTE_0
	s_or_b64 s[18:19], s[18:19], s[20:21]
	s_and_b64 s[16:17], s[16:17], s[18:19]
	s_xor_b64 s[18:19], s[16:17], -1
	s_and_saveexec_b64 s[20:21], s[18:19]
	s_xor_b64 s[18:19], exec, s[20:21]
	s_cbranch_execz .LBB103_8
; %bb.7:                                ;   in Loop: Header=BB103_2 Depth=1
	ds_read_u8 v62, v3 offset:1
	v_mov_b32_e32 v61, v60
.LBB103_8:                              ;   in Loop: Header=BB103_2 Depth=1
	s_andn2_saveexec_b64 s[18:19], s[18:19]
	s_cbranch_execz .LBB103_10
; %bb.9:                                ;   in Loop: Header=BB103_2 Depth=1
	ds_read_u8 v61, v4 offset:1
	s_waitcnt lgkmcnt(1)
	v_mov_b32_e32 v62, v59
.LBB103_10:                             ;   in Loop: Header=BB103_2 Depth=1
	s_or_b64 exec, exec, s[18:19]
	v_add_u32_e32 v64, 1, v3
	v_cndmask_b32_e64 v59, v59, v60, s[16:17]
	v_add_u32_e32 v60, 1, v4
	v_cndmask_b32_e64 v64, v64, v3, s[16:17]
	v_perm_b32 v63, 0, v2, s26
	v_cndmask_b32_e64 v60, v4, v60, s[16:17]
	v_cndmask_b32_e64 v3, v3, v4, s[16:17]
	v_cmp_ge_i32_e64 s[16:17], v64, v19
	s_waitcnt lgkmcnt(0)
	v_cmp_lt_u16_sdwa s[18:19], v61, v62 src0_sel:BYTE_0 src1_sel:BYTE_0
	v_cndmask_b32_e64 v2, v2, v63, s[14:15]
	v_cmp_lt_i32_e64 s[14:15], v60, v20
	s_or_b64 s[16:17], s[16:17], s[18:19]
	s_and_b64 s[14:15], s[14:15], s[16:17]
	s_barrier
	ds_write_b8 v6, v2
	v_lshrrev_b16_e32 v2, 8, v2
	v_cndmask_b32_e64 v60, v64, v60, s[14:15]
	ds_write_b8 v6, v2 offset:1
	s_waitcnt lgkmcnt(0)
	s_barrier
	ds_read_u8 v2, v3
	ds_read_u8 v3, v60
	v_cndmask_b32_e64 v4, v62, v61, s[14:15]
	s_waitcnt lgkmcnt(0)
	s_barrier
	ds_write_b8 v6, v59
	ds_write_b8 v6, v4 offset:1
	v_mov_b32_e32 v59, v44
	s_waitcnt lgkmcnt(0)
	s_barrier
	s_and_saveexec_b64 s[16:17], s[0:1]
	s_cbranch_execz .LBB103_14
; %bb.11:                               ;   in Loop: Header=BB103_2 Depth=1
	s_mov_b64 s[18:19], 0
	v_mov_b32_e32 v59, v44
	v_mov_b32_e32 v4, v38
.LBB103_12:                             ;   Parent Loop BB103_2 Depth=1
                                        ; =>  This Inner Loop Header: Depth=2
	v_sub_u32_e32 v60, v4, v59
	v_lshrrev_b32_e32 v61, 31, v60
	v_add_u32_e32 v60, v60, v61
	v_ashrrev_i32_e32 v60, 1, v60
	v_add_u32_e32 v60, v60, v59
	v_not_b32_e32 v62, v60
	v_add_u32_e32 v61, v9, v60
	v_add3_u32 v62, v10, v62, v21
	ds_read_u8 v61, v61
	ds_read_u8 v62, v62
	v_add_u32_e32 v63, 1, v60
	s_waitcnt lgkmcnt(0)
	v_cmp_lt_u16_e64 s[14:15], v62, v61
	s_nop 1
	v_cndmask_b32_e64 v4, v4, v60, s[14:15]
	v_cndmask_b32_e64 v59, v63, v59, s[14:15]
	v_cmp_ge_i32_e64 s[14:15], v59, v4
	s_or_b64 s[18:19], s[14:15], s[18:19]
	s_andn2_b64 exec, exec, s[18:19]
	s_cbranch_execnz .LBB103_12
; %bb.13:                               ;   in Loop: Header=BB103_2 Depth=1
	s_or_b64 exec, exec, s[18:19]
.LBB103_14:                             ;   in Loop: Header=BB103_2 Depth=1
	s_or_b64 exec, exec, s[16:17]
	v_add_u32_e32 v4, v59, v9
	v_sub_u32_e32 v59, v32, v59
	ds_read_u8 v60, v4
	ds_read_u8 v61, v59
	v_cmp_le_i32_e64 s[16:17], v21, v4
	v_cmp_gt_i32_e64 s[14:15], v22, v59
                                        ; implicit-def: $vgpr62
                                        ; implicit-def: $vgpr63
	s_waitcnt lgkmcnt(0)
	v_cmp_lt_u16_sdwa s[18:19], v61, v60 src0_sel:BYTE_0 src1_sel:BYTE_0
	s_or_b64 s[16:17], s[16:17], s[18:19]
	s_and_b64 s[14:15], s[14:15], s[16:17]
	s_xor_b64 s[16:17], s[14:15], -1
	s_and_saveexec_b64 s[18:19], s[16:17]
	s_xor_b64 s[16:17], exec, s[18:19]
	s_cbranch_execz .LBB103_16
; %bb.15:                               ;   in Loop: Header=BB103_2 Depth=1
	ds_read_u8 v63, v4 offset:1
	v_mov_b32_e32 v62, v61
.LBB103_16:                             ;   in Loop: Header=BB103_2 Depth=1
	s_andn2_saveexec_b64 s[16:17], s[16:17]
	s_cbranch_execz .LBB103_18
; %bb.17:                               ;   in Loop: Header=BB103_2 Depth=1
	ds_read_u8 v62, v59 offset:1
	s_waitcnt lgkmcnt(1)
	v_mov_b32_e32 v63, v60
.LBB103_18:                             ;   in Loop: Header=BB103_2 Depth=1
	s_or_b64 exec, exec, s[16:17]
	v_add_u32_e32 v64, 1, v4
	v_cndmask_b32_e64 v60, v60, v61, s[14:15]
	v_add_u32_e32 v61, 1, v59
	v_cndmask_b32_e64 v64, v64, v4, s[14:15]
	v_cndmask_b32_e64 v61, v59, v61, s[14:15]
	v_cmp_ge_i32_e64 s[16:17], v64, v21
	s_waitcnt lgkmcnt(0)
	v_cmp_lt_u16_sdwa s[18:19], v62, v63 src0_sel:BYTE_0 src1_sel:BYTE_0
	v_cndmask_b32_e64 v4, v4, v59, s[14:15]
	v_cmp_lt_i32_e64 s[14:15], v61, v22
	s_or_b64 s[16:17], s[16:17], s[18:19]
	s_and_b64 s[14:15], s[14:15], s[16:17]
	v_cndmask_b32_e64 v61, v64, v61, s[14:15]
	s_barrier
	ds_write_b8 v6, v2
	ds_write_b8 v6, v3 offset:1
	s_waitcnt lgkmcnt(0)
	s_barrier
	ds_read_u8 v2, v4
	ds_read_u8 v3, v61
	v_cndmask_b32_e64 v59, v63, v62, s[14:15]
	s_waitcnt lgkmcnt(0)
	s_barrier
	ds_write_b8 v6, v60
	ds_write_b8 v6, v59 offset:1
	v_mov_b32_e32 v59, v45
	s_waitcnt lgkmcnt(0)
	s_barrier
	s_and_saveexec_b64 s[16:17], s[2:3]
	s_cbranch_execz .LBB103_22
; %bb.19:                               ;   in Loop: Header=BB103_2 Depth=1
	s_mov_b64 s[18:19], 0
	v_mov_b32_e32 v59, v45
	v_mov_b32_e32 v4, v39
.LBB103_20:                             ;   Parent Loop BB103_2 Depth=1
                                        ; =>  This Inner Loop Header: Depth=2
	v_sub_u32_e32 v60, v4, v59
	v_lshrrev_b32_e32 v61, 31, v60
	v_add_u32_e32 v60, v60, v61
	v_ashrrev_i32_e32 v60, 1, v60
	v_add_u32_e32 v60, v60, v59
	v_not_b32_e32 v62, v60
	v_add_u32_e32 v61, v11, v60
	v_add3_u32 v62, v12, v62, v23
	ds_read_u8 v61, v61
	ds_read_u8 v62, v62
	v_add_u32_e32 v63, 1, v60
	s_waitcnt lgkmcnt(0)
	v_cmp_lt_u16_e64 s[14:15], v62, v61
	s_nop 1
	v_cndmask_b32_e64 v4, v4, v60, s[14:15]
	v_cndmask_b32_e64 v59, v63, v59, s[14:15]
	v_cmp_ge_i32_e64 s[14:15], v59, v4
	s_or_b64 s[18:19], s[14:15], s[18:19]
	s_andn2_b64 exec, exec, s[18:19]
	s_cbranch_execnz .LBB103_20
; %bb.21:                               ;   in Loop: Header=BB103_2 Depth=1
	s_or_b64 exec, exec, s[18:19]
.LBB103_22:                             ;   in Loop: Header=BB103_2 Depth=1
	s_or_b64 exec, exec, s[16:17]
	v_add_u32_e32 v4, v59, v11
	v_sub_u32_e32 v59, v33, v59
	ds_read_u8 v60, v4
	ds_read_u8 v61, v59
	v_cmp_le_i32_e64 s[16:17], v23, v4
	v_cmp_gt_i32_e64 s[14:15], v24, v59
                                        ; implicit-def: $vgpr62
                                        ; implicit-def: $vgpr63
	s_waitcnt lgkmcnt(0)
	v_cmp_lt_u16_sdwa s[18:19], v61, v60 src0_sel:BYTE_0 src1_sel:BYTE_0
	s_or_b64 s[16:17], s[16:17], s[18:19]
	s_and_b64 s[14:15], s[14:15], s[16:17]
	s_xor_b64 s[16:17], s[14:15], -1
	s_and_saveexec_b64 s[18:19], s[16:17]
	s_xor_b64 s[16:17], exec, s[18:19]
	s_cbranch_execz .LBB103_24
; %bb.23:                               ;   in Loop: Header=BB103_2 Depth=1
	ds_read_u8 v63, v4 offset:1
	v_mov_b32_e32 v62, v61
.LBB103_24:                             ;   in Loop: Header=BB103_2 Depth=1
	s_andn2_saveexec_b64 s[16:17], s[16:17]
	s_cbranch_execz .LBB103_26
; %bb.25:                               ;   in Loop: Header=BB103_2 Depth=1
	ds_read_u8 v62, v59 offset:1
	s_waitcnt lgkmcnt(1)
	v_mov_b32_e32 v63, v60
.LBB103_26:                             ;   in Loop: Header=BB103_2 Depth=1
	s_or_b64 exec, exec, s[16:17]
	v_add_u32_e32 v64, 1, v4
	v_cndmask_b32_e64 v60, v60, v61, s[14:15]
	v_add_u32_e32 v61, 1, v59
	v_cndmask_b32_e64 v64, v64, v4, s[14:15]
	v_cndmask_b32_e64 v61, v59, v61, s[14:15]
	v_cmp_ge_i32_e64 s[16:17], v64, v23
	s_waitcnt lgkmcnt(0)
	v_cmp_lt_u16_sdwa s[18:19], v62, v63 src0_sel:BYTE_0 src1_sel:BYTE_0
	v_cndmask_b32_e64 v4, v4, v59, s[14:15]
	v_cmp_lt_i32_e64 s[14:15], v61, v24
	s_or_b64 s[16:17], s[16:17], s[18:19]
	s_and_b64 s[14:15], s[14:15], s[16:17]
	v_cndmask_b32_e64 v61, v64, v61, s[14:15]
	s_barrier
	ds_write_b8 v6, v2
	ds_write_b8 v6, v3 offset:1
	s_waitcnt lgkmcnt(0)
	s_barrier
	ds_read_u8 v2, v4
	ds_read_u8 v3, v61
	v_cndmask_b32_e64 v59, v63, v62, s[14:15]
	s_waitcnt lgkmcnt(0)
	s_barrier
	ds_write_b8 v6, v60
	ds_write_b8 v6, v59 offset:1
	v_mov_b32_e32 v59, v46
	s_waitcnt lgkmcnt(0)
	s_barrier
	s_and_saveexec_b64 s[16:17], s[4:5]
	s_cbranch_execz .LBB103_30
; %bb.27:                               ;   in Loop: Header=BB103_2 Depth=1
	s_mov_b64 s[18:19], 0
	v_mov_b32_e32 v59, v46
	v_mov_b32_e32 v4, v40
.LBB103_28:                             ;   Parent Loop BB103_2 Depth=1
                                        ; =>  This Inner Loop Header: Depth=2
	v_sub_u32_e32 v60, v4, v59
	v_lshrrev_b32_e32 v61, 31, v60
	v_add_u32_e32 v60, v60, v61
	v_ashrrev_i32_e32 v60, 1, v60
	v_add_u32_e32 v60, v60, v59
	v_not_b32_e32 v62, v60
	v_add_u32_e32 v61, v13, v60
	v_add3_u32 v62, v14, v62, v25
	ds_read_u8 v61, v61
	ds_read_u8 v62, v62
	v_add_u32_e32 v63, 1, v60
	s_waitcnt lgkmcnt(0)
	v_cmp_lt_u16_e64 s[14:15], v62, v61
	s_nop 1
	v_cndmask_b32_e64 v4, v4, v60, s[14:15]
	v_cndmask_b32_e64 v59, v63, v59, s[14:15]
	v_cmp_ge_i32_e64 s[14:15], v59, v4
	s_or_b64 s[18:19], s[14:15], s[18:19]
	s_andn2_b64 exec, exec, s[18:19]
	s_cbranch_execnz .LBB103_28
; %bb.29:                               ;   in Loop: Header=BB103_2 Depth=1
	s_or_b64 exec, exec, s[18:19]
.LBB103_30:                             ;   in Loop: Header=BB103_2 Depth=1
	s_or_b64 exec, exec, s[16:17]
	v_add_u32_e32 v4, v59, v13
	v_sub_u32_e32 v59, v34, v59
	ds_read_u8 v60, v4
	ds_read_u8 v61, v59
	v_cmp_le_i32_e64 s[16:17], v25, v4
	v_cmp_gt_i32_e64 s[14:15], v26, v59
                                        ; implicit-def: $vgpr62
                                        ; implicit-def: $vgpr63
	s_waitcnt lgkmcnt(0)
	v_cmp_lt_u16_sdwa s[18:19], v61, v60 src0_sel:BYTE_0 src1_sel:BYTE_0
	s_or_b64 s[16:17], s[16:17], s[18:19]
	s_and_b64 s[14:15], s[14:15], s[16:17]
	s_xor_b64 s[16:17], s[14:15], -1
	s_and_saveexec_b64 s[18:19], s[16:17]
	s_xor_b64 s[16:17], exec, s[18:19]
	s_cbranch_execz .LBB103_32
; %bb.31:                               ;   in Loop: Header=BB103_2 Depth=1
	ds_read_u8 v63, v4 offset:1
	v_mov_b32_e32 v62, v61
.LBB103_32:                             ;   in Loop: Header=BB103_2 Depth=1
	s_andn2_saveexec_b64 s[16:17], s[16:17]
	s_cbranch_execz .LBB103_34
; %bb.33:                               ;   in Loop: Header=BB103_2 Depth=1
	ds_read_u8 v62, v59 offset:1
	s_waitcnt lgkmcnt(1)
	v_mov_b32_e32 v63, v60
.LBB103_34:                             ;   in Loop: Header=BB103_2 Depth=1
	s_or_b64 exec, exec, s[16:17]
	v_add_u32_e32 v64, 1, v4
	v_cndmask_b32_e64 v60, v60, v61, s[14:15]
	v_add_u32_e32 v61, 1, v59
	v_cndmask_b32_e64 v64, v64, v4, s[14:15]
	v_cndmask_b32_e64 v61, v59, v61, s[14:15]
	v_cmp_ge_i32_e64 s[16:17], v64, v25
	s_waitcnt lgkmcnt(0)
	v_cmp_lt_u16_sdwa s[18:19], v62, v63 src0_sel:BYTE_0 src1_sel:BYTE_0
	v_cndmask_b32_e64 v4, v4, v59, s[14:15]
	v_cmp_lt_i32_e64 s[14:15], v61, v26
	s_or_b64 s[16:17], s[16:17], s[18:19]
	s_and_b64 s[14:15], s[14:15], s[16:17]
	v_cndmask_b32_e64 v61, v64, v61, s[14:15]
	s_barrier
	ds_write_b8 v6, v2
	ds_write_b8 v6, v3 offset:1
	s_waitcnt lgkmcnt(0)
	s_barrier
	ds_read_u8 v2, v4
	ds_read_u8 v3, v61
	v_cndmask_b32_e64 v59, v63, v62, s[14:15]
	s_waitcnt lgkmcnt(0)
	s_barrier
	ds_write_b8 v6, v60
	ds_write_b8 v6, v59 offset:1
	v_mov_b32_e32 v59, v47
	s_waitcnt lgkmcnt(0)
	s_barrier
	s_and_saveexec_b64 s[16:17], s[6:7]
	s_cbranch_execz .LBB103_38
; %bb.35:                               ;   in Loop: Header=BB103_2 Depth=1
	s_mov_b64 s[18:19], 0
	v_mov_b32_e32 v59, v47
	v_mov_b32_e32 v4, v41
.LBB103_36:                             ;   Parent Loop BB103_2 Depth=1
                                        ; =>  This Inner Loop Header: Depth=2
	v_sub_u32_e32 v60, v4, v59
	v_lshrrev_b32_e32 v61, 31, v60
	v_add_u32_e32 v60, v60, v61
	v_ashrrev_i32_e32 v60, 1, v60
	v_add_u32_e32 v60, v60, v59
	v_not_b32_e32 v62, v60
	v_add_u32_e32 v61, v15, v60
	v_add3_u32 v62, v16, v62, v27
	ds_read_u8 v61, v61
	ds_read_u8 v62, v62
	v_add_u32_e32 v63, 1, v60
	s_waitcnt lgkmcnt(0)
	v_cmp_lt_u16_e64 s[14:15], v62, v61
	s_nop 1
	v_cndmask_b32_e64 v4, v4, v60, s[14:15]
	v_cndmask_b32_e64 v59, v63, v59, s[14:15]
	v_cmp_ge_i32_e64 s[14:15], v59, v4
	s_or_b64 s[18:19], s[14:15], s[18:19]
	s_andn2_b64 exec, exec, s[18:19]
	s_cbranch_execnz .LBB103_36
; %bb.37:                               ;   in Loop: Header=BB103_2 Depth=1
	s_or_b64 exec, exec, s[18:19]
.LBB103_38:                             ;   in Loop: Header=BB103_2 Depth=1
	s_or_b64 exec, exec, s[16:17]
	v_add_u32_e32 v4, v59, v15
	v_sub_u32_e32 v59, v35, v59
	ds_read_u8 v60, v4
	ds_read_u8 v61, v59
	v_cmp_le_i32_e64 s[16:17], v27, v4
	v_cmp_gt_i32_e64 s[14:15], v28, v59
                                        ; implicit-def: $vgpr62
                                        ; implicit-def: $vgpr63
	s_waitcnt lgkmcnt(0)
	v_cmp_lt_u16_sdwa s[18:19], v61, v60 src0_sel:BYTE_0 src1_sel:BYTE_0
	s_or_b64 s[16:17], s[16:17], s[18:19]
	s_and_b64 s[14:15], s[14:15], s[16:17]
	s_xor_b64 s[16:17], s[14:15], -1
	s_and_saveexec_b64 s[18:19], s[16:17]
	s_xor_b64 s[16:17], exec, s[18:19]
	s_cbranch_execz .LBB103_40
; %bb.39:                               ;   in Loop: Header=BB103_2 Depth=1
	ds_read_u8 v63, v4 offset:1
	v_mov_b32_e32 v62, v61
.LBB103_40:                             ;   in Loop: Header=BB103_2 Depth=1
	s_andn2_saveexec_b64 s[16:17], s[16:17]
	s_cbranch_execz .LBB103_42
; %bb.41:                               ;   in Loop: Header=BB103_2 Depth=1
	ds_read_u8 v62, v59 offset:1
	s_waitcnt lgkmcnt(1)
	v_mov_b32_e32 v63, v60
.LBB103_42:                             ;   in Loop: Header=BB103_2 Depth=1
	s_or_b64 exec, exec, s[16:17]
	v_add_u32_e32 v64, 1, v4
	v_cndmask_b32_e64 v60, v60, v61, s[14:15]
	v_add_u32_e32 v61, 1, v59
	v_cndmask_b32_e64 v64, v64, v4, s[14:15]
	v_cndmask_b32_e64 v61, v59, v61, s[14:15]
	v_cmp_ge_i32_e64 s[16:17], v64, v27
	s_waitcnt lgkmcnt(0)
	v_cmp_lt_u16_sdwa s[18:19], v62, v63 src0_sel:BYTE_0 src1_sel:BYTE_0
	v_cndmask_b32_e64 v4, v4, v59, s[14:15]
	v_cmp_lt_i32_e64 s[14:15], v61, v28
	s_or_b64 s[16:17], s[16:17], s[18:19]
	s_and_b64 s[14:15], s[14:15], s[16:17]
	v_cndmask_b32_e64 v61, v64, v61, s[14:15]
	s_barrier
	ds_write_b8 v6, v2
	ds_write_b8 v6, v3 offset:1
	s_waitcnt lgkmcnt(0)
	s_barrier
	ds_read_u8 v2, v4
	ds_read_u8 v3, v61
	v_cndmask_b32_e64 v59, v63, v62, s[14:15]
	s_waitcnt lgkmcnt(0)
	s_barrier
	ds_write_b8 v6, v60
	ds_write_b8 v6, v59 offset:1
	v_mov_b32_e32 v59, v48
	s_waitcnt lgkmcnt(0)
	s_barrier
	s_and_saveexec_b64 s[16:17], s[8:9]
	s_cbranch_execz .LBB103_46
; %bb.43:                               ;   in Loop: Header=BB103_2 Depth=1
	s_mov_b64 s[18:19], 0
	v_mov_b32_e32 v59, v48
	v_mov_b32_e32 v4, v42
.LBB103_44:                             ;   Parent Loop BB103_2 Depth=1
                                        ; =>  This Inner Loop Header: Depth=2
	v_sub_u32_e32 v60, v4, v59
	v_lshrrev_b32_e32 v61, 31, v60
	v_add_u32_e32 v60, v60, v61
	v_ashrrev_i32_e32 v60, 1, v60
	v_add_u32_e32 v60, v60, v59
	v_not_b32_e32 v62, v60
	v_add_u32_e32 v61, v17, v60
	v_add3_u32 v62, v18, v62, v29
	ds_read_u8 v61, v61
	ds_read_u8 v62, v62
	v_add_u32_e32 v63, 1, v60
	s_waitcnt lgkmcnt(0)
	v_cmp_lt_u16_e64 s[14:15], v62, v61
	s_nop 1
	v_cndmask_b32_e64 v4, v4, v60, s[14:15]
	v_cndmask_b32_e64 v59, v63, v59, s[14:15]
	v_cmp_ge_i32_e64 s[14:15], v59, v4
	s_or_b64 s[18:19], s[14:15], s[18:19]
	s_andn2_b64 exec, exec, s[18:19]
	s_cbranch_execnz .LBB103_44
; %bb.45:                               ;   in Loop: Header=BB103_2 Depth=1
	s_or_b64 exec, exec, s[18:19]
.LBB103_46:                             ;   in Loop: Header=BB103_2 Depth=1
	s_or_b64 exec, exec, s[16:17]
	v_add_u32_e32 v4, v59, v17
	v_sub_u32_e32 v59, v36, v59
	ds_read_u8 v60, v4
	ds_read_u8 v61, v59
	v_cmp_le_i32_e64 s[16:17], v29, v4
	v_cmp_gt_i32_e64 s[14:15], v30, v59
                                        ; implicit-def: $vgpr62
                                        ; implicit-def: $vgpr63
	s_waitcnt lgkmcnt(0)
	v_cmp_lt_u16_sdwa s[18:19], v61, v60 src0_sel:BYTE_0 src1_sel:BYTE_0
	s_or_b64 s[16:17], s[16:17], s[18:19]
	s_and_b64 s[14:15], s[14:15], s[16:17]
	s_xor_b64 s[16:17], s[14:15], -1
	s_and_saveexec_b64 s[18:19], s[16:17]
	s_xor_b64 s[16:17], exec, s[18:19]
	s_cbranch_execz .LBB103_48
; %bb.47:                               ;   in Loop: Header=BB103_2 Depth=1
	ds_read_u8 v63, v4 offset:1
	v_mov_b32_e32 v62, v61
.LBB103_48:                             ;   in Loop: Header=BB103_2 Depth=1
	s_andn2_saveexec_b64 s[16:17], s[16:17]
	s_cbranch_execz .LBB103_50
; %bb.49:                               ;   in Loop: Header=BB103_2 Depth=1
	ds_read_u8 v62, v59 offset:1
	s_waitcnt lgkmcnt(1)
	v_mov_b32_e32 v63, v60
.LBB103_50:                             ;   in Loop: Header=BB103_2 Depth=1
	s_or_b64 exec, exec, s[16:17]
	v_add_u32_e32 v64, 1, v4
	v_cndmask_b32_e64 v60, v60, v61, s[14:15]
	v_add_u32_e32 v61, 1, v59
	v_cndmask_b32_e64 v64, v64, v4, s[14:15]
	v_cndmask_b32_e64 v61, v59, v61, s[14:15]
	v_cmp_ge_i32_e64 s[16:17], v64, v29
	s_waitcnt lgkmcnt(0)
	v_cmp_lt_u16_sdwa s[18:19], v62, v63 src0_sel:BYTE_0 src1_sel:BYTE_0
	v_cndmask_b32_e64 v4, v4, v59, s[14:15]
	v_cmp_lt_i32_e64 s[14:15], v61, v30
	s_or_b64 s[16:17], s[16:17], s[18:19]
	s_and_b64 s[14:15], s[14:15], s[16:17]
	v_cndmask_b32_e64 v61, v64, v61, s[14:15]
	s_barrier
	ds_write_b8 v6, v2
	ds_write_b8 v6, v3 offset:1
	s_waitcnt lgkmcnt(0)
	s_barrier
	ds_read_u8 v2, v4
	ds_read_u8 v3, v61
	v_cndmask_b32_e64 v59, v63, v62, s[14:15]
	s_waitcnt lgkmcnt(0)
	s_barrier
	ds_write_b8 v6, v60
	ds_write_b8 v6, v59 offset:1
	v_mov_b32_e32 v59, v53
	s_waitcnt lgkmcnt(0)
	s_barrier
	s_and_saveexec_b64 s[16:17], s[10:11]
	s_cbranch_execz .LBB103_54
; %bb.51:                               ;   in Loop: Header=BB103_2 Depth=1
	s_mov_b64 s[18:19], 0
	v_mov_b32_e32 v59, v53
	v_mov_b32_e32 v4, v54
.LBB103_52:                             ;   Parent Loop BB103_2 Depth=1
                                        ; =>  This Inner Loop Header: Depth=2
	v_sub_u32_e32 v60, v4, v59
	v_lshrrev_b32_e32 v61, 31, v60
	v_add_u32_e32 v60, v60, v61
	v_ashrrev_i32_e32 v60, 1, v60
	v_add_u32_e32 v60, v60, v59
	v_not_b32_e32 v62, v60
	v_add_u32_e32 v61, v49, v60
	v_add3_u32 v62, v50, v62, v51
	ds_read_u8 v61, v61
	ds_read_u8 v62, v62
	v_add_u32_e32 v63, 1, v60
	s_waitcnt lgkmcnt(0)
	v_cmp_lt_u16_e64 s[14:15], v62, v61
	s_nop 1
	v_cndmask_b32_e64 v4, v4, v60, s[14:15]
	v_cndmask_b32_e64 v59, v63, v59, s[14:15]
	v_cmp_ge_i32_e64 s[14:15], v59, v4
	s_or_b64 s[18:19], s[14:15], s[18:19]
	s_andn2_b64 exec, exec, s[18:19]
	s_cbranch_execnz .LBB103_52
; %bb.53:                               ;   in Loop: Header=BB103_2 Depth=1
	s_or_b64 exec, exec, s[18:19]
.LBB103_54:                             ;   in Loop: Header=BB103_2 Depth=1
	s_or_b64 exec, exec, s[16:17]
	v_add_u32_e32 v4, v59, v49
	v_sub_u32_e32 v59, v55, v59
	ds_read_u8 v60, v4
	ds_read_u8 v61, v59
	v_cmp_le_i32_e64 s[16:17], v51, v4
	v_cmp_gt_i32_e64 s[14:15], v52, v59
                                        ; implicit-def: $vgpr62
                                        ; implicit-def: $vgpr63
	s_waitcnt lgkmcnt(0)
	v_cmp_lt_u16_sdwa s[18:19], v61, v60 src0_sel:BYTE_0 src1_sel:BYTE_0
	s_or_b64 s[16:17], s[16:17], s[18:19]
	s_and_b64 s[14:15], s[14:15], s[16:17]
	s_xor_b64 s[16:17], s[14:15], -1
	s_and_saveexec_b64 s[18:19], s[16:17]
	s_xor_b64 s[16:17], exec, s[18:19]
	s_cbranch_execz .LBB103_56
; %bb.55:                               ;   in Loop: Header=BB103_2 Depth=1
	ds_read_u8 v63, v4 offset:1
	v_mov_b32_e32 v62, v61
.LBB103_56:                             ;   in Loop: Header=BB103_2 Depth=1
	s_andn2_saveexec_b64 s[16:17], s[16:17]
	s_cbranch_execz .LBB103_58
; %bb.57:                               ;   in Loop: Header=BB103_2 Depth=1
	ds_read_u8 v62, v59 offset:1
	s_waitcnt lgkmcnt(1)
	v_mov_b32_e32 v63, v60
.LBB103_58:                             ;   in Loop: Header=BB103_2 Depth=1
	s_or_b64 exec, exec, s[16:17]
	v_add_u32_e32 v64, 1, v4
	v_cndmask_b32_e64 v61, v60, v61, s[14:15]
	v_add_u32_e32 v60, 1, v59
	v_cndmask_b32_e64 v64, v64, v4, s[14:15]
	v_cndmask_b32_e64 v60, v59, v60, s[14:15]
	v_cmp_ge_i32_e64 s[16:17], v64, v51
	s_waitcnt lgkmcnt(0)
	v_cmp_lt_u16_sdwa s[18:19], v62, v63 src0_sel:BYTE_0 src1_sel:BYTE_0
	v_cndmask_b32_e64 v4, v4, v59, s[14:15]
	v_cmp_lt_i32_e64 s[14:15], v60, v52
	s_or_b64 s[16:17], s[16:17], s[18:19]
	s_and_b64 s[14:15], s[14:15], s[16:17]
	v_cndmask_b32_e64 v60, v64, v60, s[14:15]
	s_barrier
	ds_write_b8 v6, v2
	ds_write_b8 v6, v3 offset:1
	s_waitcnt lgkmcnt(0)
	s_barrier
	ds_read_u8 v59, v4
	ds_read_u8 v60, v60
	v_mov_b32_e32 v2, v56
	v_cndmask_b32_e64 v62, v63, v62, s[14:15]
	s_waitcnt lgkmcnt(0)
	s_barrier
	ds_write_b8 v6, v61
	ds_write_b8 v6, v62 offset:1
	s_waitcnt lgkmcnt(0)
	s_barrier
	s_and_saveexec_b64 s[16:17], s[12:13]
	s_cbranch_execz .LBB103_62
; %bb.59:                               ;   in Loop: Header=BB103_2 Depth=1
	s_mov_b64 s[18:19], 0
	v_mov_b32_e32 v2, v56
	v_mov_b32_e32 v3, v57
.LBB103_60:                             ;   Parent Loop BB103_2 Depth=1
                                        ; =>  This Inner Loop Header: Depth=2
	v_sub_u32_e32 v4, v3, v2
	v_lshrrev_b32_e32 v61, 31, v4
	v_add_u32_e32 v4, v4, v61
	v_ashrrev_i32_e32 v4, 1, v4
	v_add_u32_e32 v4, v4, v2
	v_not_b32_e32 v61, v4
	v_add3_u32 v61, v6, v61, v5
	ds_read_u8 v62, v4
	ds_read_u8 v61, v61
	v_add_u32_e32 v63, 1, v4
	s_waitcnt lgkmcnt(0)
	v_cmp_lt_u16_e64 s[14:15], v61, v62
	s_nop 1
	v_cndmask_b32_e64 v3, v3, v4, s[14:15]
	v_cndmask_b32_e64 v2, v63, v2, s[14:15]
	v_cmp_ge_i32_e64 s[14:15], v2, v3
	s_or_b64 s[18:19], s[14:15], s[18:19]
	s_andn2_b64 exec, exec, s[18:19]
	s_cbranch_execnz .LBB103_60
; %bb.61:                               ;   in Loop: Header=BB103_2 Depth=1
	s_or_b64 exec, exec, s[18:19]
.LBB103_62:                             ;   in Loop: Header=BB103_2 Depth=1
	s_or_b64 exec, exec, s[16:17]
	v_sub_u32_e32 v4, v58, v2
	ds_read_u8 v61, v2
	ds_read_u8 v62, v4
	v_cmp_le_i32_e64 s[16:17], v5, v2
	v_cmp_gt_i32_e64 s[14:15], s27, v4
                                        ; implicit-def: $vgpr64
                                        ; implicit-def: $vgpr3
                                        ; implicit-def: $vgpr63
	s_waitcnt lgkmcnt(0)
	v_cmp_lt_u16_sdwa s[18:19], v62, v61 src0_sel:BYTE_0 src1_sel:BYTE_0
	s_or_b64 s[16:17], s[16:17], s[18:19]
	s_and_b64 s[14:15], s[14:15], s[16:17]
	s_xor_b64 s[16:17], s[14:15], -1
	s_and_saveexec_b64 s[18:19], s[16:17]
	s_xor_b64 s[16:17], exec, s[18:19]
	s_cbranch_execz .LBB103_64
; %bb.63:                               ;   in Loop: Header=BB103_2 Depth=1
	ds_read_u8 v3, v2 offset:1
	v_add_u32_e32 v63, 1, v2
	v_mov_b32_e32 v64, v62
.LBB103_64:                             ;   in Loop: Header=BB103_2 Depth=1
	s_andn2_saveexec_b64 s[16:17], s[16:17]
	s_cbranch_execz .LBB103_1
; %bb.65:                               ;   in Loop: Header=BB103_2 Depth=1
	ds_read_u8 v64, v4 offset:1
	v_mov_b32_e32 v63, v2
	v_add_u32_e32 v65, 1, v4
	s_waitcnt lgkmcnt(1)
	v_mov_b64_e32 v[2:3], v[4:5]
	v_mov_b32_e32 v4, v65
	v_mov_b32_e32 v3, v61
	s_branch .LBB103_1
.LBB103_66:
	s_add_u32 s0, s22, s24
	s_addc_u32 s1, s23, 0
	v_add_u16_e32 v2, v60, v4
	v_lshl_add_u64 v[0:1], s[0:1], 0, v[0:1]
	v_add_u16_e32 v3, v64, v59
	global_store_byte v[0:1], v2, off
	global_store_byte v[0:1], v3, off offset:256
	s_endpgm
	.section	.rodata,"a",@progbits
	.p2align	6, 0x0
	.amdhsa_kernel _Z17sort_pairs_kernelIhLj256ELj2EN10test_utils4lessELj10EEvPKT_PS2_T2_
		.amdhsa_group_segment_fixed_size 513
		.amdhsa_private_segment_fixed_size 0
		.amdhsa_kernarg_size 20
		.amdhsa_user_sgpr_count 2
		.amdhsa_user_sgpr_dispatch_ptr 0
		.amdhsa_user_sgpr_queue_ptr 0
		.amdhsa_user_sgpr_kernarg_segment_ptr 1
		.amdhsa_user_sgpr_dispatch_id 0
		.amdhsa_user_sgpr_kernarg_preload_length 0
		.amdhsa_user_sgpr_kernarg_preload_offset 0
		.amdhsa_user_sgpr_private_segment_size 0
		.amdhsa_uses_dynamic_stack 0
		.amdhsa_enable_private_segment 0
		.amdhsa_system_sgpr_workgroup_id_x 1
		.amdhsa_system_sgpr_workgroup_id_y 0
		.amdhsa_system_sgpr_workgroup_id_z 0
		.amdhsa_system_sgpr_workgroup_info 0
		.amdhsa_system_vgpr_workitem_id 0
		.amdhsa_next_free_vgpr 66
		.amdhsa_next_free_sgpr 28
		.amdhsa_accum_offset 68
		.amdhsa_reserve_vcc 1
		.amdhsa_float_round_mode_32 0
		.amdhsa_float_round_mode_16_64 0
		.amdhsa_float_denorm_mode_32 3
		.amdhsa_float_denorm_mode_16_64 3
		.amdhsa_dx10_clamp 1
		.amdhsa_ieee_mode 1
		.amdhsa_fp16_overflow 0
		.amdhsa_tg_split 0
		.amdhsa_exception_fp_ieee_invalid_op 0
		.amdhsa_exception_fp_denorm_src 0
		.amdhsa_exception_fp_ieee_div_zero 0
		.amdhsa_exception_fp_ieee_overflow 0
		.amdhsa_exception_fp_ieee_underflow 0
		.amdhsa_exception_fp_ieee_inexact 0
		.amdhsa_exception_int_div_zero 0
	.end_amdhsa_kernel
	.section	.text._Z17sort_pairs_kernelIhLj256ELj2EN10test_utils4lessELj10EEvPKT_PS2_T2_,"axG",@progbits,_Z17sort_pairs_kernelIhLj256ELj2EN10test_utils4lessELj10EEvPKT_PS2_T2_,comdat
.Lfunc_end103:
	.size	_Z17sort_pairs_kernelIhLj256ELj2EN10test_utils4lessELj10EEvPKT_PS2_T2_, .Lfunc_end103-_Z17sort_pairs_kernelIhLj256ELj2EN10test_utils4lessELj10EEvPKT_PS2_T2_
                                        ; -- End function
	.section	.AMDGPU.csdata,"",@progbits
; Kernel info:
; codeLenInByte = 4088
; NumSgprs: 34
; NumVgprs: 66
; NumAgprs: 0
; TotalNumVgprs: 66
; ScratchSize: 0
; MemoryBound: 0
; FloatMode: 240
; IeeeMode: 1
; LDSByteSize: 513 bytes/workgroup (compile time only)
; SGPRBlocks: 4
; VGPRBlocks: 8
; NumSGPRsForWavesPerEU: 34
; NumVGPRsForWavesPerEU: 66
; AccumOffset: 68
; Occupancy: 7
; WaveLimiterHint : 1
; COMPUTE_PGM_RSRC2:SCRATCH_EN: 0
; COMPUTE_PGM_RSRC2:USER_SGPR: 2
; COMPUTE_PGM_RSRC2:TRAP_HANDLER: 0
; COMPUTE_PGM_RSRC2:TGID_X_EN: 1
; COMPUTE_PGM_RSRC2:TGID_Y_EN: 0
; COMPUTE_PGM_RSRC2:TGID_Z_EN: 0
; COMPUTE_PGM_RSRC2:TIDIG_COMP_CNT: 0
; COMPUTE_PGM_RSRC3_GFX90A:ACCUM_OFFSET: 16
; COMPUTE_PGM_RSRC3_GFX90A:TG_SPLIT: 0
	.section	.text._Z16sort_keys_kernelIhLj256ELj3EN10test_utils4lessELj10EEvPKT_PS2_T2_,"axG",@progbits,_Z16sort_keys_kernelIhLj256ELj3EN10test_utils4lessELj10EEvPKT_PS2_T2_,comdat
	.protected	_Z16sort_keys_kernelIhLj256ELj3EN10test_utils4lessELj10EEvPKT_PS2_T2_ ; -- Begin function _Z16sort_keys_kernelIhLj256ELj3EN10test_utils4lessELj10EEvPKT_PS2_T2_
	.globl	_Z16sort_keys_kernelIhLj256ELj3EN10test_utils4lessELj10EEvPKT_PS2_T2_
	.p2align	8
	.type	_Z16sort_keys_kernelIhLj256ELj3EN10test_utils4lessELj10EEvPKT_PS2_T2_,@function
_Z16sort_keys_kernelIhLj256ELj3EN10test_utils4lessELj10EEvPKT_PS2_T2_: ; @_Z16sort_keys_kernelIhLj256ELj3EN10test_utils4lessELj10EEvPKT_PS2_T2_
; %bb.0:
	s_load_dwordx4 s[20:23], s[0:1], 0x0
	s_mul_i32 s24, s2, 0x300
	v_and_b32_e32 v3, 0xfe, v0
	v_and_b32_e32 v5, 0xfc, v0
	v_mul_u32_u24_e32 v9, 3, v3
	s_waitcnt lgkmcnt(0)
	s_add_u32 s0, s20, s24
	s_addc_u32 s1, s21, 0
	global_load_ubyte v33, v0, s[0:1]
	global_load_ubyte v34, v0, s[0:1] offset:256
	global_load_ubyte v35, v0, s[0:1] offset:512
	v_and_b32_e32 v4, 1, v0
	v_and_b32_e32 v6, 0xf8, v0
	;; [unrolled: 1-line block ×3, first 2 shown]
	v_mul_u32_u24_e32 v10, 3, v5
	v_min_u32_e32 v13, 0x2fd, v9
	v_min_u32_e32 v14, 0x2fa, v9
	v_and_b32_e32 v7, 0xf0, v0
	v_cmp_eq_u32_e32 vcc, 1, v4
	v_mul_u32_u24_e32 v11, 3, v6
	v_mul_u32_u24_e32 v36, 3, v8
	v_min_u32_e32 v15, 0x2fa, v10
	v_min_u32_e32 v16, 0x2f4, v10
	v_add_u32_e32 v13, 3, v13
	v_add_u32_e32 v14, 6, v14
	v_and_b32_e32 v22, 3, v0
	v_cndmask_b32_e64 v3, 0, 3, vcc
	v_mul_u32_u24_e32 v12, 3, v7
	v_min_u32_e32 v17, 0x2f4, v11
	v_min_u32_e32 v18, 0x2e8, v11
	v_add_u32_e32 v15, 6, v15
	v_add_u32_e32 v16, 12, v16
	v_sub_u32_e32 v29, v14, v13
	v_and_b32_e32 v23, 7, v0
	v_and_b32_e32 v37, 31, v0
	v_mul_u32_u24_e32 v4, 3, v22
	v_min_u32_e32 v19, 0x2e8, v12
	v_min_u32_e32 v20, 0x2d0, v12
	v_add_u32_e32 v17, 12, v17
	v_add_u32_e32 v18, 24, v18
	v_sub_u32_e32 v30, v16, v15
	v_sub_u32_e32 v38, v3, v29
	v_cmp_ge_i32_e32 vcc, v3, v29
	v_and_b32_e32 v24, 15, v0
	v_mul_u32_u24_e32 v5, 3, v23
	v_mul_u32_u24_e32 v7, 3, v37
	v_add_u32_e32 v19, 24, v19
	v_add_u32_e32 v20, 48, v20
	v_sub_u32_e32 v31, v18, v17
	v_sub_u32_e32 v39, v4, v30
	v_cndmask_b32_e32 v29, 0, v38, vcc
	v_cmp_ge_i32_e32 vcc, v4, v30
	v_mul_u32_u24_e32 v6, 3, v24
	v_sub_u32_e32 v32, v20, v19
	v_sub_u32_e32 v40, v5, v31
	v_cndmask_b32_e32 v30, 0, v39, vcc
	v_cmp_ge_i32_e32 vcc, v5, v31
	v_sub_u32_e32 v41, v6, v32
	v_and_b32_e32 v44, 63, v0
	v_cndmask_b32_e32 v31, 0, v40, vcc
	v_cmp_ge_i32_e32 vcc, v6, v32
	v_and_b32_e32 v52, 0x7f, v0
	v_min_u32_e32 v8, 0x300, v9
	v_cndmask_b32_e32 v32, 0, v41, vcc
	v_min_u32_e32 v9, 0x300, v10
	v_min_u32_e32 v10, 0x300, v11
	;; [unrolled: 1-line block ×4, first 2 shown]
	v_mul_u32_u24_e32 v2, 3, v0
	v_sub_u32_e32 v25, v13, v8
	v_sub_u32_e32 v26, v15, v9
	;; [unrolled: 1-line block ×4, first 2 shown]
	v_mov_b32_e32 v48, 0x180
	v_min_i32_e32 v25, v3, v25
	v_min_i32_e32 v26, v4, v26
	;; [unrolled: 1-line block ×5, first 2 shown]
	s_movk_i32 s20, 0x300
	s_mov_b32 s21, 0
	v_mov_b32_e32 v1, 0
	v_add_u32_e32 v21, v13, v3
	v_mad_u32_u24 v22, v22, 3, v15
	v_mad_u32_u24 v23, v23, 3, v17
	;; [unrolled: 1-line block ×3, first 2 shown]
	v_cmp_lt_i32_e32 vcc, v29, v25
	v_cmp_lt_i32_e64 s[0:1], v30, v26
	v_cmp_lt_i32_e64 s[2:3], v31, v27
	s_waitcnt vmcnt(1)
	v_lshlrev_b16_e32 v34, 8, v34
	v_or_b32_e32 v33, v33, v34
	v_and_b32_e32 v33, 0xffff, v33
	s_waitcnt vmcnt(0)
	v_lshl_or_b32 v57, v35, 16, v33
	v_min_u32_e32 v33, 0x2d0, v36
	v_min_u32_e32 v34, 0x2a0, v36
	v_add_u32_e32 v33, 48, v33
	v_add_u32_e32 v34, 0x60, v34
	v_sub_u32_e32 v35, v34, v33
	v_sub_u32_e32 v38, v7, v35
	v_cmp_ge_i32_e64 s[6:7], v7, v35
	v_sub_u32_e32 v36, v33, v12
	v_min_i32_e32 v36, v7, v36
	v_cndmask_b32_e64 v35, 0, v38, s[6:7]
	v_and_b32_e32 v38, 0xc0, v0
	v_mul_u32_u24_e32 v41, 3, v38
	v_min_u32_e32 v39, 0x300, v41
	v_min_u32_e32 v40, 0x2a0, v41
	;; [unrolled: 1-line block ×3, first 2 shown]
	v_add_u32_e32 v40, 0x60, v40
	v_add_u32_e32 v41, 0xc0, v41
	v_mul_u32_u24_e32 v38, 3, v44
	v_sub_u32_e32 v42, v41, v40
	v_sub_u32_e32 v45, v38, v42
	v_cmp_ge_i32_e64 s[8:9], v38, v42
	v_sub_u32_e32 v43, v40, v39
	v_min_i32_e32 v43, v38, v43
	v_cndmask_b32_e64 v42, 0, v45, s[8:9]
	v_and_b32_e32 v45, 0x80, v0
	v_mul_u32_u24_e32 v49, 3, v45
	v_min_u32_e32 v46, 0x300, v49
	v_min_u32_e32 v47, 0x240, v49
	;; [unrolled: 1-line block ×3, first 2 shown]
	v_add_u32_e32 v47, 0xc0, v47
	v_add_u32_e32 v49, 0x180, v49
	v_mul_u32_u24_e32 v45, 3, v52
	v_sub_u32_e32 v50, v49, v47
	v_sub_u32_e32 v51, v47, v46
	;; [unrolled: 1-line block ×3, first 2 shown]
	v_cmp_ge_i32_e64 s[10:11], v45, v50
	v_min_i32_e32 v51, v45, v51
	v_cmp_lt_i32_e64 s[4:5], v32, v28
	v_cndmask_b32_e64 v50, 0, v53, s[10:11]
	v_sub_u32_e64 v53, v2, v48 clamp
	v_cmp_lt_i32_e64 s[6:7], v35, v36
	v_mad_u32_u24 v37, v37, 3, v33
	v_cmp_lt_i32_e64 s[8:9], v42, v43
	v_mad_u32_u24 v44, v44, 3, v40
	;; [unrolled: 2-line block ×4, first 2 shown]
	s_mov_b32 s25, 0x7060405
	s_movk_i32 s26, 0xff
	s_movk_i32 s27, 0xff00
	s_mov_b32 s28, 0xffff0000
	v_mov_b32_e32 v56, 8
	s_branch .LBB104_2
.LBB104_1:                              ;   in Loop: Header=BB104_2 Depth=1
	s_or_b64 exec, exec, s[18:19]
	v_cndmask_b32_e64 v60, v61, v60, s[16:17]
	v_cmp_ge_i32_e64 s[16:17], v64, v48
	s_waitcnt lgkmcnt(0)
	v_cmp_lt_u16_sdwa s[18:19], v65, v59 src0_sel:BYTE_0 src1_sel:BYTE_0
	v_cndmask_b32_e64 v58, v57, v58, s[14:15]
	v_cmp_gt_i32_e64 s[14:15], s20, v62
	s_or_b64 s[16:17], s[16:17], s[18:19]
	s_and_b64 s[14:15], s[14:15], s[16:17]
	v_cndmask_b32_e64 v59, v59, v65, s[14:15]
	v_lshlrev_b16_e32 v57, 8, v60
	v_and_b32_e32 v61, 0xff, v59
	v_or_b32_sdwa v57, v58, v57 dst_sel:DWORD dst_unused:UNUSED_PAD src0_sel:BYTE_0 src1_sel:DWORD
	v_lshlrev_b32_e32 v61, 16, v61
	s_add_i32 s21, s21, 1
	s_cmp_eq_u32 s21, 10
	v_or_b32_sdwa v57, v57, v61 dst_sel:DWORD dst_unused:UNUSED_PAD src0_sel:WORD_0 src1_sel:DWORD
	s_cbranch_scc1 .LBB104_98
.LBB104_2:                              ; =>This Loop Header: Depth=1
                                        ;     Child Loop BB104_4 Depth 2
                                        ;     Child Loop BB104_16 Depth 2
	;; [unrolled: 1-line block ×8, first 2 shown]
	v_lshrrev_b32_e32 v59, 8, v57
	v_perm_b32 v58, v57, v57, s25
	v_cmp_lt_u16_sdwa s[14:15], v59, v57 src0_sel:BYTE_0 src1_sel:BYTE_0
	v_max_u16_sdwa v61, v59, v57 dst_sel:DWORD dst_unused:UNUSED_PAD src0_sel:BYTE_0 src1_sel:BYTE_0
	s_nop 0
	v_cndmask_b32_e64 v58, v57, v58, s[14:15]
	v_and_b32_sdwa v60, v58, s27 dst_sel:DWORD dst_unused:UNUSED_PAD src0_sel:WORD_1 src1_sel:DWORD
	v_lshlrev_b16_sdwa v62, v56, v58 dst_sel:DWORD dst_unused:UNUSED_PAD src0_sel:DWORD src1_sel:WORD_1
	v_or_b32_sdwa v60, v61, v60 dst_sel:WORD_1 dst_unused:UNUSED_PAD src0_sel:DWORD src1_sel:DWORD
	v_min_u16_sdwa v57, v59, v57 dst_sel:DWORD dst_unused:UNUSED_PAD src0_sel:BYTE_0 src1_sel:BYTE_0
	v_and_b32_sdwa v59, v58, s26 dst_sel:DWORD dst_unused:UNUSED_PAD src0_sel:WORD_1 src1_sel:DWORD
	v_or_b32_sdwa v62, v58, v62 dst_sel:DWORD dst_unused:UNUSED_PAD src0_sel:BYTE_0 src1_sel:DWORD
	v_or_b32_sdwa v60, v62, v60 dst_sel:DWORD dst_unused:UNUSED_PAD src0_sel:WORD_0 src1_sel:DWORD
	v_cmp_lt_u16_e64 s[14:15], v59, v61
	s_barrier
	s_nop 0
	v_cndmask_b32_e64 v58, v58, v60, s[14:15]
	v_min_u16_e32 v60, v59, v61
	v_lshlrev_b16_e32 v61, 8, v57
	v_or_b32_e32 v60, v60, v61
	v_and_b32_e32 v60, 0xffff, v60
	v_and_or_b32 v60, v58, s28, v60
	v_cmp_lt_u16_e64 s[14:15], v59, v57
	s_nop 1
	v_cndmask_b32_e64 v57, v58, v60, s[14:15]
	v_lshrrev_b32_e32 v58, 8, v57
	ds_write_b8 v2, v57
	ds_write_b8 v2, v58 offset:1
	ds_write_b8_d16_hi v2, v57 offset:2
	v_mov_b32_e32 v57, v29
	s_waitcnt lgkmcnt(0)
	s_barrier
	s_and_saveexec_b64 s[16:17], vcc
	s_cbranch_execz .LBB104_6
; %bb.3:                                ;   in Loop: Header=BB104_2 Depth=1
	s_mov_b64 s[18:19], 0
	v_mov_b32_e32 v57, v29
	v_mov_b32_e32 v58, v25
.LBB104_4:                              ;   Parent Loop BB104_2 Depth=1
                                        ; =>  This Inner Loop Header: Depth=2
	v_sub_u32_e32 v59, v58, v57
	v_lshrrev_b32_e32 v60, 31, v59
	v_add_u32_e32 v59, v59, v60
	v_ashrrev_i32_e32 v59, 1, v59
	v_add_u32_e32 v59, v59, v57
	v_not_b32_e32 v61, v59
	v_add_u32_e32 v60, v8, v59
	v_add3_u32 v61, v3, v61, v13
	ds_read_u8 v60, v60
	ds_read_u8 v61, v61
	v_add_u32_e32 v62, 1, v59
	s_waitcnt lgkmcnt(0)
	v_cmp_lt_u16_e64 s[14:15], v61, v60
	s_nop 1
	v_cndmask_b32_e64 v58, v58, v59, s[14:15]
	v_cndmask_b32_e64 v57, v62, v57, s[14:15]
	v_cmp_ge_i32_e64 s[14:15], v57, v58
	s_or_b64 s[18:19], s[14:15], s[18:19]
	s_andn2_b64 exec, exec, s[18:19]
	s_cbranch_execnz .LBB104_4
; %bb.5:                                ;   in Loop: Header=BB104_2 Depth=1
	s_or_b64 exec, exec, s[18:19]
.LBB104_6:                              ;   in Loop: Header=BB104_2 Depth=1
	s_or_b64 exec, exec, s[16:17]
	v_add_u32_e32 v61, v57, v8
	v_sub_u32_e32 v62, v21, v57
	ds_read_u8 v57, v61
	ds_read_u8 v58, v62
	v_cmp_le_i32_e64 s[16:17], v13, v61
	v_cmp_gt_i32_e64 s[14:15], v14, v62
                                        ; implicit-def: $vgpr59
                                        ; implicit-def: $vgpr60
	s_waitcnt lgkmcnt(0)
	v_cmp_lt_u16_sdwa s[18:19], v58, v57 src0_sel:BYTE_0 src1_sel:BYTE_0
	s_or_b64 s[16:17], s[16:17], s[18:19]
	s_and_b64 s[14:15], s[14:15], s[16:17]
	s_xor_b64 s[16:17], s[14:15], -1
	s_and_saveexec_b64 s[18:19], s[16:17]
	s_xor_b64 s[16:17], exec, s[18:19]
	s_cbranch_execz .LBB104_8
; %bb.7:                                ;   in Loop: Header=BB104_2 Depth=1
	ds_read_u8 v60, v61 offset:1
	v_mov_b32_e32 v59, v58
.LBB104_8:                              ;   in Loop: Header=BB104_2 Depth=1
	s_andn2_saveexec_b64 s[16:17], s[16:17]
	s_cbranch_execz .LBB104_10
; %bb.9:                                ;   in Loop: Header=BB104_2 Depth=1
	ds_read_u8 v59, v62 offset:1
	s_waitcnt lgkmcnt(1)
	v_mov_b32_e32 v60, v57
.LBB104_10:                             ;   in Loop: Header=BB104_2 Depth=1
	s_or_b64 exec, exec, s[16:17]
	v_add_u32_e32 v64, 1, v61
	v_add_u32_e32 v63, 1, v62
	v_cndmask_b32_e64 v61, v64, v61, s[14:15]
	v_cndmask_b32_e64 v62, v62, v63, s[14:15]
	v_cmp_ge_i32_e64 s[18:19], v61, v13
	s_waitcnt lgkmcnt(0)
	v_cmp_lt_u16_sdwa s[30:31], v59, v60 src0_sel:BYTE_0 src1_sel:BYTE_0
	v_cmp_lt_i32_e64 s[16:17], v62, v14
	s_or_b64 s[18:19], s[18:19], s[30:31]
	s_and_b64 s[16:17], s[16:17], s[18:19]
	s_xor_b64 s[18:19], s[16:17], -1
                                        ; implicit-def: $vgpr63
	s_and_saveexec_b64 s[30:31], s[18:19]
	s_xor_b64 s[18:19], exec, s[30:31]
	s_cbranch_execz .LBB104_12
; %bb.11:                               ;   in Loop: Header=BB104_2 Depth=1
	ds_read_u8 v63, v61 offset:1
.LBB104_12:                             ;   in Loop: Header=BB104_2 Depth=1
	s_or_saveexec_b64 s[18:19], s[18:19]
	v_mov_b32_e32 v64, v59
	s_xor_b64 exec, exec, s[18:19]
	s_cbranch_execz .LBB104_14
; %bb.13:                               ;   in Loop: Header=BB104_2 Depth=1
	ds_read_u8 v64, v62 offset:1
	s_waitcnt lgkmcnt(1)
	v_mov_b32_e32 v63, v60
.LBB104_14:                             ;   in Loop: Header=BB104_2 Depth=1
	s_or_b64 exec, exec, s[18:19]
	v_add_u32_e32 v65, 1, v61
	v_cndmask_b32_e64 v59, v60, v59, s[16:17]
	v_add_u32_e32 v60, 1, v62
	v_cndmask_b32_e64 v61, v65, v61, s[16:17]
	v_cndmask_b32_e64 v60, v62, v60, s[16:17]
	v_cmp_ge_i32_e64 s[16:17], v61, v13
	s_waitcnt lgkmcnt(0)
	v_cmp_lt_u16_sdwa s[18:19], v64, v63 src0_sel:BYTE_0 src1_sel:BYTE_0
	v_cndmask_b32_e64 v57, v57, v58, s[14:15]
	v_cmp_lt_i32_e64 s[14:15], v60, v14
	s_or_b64 s[16:17], s[16:17], s[18:19]
	s_and_b64 s[14:15], s[14:15], s[16:17]
	v_cndmask_b32_e64 v58, v63, v64, s[14:15]
	s_barrier
	ds_write_b8 v2, v57
	ds_write_b8 v2, v59 offset:1
	ds_write_b8 v2, v58 offset:2
	v_mov_b32_e32 v57, v30
	s_waitcnt lgkmcnt(0)
	s_barrier
	s_and_saveexec_b64 s[16:17], s[0:1]
	s_cbranch_execz .LBB104_18
; %bb.15:                               ;   in Loop: Header=BB104_2 Depth=1
	s_mov_b64 s[18:19], 0
	v_mov_b32_e32 v57, v30
	v_mov_b32_e32 v58, v26
.LBB104_16:                             ;   Parent Loop BB104_2 Depth=1
                                        ; =>  This Inner Loop Header: Depth=2
	v_sub_u32_e32 v59, v58, v57
	v_lshrrev_b32_e32 v60, 31, v59
	v_add_u32_e32 v59, v59, v60
	v_ashrrev_i32_e32 v59, 1, v59
	v_add_u32_e32 v59, v59, v57
	v_not_b32_e32 v61, v59
	v_add_u32_e32 v60, v9, v59
	v_add3_u32 v61, v4, v61, v15
	ds_read_u8 v60, v60
	ds_read_u8 v61, v61
	v_add_u32_e32 v62, 1, v59
	s_waitcnt lgkmcnt(0)
	v_cmp_lt_u16_e64 s[14:15], v61, v60
	s_nop 1
	v_cndmask_b32_e64 v58, v58, v59, s[14:15]
	v_cndmask_b32_e64 v57, v62, v57, s[14:15]
	v_cmp_ge_i32_e64 s[14:15], v57, v58
	s_or_b64 s[18:19], s[14:15], s[18:19]
	s_andn2_b64 exec, exec, s[18:19]
	s_cbranch_execnz .LBB104_16
; %bb.17:                               ;   in Loop: Header=BB104_2 Depth=1
	s_or_b64 exec, exec, s[18:19]
.LBB104_18:                             ;   in Loop: Header=BB104_2 Depth=1
	s_or_b64 exec, exec, s[16:17]
	v_add_u32_e32 v61, v57, v9
	v_sub_u32_e32 v62, v22, v57
	ds_read_u8 v57, v61
	ds_read_u8 v58, v62
	v_cmp_le_i32_e64 s[16:17], v15, v61
	v_cmp_gt_i32_e64 s[14:15], v16, v62
                                        ; implicit-def: $vgpr59
                                        ; implicit-def: $vgpr60
	s_waitcnt lgkmcnt(0)
	v_cmp_lt_u16_sdwa s[18:19], v58, v57 src0_sel:BYTE_0 src1_sel:BYTE_0
	s_or_b64 s[16:17], s[16:17], s[18:19]
	s_and_b64 s[14:15], s[14:15], s[16:17]
	s_xor_b64 s[16:17], s[14:15], -1
	s_and_saveexec_b64 s[18:19], s[16:17]
	s_xor_b64 s[16:17], exec, s[18:19]
	s_cbranch_execz .LBB104_20
; %bb.19:                               ;   in Loop: Header=BB104_2 Depth=1
	ds_read_u8 v60, v61 offset:1
	v_mov_b32_e32 v59, v58
.LBB104_20:                             ;   in Loop: Header=BB104_2 Depth=1
	s_andn2_saveexec_b64 s[16:17], s[16:17]
	s_cbranch_execz .LBB104_22
; %bb.21:                               ;   in Loop: Header=BB104_2 Depth=1
	ds_read_u8 v59, v62 offset:1
	s_waitcnt lgkmcnt(1)
	v_mov_b32_e32 v60, v57
.LBB104_22:                             ;   in Loop: Header=BB104_2 Depth=1
	s_or_b64 exec, exec, s[16:17]
	v_add_u32_e32 v64, 1, v61
	v_add_u32_e32 v63, 1, v62
	v_cndmask_b32_e64 v61, v64, v61, s[14:15]
	v_cndmask_b32_e64 v62, v62, v63, s[14:15]
	v_cmp_ge_i32_e64 s[18:19], v61, v15
	s_waitcnt lgkmcnt(0)
	v_cmp_lt_u16_sdwa s[30:31], v59, v60 src0_sel:BYTE_0 src1_sel:BYTE_0
	v_cmp_lt_i32_e64 s[16:17], v62, v16
	s_or_b64 s[18:19], s[18:19], s[30:31]
	s_and_b64 s[16:17], s[16:17], s[18:19]
	s_xor_b64 s[18:19], s[16:17], -1
                                        ; implicit-def: $vgpr63
	s_and_saveexec_b64 s[30:31], s[18:19]
	s_xor_b64 s[18:19], exec, s[30:31]
	s_cbranch_execz .LBB104_24
; %bb.23:                               ;   in Loop: Header=BB104_2 Depth=1
	ds_read_u8 v63, v61 offset:1
.LBB104_24:                             ;   in Loop: Header=BB104_2 Depth=1
	s_or_saveexec_b64 s[18:19], s[18:19]
	v_mov_b32_e32 v64, v59
	s_xor_b64 exec, exec, s[18:19]
	s_cbranch_execz .LBB104_26
; %bb.25:                               ;   in Loop: Header=BB104_2 Depth=1
	ds_read_u8 v64, v62 offset:1
	s_waitcnt lgkmcnt(1)
	v_mov_b32_e32 v63, v60
.LBB104_26:                             ;   in Loop: Header=BB104_2 Depth=1
	s_or_b64 exec, exec, s[18:19]
	v_add_u32_e32 v65, 1, v61
	v_cndmask_b32_e64 v59, v60, v59, s[16:17]
	v_add_u32_e32 v60, 1, v62
	v_cndmask_b32_e64 v61, v65, v61, s[16:17]
	v_cndmask_b32_e64 v60, v62, v60, s[16:17]
	v_cmp_ge_i32_e64 s[16:17], v61, v15
	s_waitcnt lgkmcnt(0)
	v_cmp_lt_u16_sdwa s[18:19], v64, v63 src0_sel:BYTE_0 src1_sel:BYTE_0
	v_cndmask_b32_e64 v57, v57, v58, s[14:15]
	v_cmp_lt_i32_e64 s[14:15], v60, v16
	s_or_b64 s[16:17], s[16:17], s[18:19]
	s_and_b64 s[14:15], s[14:15], s[16:17]
	v_cndmask_b32_e64 v58, v63, v64, s[14:15]
	s_barrier
	ds_write_b8 v2, v57
	ds_write_b8 v2, v59 offset:1
	ds_write_b8 v2, v58 offset:2
	v_mov_b32_e32 v57, v31
	s_waitcnt lgkmcnt(0)
	s_barrier
	s_and_saveexec_b64 s[16:17], s[2:3]
	s_cbranch_execz .LBB104_30
; %bb.27:                               ;   in Loop: Header=BB104_2 Depth=1
	s_mov_b64 s[18:19], 0
	v_mov_b32_e32 v57, v31
	v_mov_b32_e32 v58, v27
.LBB104_28:                             ;   Parent Loop BB104_2 Depth=1
                                        ; =>  This Inner Loop Header: Depth=2
	v_sub_u32_e32 v59, v58, v57
	v_lshrrev_b32_e32 v60, 31, v59
	v_add_u32_e32 v59, v59, v60
	v_ashrrev_i32_e32 v59, 1, v59
	v_add_u32_e32 v59, v59, v57
	v_not_b32_e32 v61, v59
	v_add_u32_e32 v60, v10, v59
	v_add3_u32 v61, v5, v61, v17
	ds_read_u8 v60, v60
	ds_read_u8 v61, v61
	v_add_u32_e32 v62, 1, v59
	s_waitcnt lgkmcnt(0)
	v_cmp_lt_u16_e64 s[14:15], v61, v60
	s_nop 1
	v_cndmask_b32_e64 v58, v58, v59, s[14:15]
	v_cndmask_b32_e64 v57, v62, v57, s[14:15]
	v_cmp_ge_i32_e64 s[14:15], v57, v58
	s_or_b64 s[18:19], s[14:15], s[18:19]
	s_andn2_b64 exec, exec, s[18:19]
	s_cbranch_execnz .LBB104_28
; %bb.29:                               ;   in Loop: Header=BB104_2 Depth=1
	s_or_b64 exec, exec, s[18:19]
.LBB104_30:                             ;   in Loop: Header=BB104_2 Depth=1
	s_or_b64 exec, exec, s[16:17]
	v_add_u32_e32 v61, v57, v10
	v_sub_u32_e32 v62, v23, v57
	ds_read_u8 v57, v61
	ds_read_u8 v58, v62
	v_cmp_le_i32_e64 s[16:17], v17, v61
	v_cmp_gt_i32_e64 s[14:15], v18, v62
                                        ; implicit-def: $vgpr59
                                        ; implicit-def: $vgpr60
	s_waitcnt lgkmcnt(0)
	v_cmp_lt_u16_sdwa s[18:19], v58, v57 src0_sel:BYTE_0 src1_sel:BYTE_0
	s_or_b64 s[16:17], s[16:17], s[18:19]
	s_and_b64 s[14:15], s[14:15], s[16:17]
	s_xor_b64 s[16:17], s[14:15], -1
	s_and_saveexec_b64 s[18:19], s[16:17]
	s_xor_b64 s[16:17], exec, s[18:19]
	s_cbranch_execz .LBB104_32
; %bb.31:                               ;   in Loop: Header=BB104_2 Depth=1
	ds_read_u8 v60, v61 offset:1
	v_mov_b32_e32 v59, v58
.LBB104_32:                             ;   in Loop: Header=BB104_2 Depth=1
	s_andn2_saveexec_b64 s[16:17], s[16:17]
	s_cbranch_execz .LBB104_34
; %bb.33:                               ;   in Loop: Header=BB104_2 Depth=1
	ds_read_u8 v59, v62 offset:1
	s_waitcnt lgkmcnt(1)
	v_mov_b32_e32 v60, v57
.LBB104_34:                             ;   in Loop: Header=BB104_2 Depth=1
	s_or_b64 exec, exec, s[16:17]
	v_add_u32_e32 v64, 1, v61
	v_add_u32_e32 v63, 1, v62
	v_cndmask_b32_e64 v61, v64, v61, s[14:15]
	v_cndmask_b32_e64 v62, v62, v63, s[14:15]
	v_cmp_ge_i32_e64 s[18:19], v61, v17
	s_waitcnt lgkmcnt(0)
	v_cmp_lt_u16_sdwa s[30:31], v59, v60 src0_sel:BYTE_0 src1_sel:BYTE_0
	v_cmp_lt_i32_e64 s[16:17], v62, v18
	s_or_b64 s[18:19], s[18:19], s[30:31]
	s_and_b64 s[16:17], s[16:17], s[18:19]
	s_xor_b64 s[18:19], s[16:17], -1
                                        ; implicit-def: $vgpr63
	s_and_saveexec_b64 s[30:31], s[18:19]
	s_xor_b64 s[18:19], exec, s[30:31]
	s_cbranch_execz .LBB104_36
; %bb.35:                               ;   in Loop: Header=BB104_2 Depth=1
	ds_read_u8 v63, v61 offset:1
.LBB104_36:                             ;   in Loop: Header=BB104_2 Depth=1
	s_or_saveexec_b64 s[18:19], s[18:19]
	v_mov_b32_e32 v64, v59
	s_xor_b64 exec, exec, s[18:19]
	s_cbranch_execz .LBB104_38
; %bb.37:                               ;   in Loop: Header=BB104_2 Depth=1
	ds_read_u8 v64, v62 offset:1
	s_waitcnt lgkmcnt(1)
	v_mov_b32_e32 v63, v60
.LBB104_38:                             ;   in Loop: Header=BB104_2 Depth=1
	s_or_b64 exec, exec, s[18:19]
	v_add_u32_e32 v65, 1, v61
	v_cndmask_b32_e64 v59, v60, v59, s[16:17]
	v_add_u32_e32 v60, 1, v62
	v_cndmask_b32_e64 v61, v65, v61, s[16:17]
	v_cndmask_b32_e64 v60, v62, v60, s[16:17]
	v_cmp_ge_i32_e64 s[16:17], v61, v17
	s_waitcnt lgkmcnt(0)
	v_cmp_lt_u16_sdwa s[18:19], v64, v63 src0_sel:BYTE_0 src1_sel:BYTE_0
	v_cndmask_b32_e64 v57, v57, v58, s[14:15]
	v_cmp_lt_i32_e64 s[14:15], v60, v18
	s_or_b64 s[16:17], s[16:17], s[18:19]
	s_and_b64 s[14:15], s[14:15], s[16:17]
	v_cndmask_b32_e64 v58, v63, v64, s[14:15]
	s_barrier
	ds_write_b8 v2, v57
	ds_write_b8 v2, v59 offset:1
	ds_write_b8 v2, v58 offset:2
	v_mov_b32_e32 v57, v32
	s_waitcnt lgkmcnt(0)
	s_barrier
	s_and_saveexec_b64 s[16:17], s[4:5]
	s_cbranch_execz .LBB104_42
; %bb.39:                               ;   in Loop: Header=BB104_2 Depth=1
	s_mov_b64 s[18:19], 0
	v_mov_b32_e32 v57, v32
	v_mov_b32_e32 v58, v28
.LBB104_40:                             ;   Parent Loop BB104_2 Depth=1
                                        ; =>  This Inner Loop Header: Depth=2
	v_sub_u32_e32 v59, v58, v57
	v_lshrrev_b32_e32 v60, 31, v59
	v_add_u32_e32 v59, v59, v60
	v_ashrrev_i32_e32 v59, 1, v59
	v_add_u32_e32 v59, v59, v57
	v_not_b32_e32 v61, v59
	v_add_u32_e32 v60, v11, v59
	v_add3_u32 v61, v6, v61, v19
	ds_read_u8 v60, v60
	ds_read_u8 v61, v61
	v_add_u32_e32 v62, 1, v59
	s_waitcnt lgkmcnt(0)
	v_cmp_lt_u16_e64 s[14:15], v61, v60
	s_nop 1
	v_cndmask_b32_e64 v58, v58, v59, s[14:15]
	v_cndmask_b32_e64 v57, v62, v57, s[14:15]
	v_cmp_ge_i32_e64 s[14:15], v57, v58
	s_or_b64 s[18:19], s[14:15], s[18:19]
	s_andn2_b64 exec, exec, s[18:19]
	s_cbranch_execnz .LBB104_40
; %bb.41:                               ;   in Loop: Header=BB104_2 Depth=1
	s_or_b64 exec, exec, s[18:19]
.LBB104_42:                             ;   in Loop: Header=BB104_2 Depth=1
	s_or_b64 exec, exec, s[16:17]
	v_add_u32_e32 v61, v57, v11
	v_sub_u32_e32 v62, v24, v57
	ds_read_u8 v57, v61
	ds_read_u8 v58, v62
	v_cmp_le_i32_e64 s[16:17], v19, v61
	v_cmp_gt_i32_e64 s[14:15], v20, v62
                                        ; implicit-def: $vgpr59
                                        ; implicit-def: $vgpr60
	s_waitcnt lgkmcnt(0)
	v_cmp_lt_u16_sdwa s[18:19], v58, v57 src0_sel:BYTE_0 src1_sel:BYTE_0
	s_or_b64 s[16:17], s[16:17], s[18:19]
	s_and_b64 s[14:15], s[14:15], s[16:17]
	s_xor_b64 s[16:17], s[14:15], -1
	s_and_saveexec_b64 s[18:19], s[16:17]
	s_xor_b64 s[16:17], exec, s[18:19]
	s_cbranch_execz .LBB104_44
; %bb.43:                               ;   in Loop: Header=BB104_2 Depth=1
	ds_read_u8 v60, v61 offset:1
	v_mov_b32_e32 v59, v58
.LBB104_44:                             ;   in Loop: Header=BB104_2 Depth=1
	s_andn2_saveexec_b64 s[16:17], s[16:17]
	s_cbranch_execz .LBB104_46
; %bb.45:                               ;   in Loop: Header=BB104_2 Depth=1
	ds_read_u8 v59, v62 offset:1
	s_waitcnt lgkmcnt(1)
	v_mov_b32_e32 v60, v57
.LBB104_46:                             ;   in Loop: Header=BB104_2 Depth=1
	s_or_b64 exec, exec, s[16:17]
	v_add_u32_e32 v64, 1, v61
	v_add_u32_e32 v63, 1, v62
	v_cndmask_b32_e64 v61, v64, v61, s[14:15]
	v_cndmask_b32_e64 v62, v62, v63, s[14:15]
	v_cmp_ge_i32_e64 s[18:19], v61, v19
	s_waitcnt lgkmcnt(0)
	v_cmp_lt_u16_sdwa s[30:31], v59, v60 src0_sel:BYTE_0 src1_sel:BYTE_0
	v_cmp_lt_i32_e64 s[16:17], v62, v20
	s_or_b64 s[18:19], s[18:19], s[30:31]
	s_and_b64 s[16:17], s[16:17], s[18:19]
	s_xor_b64 s[18:19], s[16:17], -1
                                        ; implicit-def: $vgpr63
	s_and_saveexec_b64 s[30:31], s[18:19]
	s_xor_b64 s[18:19], exec, s[30:31]
	s_cbranch_execz .LBB104_48
; %bb.47:                               ;   in Loop: Header=BB104_2 Depth=1
	ds_read_u8 v63, v61 offset:1
.LBB104_48:                             ;   in Loop: Header=BB104_2 Depth=1
	s_or_saveexec_b64 s[18:19], s[18:19]
	v_mov_b32_e32 v64, v59
	s_xor_b64 exec, exec, s[18:19]
	s_cbranch_execz .LBB104_50
; %bb.49:                               ;   in Loop: Header=BB104_2 Depth=1
	ds_read_u8 v64, v62 offset:1
	s_waitcnt lgkmcnt(1)
	v_mov_b32_e32 v63, v60
.LBB104_50:                             ;   in Loop: Header=BB104_2 Depth=1
	s_or_b64 exec, exec, s[18:19]
	v_add_u32_e32 v65, 1, v61
	v_cndmask_b32_e64 v59, v60, v59, s[16:17]
	v_add_u32_e32 v60, 1, v62
	v_cndmask_b32_e64 v61, v65, v61, s[16:17]
	v_cndmask_b32_e64 v60, v62, v60, s[16:17]
	v_cmp_ge_i32_e64 s[16:17], v61, v19
	s_waitcnt lgkmcnt(0)
	v_cmp_lt_u16_sdwa s[18:19], v64, v63 src0_sel:BYTE_0 src1_sel:BYTE_0
	v_cndmask_b32_e64 v57, v57, v58, s[14:15]
	v_cmp_lt_i32_e64 s[14:15], v60, v20
	s_or_b64 s[16:17], s[16:17], s[18:19]
	s_and_b64 s[14:15], s[14:15], s[16:17]
	v_cndmask_b32_e64 v58, v63, v64, s[14:15]
	s_barrier
	ds_write_b8 v2, v57
	ds_write_b8 v2, v59 offset:1
	ds_write_b8 v2, v58 offset:2
	v_mov_b32_e32 v57, v35
	s_waitcnt lgkmcnt(0)
	s_barrier
	s_and_saveexec_b64 s[16:17], s[6:7]
	s_cbranch_execz .LBB104_54
; %bb.51:                               ;   in Loop: Header=BB104_2 Depth=1
	s_mov_b64 s[18:19], 0
	v_mov_b32_e32 v57, v35
	v_mov_b32_e32 v58, v36
.LBB104_52:                             ;   Parent Loop BB104_2 Depth=1
                                        ; =>  This Inner Loop Header: Depth=2
	v_sub_u32_e32 v59, v58, v57
	v_lshrrev_b32_e32 v60, 31, v59
	v_add_u32_e32 v59, v59, v60
	v_ashrrev_i32_e32 v59, 1, v59
	v_add_u32_e32 v59, v59, v57
	v_not_b32_e32 v61, v59
	v_add_u32_e32 v60, v12, v59
	v_add3_u32 v61, v7, v61, v33
	ds_read_u8 v60, v60
	ds_read_u8 v61, v61
	v_add_u32_e32 v62, 1, v59
	s_waitcnt lgkmcnt(0)
	v_cmp_lt_u16_e64 s[14:15], v61, v60
	s_nop 1
	v_cndmask_b32_e64 v58, v58, v59, s[14:15]
	v_cndmask_b32_e64 v57, v62, v57, s[14:15]
	v_cmp_ge_i32_e64 s[14:15], v57, v58
	s_or_b64 s[18:19], s[14:15], s[18:19]
	s_andn2_b64 exec, exec, s[18:19]
	s_cbranch_execnz .LBB104_52
; %bb.53:                               ;   in Loop: Header=BB104_2 Depth=1
	s_or_b64 exec, exec, s[18:19]
.LBB104_54:                             ;   in Loop: Header=BB104_2 Depth=1
	s_or_b64 exec, exec, s[16:17]
	v_add_u32_e32 v61, v57, v12
	v_sub_u32_e32 v62, v37, v57
	ds_read_u8 v57, v61
	ds_read_u8 v58, v62
	v_cmp_le_i32_e64 s[16:17], v33, v61
	v_cmp_gt_i32_e64 s[14:15], v34, v62
                                        ; implicit-def: $vgpr59
                                        ; implicit-def: $vgpr60
	s_waitcnt lgkmcnt(0)
	v_cmp_lt_u16_sdwa s[18:19], v58, v57 src0_sel:BYTE_0 src1_sel:BYTE_0
	s_or_b64 s[16:17], s[16:17], s[18:19]
	s_and_b64 s[14:15], s[14:15], s[16:17]
	s_xor_b64 s[16:17], s[14:15], -1
	s_and_saveexec_b64 s[18:19], s[16:17]
	s_xor_b64 s[16:17], exec, s[18:19]
	s_cbranch_execz .LBB104_56
; %bb.55:                               ;   in Loop: Header=BB104_2 Depth=1
	ds_read_u8 v60, v61 offset:1
	v_mov_b32_e32 v59, v58
.LBB104_56:                             ;   in Loop: Header=BB104_2 Depth=1
	s_andn2_saveexec_b64 s[16:17], s[16:17]
	s_cbranch_execz .LBB104_58
; %bb.57:                               ;   in Loop: Header=BB104_2 Depth=1
	ds_read_u8 v59, v62 offset:1
	s_waitcnt lgkmcnt(1)
	v_mov_b32_e32 v60, v57
.LBB104_58:                             ;   in Loop: Header=BB104_2 Depth=1
	s_or_b64 exec, exec, s[16:17]
	v_add_u32_e32 v64, 1, v61
	v_add_u32_e32 v63, 1, v62
	v_cndmask_b32_e64 v61, v64, v61, s[14:15]
	v_cndmask_b32_e64 v62, v62, v63, s[14:15]
	v_cmp_ge_i32_e64 s[18:19], v61, v33
	s_waitcnt lgkmcnt(0)
	v_cmp_lt_u16_sdwa s[30:31], v59, v60 src0_sel:BYTE_0 src1_sel:BYTE_0
	v_cmp_lt_i32_e64 s[16:17], v62, v34
	s_or_b64 s[18:19], s[18:19], s[30:31]
	s_and_b64 s[16:17], s[16:17], s[18:19]
	s_xor_b64 s[18:19], s[16:17], -1
                                        ; implicit-def: $vgpr63
	s_and_saveexec_b64 s[30:31], s[18:19]
	s_xor_b64 s[18:19], exec, s[30:31]
	s_cbranch_execz .LBB104_60
; %bb.59:                               ;   in Loop: Header=BB104_2 Depth=1
	ds_read_u8 v63, v61 offset:1
.LBB104_60:                             ;   in Loop: Header=BB104_2 Depth=1
	s_or_saveexec_b64 s[18:19], s[18:19]
	v_mov_b32_e32 v64, v59
	s_xor_b64 exec, exec, s[18:19]
	s_cbranch_execz .LBB104_62
; %bb.61:                               ;   in Loop: Header=BB104_2 Depth=1
	ds_read_u8 v64, v62 offset:1
	s_waitcnt lgkmcnt(1)
	v_mov_b32_e32 v63, v60
.LBB104_62:                             ;   in Loop: Header=BB104_2 Depth=1
	s_or_b64 exec, exec, s[18:19]
	v_add_u32_e32 v65, 1, v61
	v_cndmask_b32_e64 v59, v60, v59, s[16:17]
	v_add_u32_e32 v60, 1, v62
	v_cndmask_b32_e64 v61, v65, v61, s[16:17]
	v_cndmask_b32_e64 v60, v62, v60, s[16:17]
	v_cmp_ge_i32_e64 s[16:17], v61, v33
	s_waitcnt lgkmcnt(0)
	v_cmp_lt_u16_sdwa s[18:19], v64, v63 src0_sel:BYTE_0 src1_sel:BYTE_0
	v_cndmask_b32_e64 v57, v57, v58, s[14:15]
	v_cmp_lt_i32_e64 s[14:15], v60, v34
	s_or_b64 s[16:17], s[16:17], s[18:19]
	s_and_b64 s[14:15], s[14:15], s[16:17]
	v_cndmask_b32_e64 v58, v63, v64, s[14:15]
	s_barrier
	ds_write_b8 v2, v57
	ds_write_b8 v2, v59 offset:1
	ds_write_b8 v2, v58 offset:2
	v_mov_b32_e32 v57, v42
	s_waitcnt lgkmcnt(0)
	s_barrier
	s_and_saveexec_b64 s[16:17], s[8:9]
	s_cbranch_execz .LBB104_66
; %bb.63:                               ;   in Loop: Header=BB104_2 Depth=1
	s_mov_b64 s[18:19], 0
	v_mov_b32_e32 v57, v42
	v_mov_b32_e32 v58, v43
.LBB104_64:                             ;   Parent Loop BB104_2 Depth=1
                                        ; =>  This Inner Loop Header: Depth=2
	v_sub_u32_e32 v59, v58, v57
	v_lshrrev_b32_e32 v60, 31, v59
	v_add_u32_e32 v59, v59, v60
	v_ashrrev_i32_e32 v59, 1, v59
	v_add_u32_e32 v59, v59, v57
	v_not_b32_e32 v61, v59
	v_add_u32_e32 v60, v39, v59
	v_add3_u32 v61, v38, v61, v40
	ds_read_u8 v60, v60
	ds_read_u8 v61, v61
	v_add_u32_e32 v62, 1, v59
	s_waitcnt lgkmcnt(0)
	v_cmp_lt_u16_e64 s[14:15], v61, v60
	s_nop 1
	v_cndmask_b32_e64 v58, v58, v59, s[14:15]
	v_cndmask_b32_e64 v57, v62, v57, s[14:15]
	v_cmp_ge_i32_e64 s[14:15], v57, v58
	s_or_b64 s[18:19], s[14:15], s[18:19]
	s_andn2_b64 exec, exec, s[18:19]
	s_cbranch_execnz .LBB104_64
; %bb.65:                               ;   in Loop: Header=BB104_2 Depth=1
	s_or_b64 exec, exec, s[18:19]
.LBB104_66:                             ;   in Loop: Header=BB104_2 Depth=1
	s_or_b64 exec, exec, s[16:17]
	v_add_u32_e32 v61, v57, v39
	v_sub_u32_e32 v62, v44, v57
	ds_read_u8 v57, v61
	ds_read_u8 v58, v62
	v_cmp_le_i32_e64 s[16:17], v40, v61
	v_cmp_gt_i32_e64 s[14:15], v41, v62
                                        ; implicit-def: $vgpr59
                                        ; implicit-def: $vgpr60
	s_waitcnt lgkmcnt(0)
	v_cmp_lt_u16_sdwa s[18:19], v58, v57 src0_sel:BYTE_0 src1_sel:BYTE_0
	s_or_b64 s[16:17], s[16:17], s[18:19]
	s_and_b64 s[14:15], s[14:15], s[16:17]
	s_xor_b64 s[16:17], s[14:15], -1
	s_and_saveexec_b64 s[18:19], s[16:17]
	s_xor_b64 s[16:17], exec, s[18:19]
	s_cbranch_execz .LBB104_68
; %bb.67:                               ;   in Loop: Header=BB104_2 Depth=1
	ds_read_u8 v60, v61 offset:1
	v_mov_b32_e32 v59, v58
.LBB104_68:                             ;   in Loop: Header=BB104_2 Depth=1
	s_andn2_saveexec_b64 s[16:17], s[16:17]
	s_cbranch_execz .LBB104_70
; %bb.69:                               ;   in Loop: Header=BB104_2 Depth=1
	ds_read_u8 v59, v62 offset:1
	s_waitcnt lgkmcnt(1)
	v_mov_b32_e32 v60, v57
.LBB104_70:                             ;   in Loop: Header=BB104_2 Depth=1
	s_or_b64 exec, exec, s[16:17]
	v_add_u32_e32 v64, 1, v61
	v_add_u32_e32 v63, 1, v62
	v_cndmask_b32_e64 v61, v64, v61, s[14:15]
	v_cndmask_b32_e64 v62, v62, v63, s[14:15]
	v_cmp_ge_i32_e64 s[18:19], v61, v40
	s_waitcnt lgkmcnt(0)
	v_cmp_lt_u16_sdwa s[30:31], v59, v60 src0_sel:BYTE_0 src1_sel:BYTE_0
	v_cmp_lt_i32_e64 s[16:17], v62, v41
	s_or_b64 s[18:19], s[18:19], s[30:31]
	s_and_b64 s[16:17], s[16:17], s[18:19]
	s_xor_b64 s[18:19], s[16:17], -1
                                        ; implicit-def: $vgpr63
	s_and_saveexec_b64 s[30:31], s[18:19]
	s_xor_b64 s[18:19], exec, s[30:31]
	s_cbranch_execz .LBB104_72
; %bb.71:                               ;   in Loop: Header=BB104_2 Depth=1
	ds_read_u8 v63, v61 offset:1
.LBB104_72:                             ;   in Loop: Header=BB104_2 Depth=1
	s_or_saveexec_b64 s[18:19], s[18:19]
	v_mov_b32_e32 v64, v59
	s_xor_b64 exec, exec, s[18:19]
	s_cbranch_execz .LBB104_74
; %bb.73:                               ;   in Loop: Header=BB104_2 Depth=1
	ds_read_u8 v64, v62 offset:1
	s_waitcnt lgkmcnt(1)
	v_mov_b32_e32 v63, v60
.LBB104_74:                             ;   in Loop: Header=BB104_2 Depth=1
	s_or_b64 exec, exec, s[18:19]
	v_add_u32_e32 v65, 1, v61
	v_cndmask_b32_e64 v59, v60, v59, s[16:17]
	v_add_u32_e32 v60, 1, v62
	v_cndmask_b32_e64 v61, v65, v61, s[16:17]
	v_cndmask_b32_e64 v60, v62, v60, s[16:17]
	v_cmp_ge_i32_e64 s[16:17], v61, v40
	s_waitcnt lgkmcnt(0)
	v_cmp_lt_u16_sdwa s[18:19], v64, v63 src0_sel:BYTE_0 src1_sel:BYTE_0
	v_cndmask_b32_e64 v57, v57, v58, s[14:15]
	v_cmp_lt_i32_e64 s[14:15], v60, v41
	s_or_b64 s[16:17], s[16:17], s[18:19]
	s_and_b64 s[14:15], s[14:15], s[16:17]
	v_cndmask_b32_e64 v58, v63, v64, s[14:15]
	s_barrier
	ds_write_b8 v2, v57
	ds_write_b8 v2, v59 offset:1
	ds_write_b8 v2, v58 offset:2
	v_mov_b32_e32 v57, v50
	s_waitcnt lgkmcnt(0)
	s_barrier
	s_and_saveexec_b64 s[16:17], s[10:11]
	s_cbranch_execz .LBB104_78
; %bb.75:                               ;   in Loop: Header=BB104_2 Depth=1
	s_mov_b64 s[18:19], 0
	v_mov_b32_e32 v57, v50
	v_mov_b32_e32 v58, v51
.LBB104_76:                             ;   Parent Loop BB104_2 Depth=1
                                        ; =>  This Inner Loop Header: Depth=2
	v_sub_u32_e32 v59, v58, v57
	v_lshrrev_b32_e32 v60, 31, v59
	v_add_u32_e32 v59, v59, v60
	v_ashrrev_i32_e32 v59, 1, v59
	v_add_u32_e32 v59, v59, v57
	v_not_b32_e32 v61, v59
	v_add_u32_e32 v60, v46, v59
	v_add3_u32 v61, v45, v61, v47
	ds_read_u8 v60, v60
	ds_read_u8 v61, v61
	v_add_u32_e32 v62, 1, v59
	s_waitcnt lgkmcnt(0)
	v_cmp_lt_u16_e64 s[14:15], v61, v60
	s_nop 1
	v_cndmask_b32_e64 v58, v58, v59, s[14:15]
	v_cndmask_b32_e64 v57, v62, v57, s[14:15]
	v_cmp_ge_i32_e64 s[14:15], v57, v58
	s_or_b64 s[18:19], s[14:15], s[18:19]
	s_andn2_b64 exec, exec, s[18:19]
	s_cbranch_execnz .LBB104_76
; %bb.77:                               ;   in Loop: Header=BB104_2 Depth=1
	s_or_b64 exec, exec, s[18:19]
.LBB104_78:                             ;   in Loop: Header=BB104_2 Depth=1
	s_or_b64 exec, exec, s[16:17]
	v_add_u32_e32 v61, v57, v46
	v_sub_u32_e32 v62, v52, v57
	ds_read_u8 v57, v61
	ds_read_u8 v58, v62
	v_cmp_le_i32_e64 s[16:17], v47, v61
	v_cmp_gt_i32_e64 s[14:15], v49, v62
                                        ; implicit-def: $vgpr59
                                        ; implicit-def: $vgpr60
	s_waitcnt lgkmcnt(0)
	v_cmp_lt_u16_sdwa s[18:19], v58, v57 src0_sel:BYTE_0 src1_sel:BYTE_0
	s_or_b64 s[16:17], s[16:17], s[18:19]
	s_and_b64 s[14:15], s[14:15], s[16:17]
	s_xor_b64 s[16:17], s[14:15], -1
	s_and_saveexec_b64 s[18:19], s[16:17]
	s_xor_b64 s[16:17], exec, s[18:19]
	s_cbranch_execz .LBB104_80
; %bb.79:                               ;   in Loop: Header=BB104_2 Depth=1
	ds_read_u8 v60, v61 offset:1
	v_mov_b32_e32 v59, v58
.LBB104_80:                             ;   in Loop: Header=BB104_2 Depth=1
	s_andn2_saveexec_b64 s[16:17], s[16:17]
	s_cbranch_execz .LBB104_82
; %bb.81:                               ;   in Loop: Header=BB104_2 Depth=1
	ds_read_u8 v59, v62 offset:1
	s_waitcnt lgkmcnt(1)
	v_mov_b32_e32 v60, v57
.LBB104_82:                             ;   in Loop: Header=BB104_2 Depth=1
	s_or_b64 exec, exec, s[16:17]
	v_add_u32_e32 v64, 1, v61
	v_add_u32_e32 v63, 1, v62
	v_cndmask_b32_e64 v61, v64, v61, s[14:15]
	v_cndmask_b32_e64 v62, v62, v63, s[14:15]
	v_cmp_ge_i32_e64 s[18:19], v61, v47
	s_waitcnt lgkmcnt(0)
	v_cmp_lt_u16_sdwa s[30:31], v59, v60 src0_sel:BYTE_0 src1_sel:BYTE_0
	v_cmp_lt_i32_e64 s[16:17], v62, v49
	s_or_b64 s[18:19], s[18:19], s[30:31]
	s_and_b64 s[16:17], s[16:17], s[18:19]
	s_xor_b64 s[18:19], s[16:17], -1
                                        ; implicit-def: $vgpr63
	s_and_saveexec_b64 s[30:31], s[18:19]
	s_xor_b64 s[18:19], exec, s[30:31]
	s_cbranch_execz .LBB104_84
; %bb.83:                               ;   in Loop: Header=BB104_2 Depth=1
	ds_read_u8 v63, v61 offset:1
.LBB104_84:                             ;   in Loop: Header=BB104_2 Depth=1
	s_or_saveexec_b64 s[18:19], s[18:19]
	v_mov_b32_e32 v64, v59
	s_xor_b64 exec, exec, s[18:19]
	s_cbranch_execz .LBB104_86
; %bb.85:                               ;   in Loop: Header=BB104_2 Depth=1
	ds_read_u8 v64, v62 offset:1
	s_waitcnt lgkmcnt(1)
	v_mov_b32_e32 v63, v60
.LBB104_86:                             ;   in Loop: Header=BB104_2 Depth=1
	s_or_b64 exec, exec, s[18:19]
	v_add_u32_e32 v65, 1, v61
	v_cndmask_b32_e64 v59, v60, v59, s[16:17]
	v_add_u32_e32 v60, 1, v62
	v_cndmask_b32_e64 v61, v65, v61, s[16:17]
	v_cndmask_b32_e64 v60, v62, v60, s[16:17]
	v_cmp_ge_i32_e64 s[16:17], v61, v47
	s_waitcnt lgkmcnt(0)
	v_cmp_lt_u16_sdwa s[18:19], v64, v63 src0_sel:BYTE_0 src1_sel:BYTE_0
	v_cndmask_b32_e64 v57, v57, v58, s[14:15]
	v_cmp_lt_i32_e64 s[14:15], v60, v49
	s_or_b64 s[16:17], s[16:17], s[18:19]
	s_and_b64 s[14:15], s[14:15], s[16:17]
	v_cndmask_b32_e64 v58, v63, v64, s[14:15]
	s_barrier
	ds_write_b8 v2, v57
	ds_write_b8 v2, v59 offset:1
	ds_write_b8 v2, v58 offset:2
	v_mov_b32_e32 v59, v53
	s_waitcnt lgkmcnt(0)
	s_barrier
	s_and_saveexec_b64 s[16:17], s[12:13]
	s_cbranch_execz .LBB104_90
; %bb.87:                               ;   in Loop: Header=BB104_2 Depth=1
	s_mov_b64 s[18:19], 0
	v_mov_b32_e32 v59, v53
	v_mov_b32_e32 v57, v54
.LBB104_88:                             ;   Parent Loop BB104_2 Depth=1
                                        ; =>  This Inner Loop Header: Depth=2
	v_sub_u32_e32 v58, v57, v59
	v_lshrrev_b32_e32 v60, 31, v58
	v_add_u32_e32 v58, v58, v60
	v_ashrrev_i32_e32 v58, 1, v58
	v_add_u32_e32 v58, v58, v59
	v_not_b32_e32 v60, v58
	v_add3_u32 v60, v2, v60, v48
	ds_read_u8 v61, v58
	ds_read_u8 v60, v60
	v_add_u32_e32 v62, 1, v58
	s_waitcnt lgkmcnt(0)
	v_cmp_lt_u16_e64 s[14:15], v60, v61
	s_nop 1
	v_cndmask_b32_e64 v57, v57, v58, s[14:15]
	v_cndmask_b32_e64 v59, v62, v59, s[14:15]
	v_cmp_ge_i32_e64 s[14:15], v59, v57
	s_or_b64 s[18:19], s[14:15], s[18:19]
	s_andn2_b64 exec, exec, s[18:19]
	s_cbranch_execnz .LBB104_88
; %bb.89:                               ;   in Loop: Header=BB104_2 Depth=1
	s_or_b64 exec, exec, s[18:19]
.LBB104_90:                             ;   in Loop: Header=BB104_2 Depth=1
	s_or_b64 exec, exec, s[16:17]
	v_sub_u32_e32 v62, v55, v59
	ds_read_u8 v57, v59
	ds_read_u8 v58, v62
	v_cmp_le_i32_e64 s[16:17], v48, v59
	v_cmp_gt_i32_e64 s[14:15], s20, v62
                                        ; implicit-def: $vgpr60
                                        ; implicit-def: $vgpr61
	s_waitcnt lgkmcnt(0)
	v_cmp_lt_u16_sdwa s[18:19], v58, v57 src0_sel:BYTE_0 src1_sel:BYTE_0
	s_or_b64 s[16:17], s[16:17], s[18:19]
	s_and_b64 s[14:15], s[14:15], s[16:17]
	s_xor_b64 s[16:17], s[14:15], -1
	s_and_saveexec_b64 s[18:19], s[16:17]
	s_xor_b64 s[16:17], exec, s[18:19]
	s_cbranch_execz .LBB104_92
; %bb.91:                               ;   in Loop: Header=BB104_2 Depth=1
	ds_read_u8 v61, v59 offset:1
	v_mov_b32_e32 v60, v58
.LBB104_92:                             ;   in Loop: Header=BB104_2 Depth=1
	s_andn2_saveexec_b64 s[16:17], s[16:17]
	s_cbranch_execz .LBB104_94
; %bb.93:                               ;   in Loop: Header=BB104_2 Depth=1
	ds_read_u8 v60, v62 offset:1
	s_waitcnt lgkmcnt(1)
	v_mov_b32_e32 v61, v57
.LBB104_94:                             ;   in Loop: Header=BB104_2 Depth=1
	s_or_b64 exec, exec, s[16:17]
	v_add_u32_e32 v63, 1, v62
	v_add_u32_e32 v64, 1, v59
	v_cndmask_b32_e64 v62, v62, v63, s[14:15]
	v_cndmask_b32_e64 v63, v64, v59, s[14:15]
	v_cmp_ge_i32_e64 s[18:19], v63, v48
	s_waitcnt lgkmcnt(0)
	v_cmp_lt_u16_sdwa s[30:31], v60, v61 src0_sel:BYTE_0 src1_sel:BYTE_0
	v_cmp_gt_i32_e64 s[16:17], s20, v62
	s_or_b64 s[18:19], s[18:19], s[30:31]
	s_and_b64 s[16:17], s[16:17], s[18:19]
	s_xor_b64 s[18:19], s[16:17], -1
                                        ; implicit-def: $vgpr59
                                        ; implicit-def: $vgpr64
	s_and_saveexec_b64 s[30:31], s[18:19]
	s_xor_b64 s[18:19], exec, s[30:31]
	s_cbranch_execz .LBB104_96
; %bb.95:                               ;   in Loop: Header=BB104_2 Depth=1
	ds_read_u8 v59, v63 offset:1
	v_add_u32_e32 v64, 1, v63
                                        ; implicit-def: $vgpr63
.LBB104_96:                             ;   in Loop: Header=BB104_2 Depth=1
	s_or_saveexec_b64 s[18:19], s[18:19]
	v_mov_b32_e32 v65, v60
	s_xor_b64 exec, exec, s[18:19]
	s_cbranch_execz .LBB104_1
; %bb.97:                               ;   in Loop: Header=BB104_2 Depth=1
	ds_read_u8 v65, v62 offset:1
	v_add_u32_e32 v62, 1, v62
	v_mov_b32_e32 v64, v63
	s_waitcnt lgkmcnt(1)
	v_mov_b32_e32 v59, v61
	s_branch .LBB104_1
.LBB104_98:
	s_add_u32 s0, s22, s24
	s_addc_u32 s1, s23, 0
	v_lshl_add_u64 v[0:1], s[0:1], 0, v[0:1]
	global_store_byte v[0:1], v58, off
	global_store_byte v[0:1], v60, off offset:256
	global_store_byte v[0:1], v59, off offset:512
	s_endpgm
	.section	.rodata,"a",@progbits
	.p2align	6, 0x0
	.amdhsa_kernel _Z16sort_keys_kernelIhLj256ELj3EN10test_utils4lessELj10EEvPKT_PS2_T2_
		.amdhsa_group_segment_fixed_size 769
		.amdhsa_private_segment_fixed_size 0
		.amdhsa_kernarg_size 20
		.amdhsa_user_sgpr_count 2
		.amdhsa_user_sgpr_dispatch_ptr 0
		.amdhsa_user_sgpr_queue_ptr 0
		.amdhsa_user_sgpr_kernarg_segment_ptr 1
		.amdhsa_user_sgpr_dispatch_id 0
		.amdhsa_user_sgpr_kernarg_preload_length 0
		.amdhsa_user_sgpr_kernarg_preload_offset 0
		.amdhsa_user_sgpr_private_segment_size 0
		.amdhsa_uses_dynamic_stack 0
		.amdhsa_enable_private_segment 0
		.amdhsa_system_sgpr_workgroup_id_x 1
		.amdhsa_system_sgpr_workgroup_id_y 0
		.amdhsa_system_sgpr_workgroup_id_z 0
		.amdhsa_system_sgpr_workgroup_info 0
		.amdhsa_system_vgpr_workitem_id 0
		.amdhsa_next_free_vgpr 66
		.amdhsa_next_free_sgpr 32
		.amdhsa_accum_offset 68
		.amdhsa_reserve_vcc 1
		.amdhsa_float_round_mode_32 0
		.amdhsa_float_round_mode_16_64 0
		.amdhsa_float_denorm_mode_32 3
		.amdhsa_float_denorm_mode_16_64 3
		.amdhsa_dx10_clamp 1
		.amdhsa_ieee_mode 1
		.amdhsa_fp16_overflow 0
		.amdhsa_tg_split 0
		.amdhsa_exception_fp_ieee_invalid_op 0
		.amdhsa_exception_fp_denorm_src 0
		.amdhsa_exception_fp_ieee_div_zero 0
		.amdhsa_exception_fp_ieee_overflow 0
		.amdhsa_exception_fp_ieee_underflow 0
		.amdhsa_exception_fp_ieee_inexact 0
		.amdhsa_exception_int_div_zero 0
	.end_amdhsa_kernel
	.section	.text._Z16sort_keys_kernelIhLj256ELj3EN10test_utils4lessELj10EEvPKT_PS2_T2_,"axG",@progbits,_Z16sort_keys_kernelIhLj256ELj3EN10test_utils4lessELj10EEvPKT_PS2_T2_,comdat
.Lfunc_end104:
	.size	_Z16sort_keys_kernelIhLj256ELj3EN10test_utils4lessELj10EEvPKT_PS2_T2_, .Lfunc_end104-_Z16sort_keys_kernelIhLj256ELj3EN10test_utils4lessELj10EEvPKT_PS2_T2_
                                        ; -- End function
	.section	.AMDGPU.csdata,"",@progbits
; Kernel info:
; codeLenInByte = 5072
; NumSgprs: 38
; NumVgprs: 66
; NumAgprs: 0
; TotalNumVgprs: 66
; ScratchSize: 0
; MemoryBound: 0
; FloatMode: 240
; IeeeMode: 1
; LDSByteSize: 769 bytes/workgroup (compile time only)
; SGPRBlocks: 4
; VGPRBlocks: 8
; NumSGPRsForWavesPerEU: 38
; NumVGPRsForWavesPerEU: 66
; AccumOffset: 68
; Occupancy: 7
; WaveLimiterHint : 1
; COMPUTE_PGM_RSRC2:SCRATCH_EN: 0
; COMPUTE_PGM_RSRC2:USER_SGPR: 2
; COMPUTE_PGM_RSRC2:TRAP_HANDLER: 0
; COMPUTE_PGM_RSRC2:TGID_X_EN: 1
; COMPUTE_PGM_RSRC2:TGID_Y_EN: 0
; COMPUTE_PGM_RSRC2:TGID_Z_EN: 0
; COMPUTE_PGM_RSRC2:TIDIG_COMP_CNT: 0
; COMPUTE_PGM_RSRC3_GFX90A:ACCUM_OFFSET: 16
; COMPUTE_PGM_RSRC3_GFX90A:TG_SPLIT: 0
	.section	.text._Z17sort_pairs_kernelIhLj256ELj3EN10test_utils4lessELj10EEvPKT_PS2_T2_,"axG",@progbits,_Z17sort_pairs_kernelIhLj256ELj3EN10test_utils4lessELj10EEvPKT_PS2_T2_,comdat
	.protected	_Z17sort_pairs_kernelIhLj256ELj3EN10test_utils4lessELj10EEvPKT_PS2_T2_ ; -- Begin function _Z17sort_pairs_kernelIhLj256ELj3EN10test_utils4lessELj10EEvPKT_PS2_T2_
	.globl	_Z17sort_pairs_kernelIhLj256ELj3EN10test_utils4lessELj10EEvPKT_PS2_T2_
	.p2align	8
	.type	_Z17sort_pairs_kernelIhLj256ELj3EN10test_utils4lessELj10EEvPKT_PS2_T2_,@function
_Z17sort_pairs_kernelIhLj256ELj3EN10test_utils4lessELj10EEvPKT_PS2_T2_: ; @_Z17sort_pairs_kernelIhLj256ELj3EN10test_utils4lessELj10EEvPKT_PS2_T2_
; %bb.0:
	s_load_dwordx4 s[24:27], s[0:1], 0x0
	s_mul_i32 s28, s2, 0x300
	v_and_b32_e32 v3, 0xfe, v0
	v_and_b32_e32 v5, 0xfc, v0
	v_and_b32_e32 v6, 0xf8, v0
	s_waitcnt lgkmcnt(0)
	s_add_u32 s0, s24, s28
	s_addc_u32 s1, s25, 0
	global_load_ubyte v29, v0, s[0:1] offset:256
	global_load_ubyte v30, v0, s[0:1] offset:512
	global_load_ubyte v31, v0, s[0:1]
	v_and_b32_e32 v7, 0xf0, v0
	v_mul_u32_u24_e32 v8, 3, v3
	v_and_b32_e32 v4, 1, v0
	v_mul_u32_u24_e32 v9, 3, v5
	v_mul_u32_u24_e32 v10, 3, v6
	v_mul_u32_u24_e32 v11, 3, v7
	v_min_u32_e32 v12, 0x2fd, v8
	v_min_u32_e32 v13, 0x2fa, v8
	v_cmp_eq_u32_e32 vcc, 1, v4
	v_min_u32_e32 v7, 0x300, v8
	v_min_u32_e32 v8, 0x300, v9
	;; [unrolled: 1-line block ×10, first 2 shown]
	v_add_u32_e32 v11, 3, v12
	v_add_u32_e32 v12, 6, v13
	v_and_b32_e32 v20, 3, v0
	v_cndmask_b32_e64 v3, 0, 3, vcc
	v_add_u32_e32 v13, 6, v14
	v_add_u32_e32 v14, 12, v15
	v_sub_u32_e32 v25, v12, v11
	v_mul_u32_u24_e32 v4, 3, v20
	v_sub_u32_e32 v26, v14, v13
	v_sub_u32_e32 v34, v3, v25
	v_cmp_ge_i32_e32 vcc, v3, v25
	v_sub_u32_e32 v35, v4, v26
	v_and_b32_e32 v21, 7, v0
	v_cndmask_b32_e32 v25, 0, v34, vcc
	v_cmp_ge_i32_e32 vcc, v4, v26
	v_add_u32_e32 v15, 12, v16
	v_add_u32_e32 v16, 24, v17
	v_cndmask_b32_e32 v26, 0, v35, vcc
	v_and_b32_e32 v32, 15, v0
	v_mul_u32_u24_e32 v5, 3, v21
	v_add_u32_e32 v17, 24, v18
	v_add_u32_e32 v18, 48, v19
	v_sub_u32_e32 v27, v16, v15
	v_mul_u32_u24_e32 v6, 3, v32
	v_sub_u32_e32 v33, v17, v10
	v_sub_u32_e32 v28, v18, v17
	;; [unrolled: 1-line block ×3, first 2 shown]
	v_cmp_ge_i32_e32 vcc, v5, v27
	v_sub_u32_e32 v37, v6, v28
	v_and_b32_e32 v44, 63, v0
	v_cndmask_b32_e32 v27, 0, v36, vcc
	v_cmp_ge_i32_e32 vcc, v6, v28
	v_and_b32_e32 v52, 0x7f, v0
	v_mul_u32_u24_e32 v2, 3, v0
	v_cndmask_b32_e32 v28, 0, v37, vcc
	v_and_b32_e32 v37, 31, v0
	v_sub_u32_e32 v22, v11, v7
	v_sub_u32_e32 v23, v13, v8
	;; [unrolled: 1-line block ×3, first 2 shown]
	v_mov_b32_e32 v48, 0x180
	v_min_i32_e32 v22, v3, v22
	v_min_i32_e32 v23, v4, v23
	v_min_i32_e32 v24, v5, v24
	v_min_i32_e32 v54, 0x180, v2
	s_movk_i32 s29, 0x300
	s_mov_b32 s30, 0
	v_mov_b32_e32 v1, 0
	s_movk_i32 s31, 0xff
	v_add_u32_e32 v19, v11, v3
	v_mad_u32_u24 v20, v20, 3, v13
	v_mad_u32_u24 v21, v21, 3, v15
	v_cmp_lt_i32_e32 vcc, v25, v22
	v_cmp_lt_i32_e64 s[0:1], v26, v23
	v_cmp_lt_i32_e64 s[2:3], v27, v24
	v_mad_u32_u24 v55, v0, 3, v48
	s_mov_b32 s33, 0x7060405
	s_movk_i32 s34, 0xff00
	s_mov_b32 s35, 0xffff0000
	s_waitcnt vmcnt(2)
	v_lshlrev_b16_e32 v29, 8, v29
	s_waitcnt vmcnt(1)
	v_lshlrev_b32_e32 v34, 16, v30
	s_waitcnt vmcnt(0)
	v_add_u16_e32 v35, 1, v31
	v_add_u16_e32 v30, 1, v30
	v_or_b32_e32 v31, v31, v29
	v_or_b32_sdwa v29, v29, v35 dst_sel:DWORD dst_unused:UNUSED_PAD src0_sel:DWORD src1_sel:BYTE_0
	v_and_b32_e32 v30, 0xff, v30
	v_or_b32_sdwa v58, v31, v34 dst_sel:DWORD dst_unused:UNUSED_PAD src0_sel:WORD_0 src1_sel:DWORD
	v_and_b32_e32 v31, 0xe0, v0
	v_add_u16_e32 v29, 0x100, v29
	v_lshlrev_b32_e32 v30, 16, v30
	v_mul_u32_u24_e32 v34, 3, v31
	v_or_b32_e32 v57, v29, v30
	v_min_i32_e32 v29, v6, v33
	v_mad_u32_u24 v30, v32, 3, v17
	v_min_u32_e32 v32, 0x300, v34
	v_min_u32_e32 v33, 0x2d0, v34
	;; [unrolled: 1-line block ×3, first 2 shown]
	v_add_u32_e32 v33, 48, v33
	v_add_u32_e32 v34, 0x60, v34
	v_mul_u32_u24_e32 v31, 3, v37
	v_sub_u32_e32 v35, v34, v33
	v_sub_u32_e32 v38, v31, v35
	v_cmp_ge_i32_e64 s[6:7], v31, v35
	v_sub_u32_e32 v36, v33, v32
	v_min_i32_e32 v36, v31, v36
	v_cndmask_b32_e64 v35, 0, v38, s[6:7]
	v_and_b32_e32 v38, 0xc0, v0
	v_mul_u32_u24_e32 v41, 3, v38
	v_min_u32_e32 v39, 0x300, v41
	v_min_u32_e32 v40, 0x2a0, v41
	;; [unrolled: 1-line block ×3, first 2 shown]
	v_add_u32_e32 v40, 0x60, v40
	v_add_u32_e32 v41, 0xc0, v41
	v_mul_u32_u24_e32 v38, 3, v44
	v_sub_u32_e32 v42, v41, v40
	v_sub_u32_e32 v45, v38, v42
	v_cmp_ge_i32_e64 s[8:9], v38, v42
	v_sub_u32_e32 v43, v40, v39
	v_min_i32_e32 v43, v38, v43
	v_cndmask_b32_e64 v42, 0, v45, s[8:9]
	v_and_b32_e32 v45, 0x80, v0
	v_mul_u32_u24_e32 v49, 3, v45
	v_min_u32_e32 v46, 0x300, v49
	v_min_u32_e32 v47, 0x240, v49
	;; [unrolled: 1-line block ×3, first 2 shown]
	v_add_u32_e32 v47, 0xc0, v47
	v_add_u32_e32 v49, 0x180, v49
	v_mul_u32_u24_e32 v45, 3, v52
	v_sub_u32_e32 v50, v49, v47
	v_sub_u32_e32 v51, v47, v46
	;; [unrolled: 1-line block ×3, first 2 shown]
	v_cmp_ge_i32_e64 s[10:11], v45, v50
	v_min_i32_e32 v51, v45, v51
	v_cmp_lt_i32_e64 s[4:5], v28, v29
	v_cndmask_b32_e64 v50, 0, v53, s[10:11]
	v_sub_u32_e64 v53, v2, v48 clamp
	v_cmp_lt_i32_e64 s[6:7], v35, v36
	v_mad_u32_u24 v37, v37, 3, v33
	v_cmp_lt_i32_e64 s[8:9], v42, v43
	v_mad_u32_u24 v44, v44, 3, v40
	;; [unrolled: 2-line block ×3, first 2 shown]
	v_cmp_lt_i32_e64 s[12:13], v53, v54
	s_mov_b32 s36, 0xc0c0001
	v_mov_b32_e32 v56, 8
	s_branch .LBB105_2
.LBB105_1:                              ;   in Loop: Header=BB105_2 Depth=1
	s_or_b64 exec, exec, s[18:19]
	v_cndmask_b32_e64 v62, v62, v63, s[14:15]
	v_cndmask_b32_e64 v63, v65, v64, s[16:17]
	v_cmp_ge_i32_e64 s[16:17], v67, v48
	s_waitcnt lgkmcnt(0)
	v_cmp_lt_u16_sdwa s[18:19], v71, v68 src0_sel:BYTE_0 src1_sel:BYTE_0
	v_cndmask_b32_e64 v61, v60, v61, s[14:15]
	v_cmp_gt_i32_e64 s[14:15], s29, v66
	s_or_b64 s[16:17], s[16:17], s[18:19]
	s_and_b64 s[14:15], s[14:15], s[16:17]
	v_lshlrev_b16_e32 v64, 8, v63
	v_or_b32_sdwa v65, v62, v64 dst_sel:DWORD dst_unused:UNUSED_PAD src0_sel:BYTE_0 src1_sel:DWORD
	v_cndmask_b32_e64 v66, v67, v66, s[14:15]
	s_barrier
	ds_write_b8 v2, v58
	ds_write_b8 v2, v59 offset:1
	ds_write_b8 v2, v57 offset:2
	s_waitcnt lgkmcnt(0)
	s_barrier
	ds_read_u8 v59, v70
	ds_read_u8 v64, v61
	ds_read_u8 v61, v66
	v_cndmask_b32_e64 v60, v68, v71, s[14:15]
	v_and_b32_e32 v68, 0xff, v60
	v_lshlrev_b32_e32 v57, 16, v68
	v_or_b32_sdwa v58, v65, v57 dst_sel:DWORD dst_unused:UNUSED_PAD src0_sel:WORD_0 src1_sel:DWORD
	s_waitcnt lgkmcnt(2)
	v_lshlrev_b16_e32 v57, 8, v59
	s_waitcnt lgkmcnt(1)
	v_or_b32_e32 v57, v64, v57
	s_waitcnt lgkmcnt(0)
	v_lshlrev_b32_e32 v65, 16, v61
	s_add_i32 s30, s30, 1
	s_cmp_eq_u32 s30, 10
	v_or_b32_sdwa v57, v57, v65 dst_sel:DWORD dst_unused:UNUSED_PAD src0_sel:WORD_0 src1_sel:DWORD
	s_cbranch_scc1 .LBB105_98
.LBB105_2:                              ; =>This Loop Header: Depth=1
                                        ;     Child Loop BB105_4 Depth 2
                                        ;     Child Loop BB105_16 Depth 2
	;; [unrolled: 1-line block ×8, first 2 shown]
	v_lshrrev_b32_e32 v60, 8, v58
	v_perm_b32 v59, v58, v58, s33
	v_cmp_lt_u16_sdwa s[14:15], v60, v58 src0_sel:BYTE_0 src1_sel:BYTE_0
	s_barrier
	s_nop 0
	v_cndmask_b32_e64 v59, v58, v59, s[14:15]
	v_and_b32_sdwa v61, v59, s34 dst_sel:DWORD dst_unused:UNUSED_PAD src0_sel:WORD_1 src1_sel:DWORD
	v_max_u16_sdwa v58, v60, v58 dst_sel:DWORD dst_unused:UNUSED_PAD src0_sel:BYTE_0 src1_sel:BYTE_0
	v_lshlrev_b16_sdwa v62, v56, v59 dst_sel:DWORD dst_unused:UNUSED_PAD src0_sel:DWORD src1_sel:WORD_1
	v_or_b32_sdwa v60, v58, v61 dst_sel:WORD_1 dst_unused:UNUSED_PAD src0_sel:DWORD src1_sel:DWORD
	v_and_b32_sdwa v61, v59, s31 dst_sel:DWORD dst_unused:UNUSED_PAD src0_sel:WORD_1 src1_sel:DWORD
	v_or_b32_sdwa v62, v59, v62 dst_sel:DWORD dst_unused:UNUSED_PAD src0_sel:BYTE_0 src1_sel:DWORD
	v_or_b32_sdwa v60, v62, v60 dst_sel:DWORD dst_unused:UNUSED_PAD src0_sel:WORD_0 src1_sel:DWORD
	v_cmp_lt_u16_e64 s[16:17], v61, v58
	v_min_u16_e32 v58, v61, v58
	s_nop 0
	v_cndmask_b32_e64 v59, v59, v60, s[16:17]
	v_lshlrev_b16_e32 v60, 8, v59
	v_or_b32_e32 v60, v58, v60
	v_and_b32_e32 v60, 0xffff, v60
	v_and_or_b32 v60, v59, s35, v60
	v_cmp_lt_u16_sdwa s[18:19], v58, v59 src0_sel:DWORD src1_sel:BYTE_0
	s_nop 1
	v_cndmask_b32_e64 v58, v59, v60, s[18:19]
	v_lshrrev_b32_e32 v59, 8, v58
	ds_write_b8 v2, v58
	ds_write_b8 v2, v59 offset:1
	ds_write_b8_d16_hi v2, v58 offset:2
	v_mov_b32_e32 v59, v25
	s_waitcnt lgkmcnt(0)
	s_barrier
	s_and_saveexec_b64 s[22:23], vcc
	s_cbranch_execz .LBB105_6
; %bb.3:                                ;   in Loop: Header=BB105_2 Depth=1
	s_mov_b64 s[24:25], 0
	v_mov_b32_e32 v59, v25
	v_mov_b32_e32 v58, v22
.LBB105_4:                              ;   Parent Loop BB105_2 Depth=1
                                        ; =>  This Inner Loop Header: Depth=2
	v_sub_u32_e32 v60, v58, v59
	v_lshrrev_b32_e32 v61, 31, v60
	v_add_u32_e32 v60, v60, v61
	v_ashrrev_i32_e32 v60, 1, v60
	v_add_u32_e32 v60, v60, v59
	v_not_b32_e32 v62, v60
	v_add_u32_e32 v61, v7, v60
	v_add3_u32 v62, v3, v62, v11
	ds_read_u8 v61, v61
	ds_read_u8 v62, v62
	v_add_u32_e32 v63, 1, v60
	s_waitcnt lgkmcnt(0)
	v_cmp_lt_u16_e64 s[20:21], v62, v61
	s_nop 1
	v_cndmask_b32_e64 v58, v58, v60, s[20:21]
	v_cndmask_b32_e64 v59, v63, v59, s[20:21]
	v_cmp_ge_i32_e64 s[20:21], v59, v58
	s_or_b64 s[24:25], s[20:21], s[24:25]
	s_andn2_b64 exec, exec, s[24:25]
	s_cbranch_execnz .LBB105_4
; %bb.5:                                ;   in Loop: Header=BB105_2 Depth=1
	s_or_b64 exec, exec, s[24:25]
.LBB105_6:                              ;   in Loop: Header=BB105_2 Depth=1
	s_or_b64 exec, exec, s[22:23]
	v_add_u32_e32 v58, v59, v7
	v_sub_u32_e32 v59, v19, v59
	ds_read_u8 v60, v58
	ds_read_u8 v61, v59
	v_cmp_le_i32_e64 s[22:23], v11, v58
	v_cmp_gt_i32_e64 s[20:21], v12, v59
                                        ; implicit-def: $vgpr62
                                        ; implicit-def: $vgpr63
	s_waitcnt lgkmcnt(0)
	v_cmp_lt_u16_sdwa s[24:25], v61, v60 src0_sel:BYTE_0 src1_sel:BYTE_0
	s_or_b64 s[22:23], s[22:23], s[24:25]
	s_and_b64 s[20:21], s[20:21], s[22:23]
	s_xor_b64 s[22:23], s[20:21], -1
	s_and_saveexec_b64 s[24:25], s[22:23]
	s_xor_b64 s[22:23], exec, s[24:25]
	s_cbranch_execz .LBB105_8
; %bb.7:                                ;   in Loop: Header=BB105_2 Depth=1
	ds_read_u8 v63, v58 offset:1
	v_mov_b32_e32 v62, v61
.LBB105_8:                              ;   in Loop: Header=BB105_2 Depth=1
	s_andn2_saveexec_b64 s[22:23], s[22:23]
	s_cbranch_execz .LBB105_10
; %bb.9:                                ;   in Loop: Header=BB105_2 Depth=1
	ds_read_u8 v62, v59 offset:1
	s_waitcnt lgkmcnt(1)
	v_mov_b32_e32 v63, v60
.LBB105_10:                             ;   in Loop: Header=BB105_2 Depth=1
	s_or_b64 exec, exec, s[22:23]
	v_add_u32_e32 v66, 1, v58
	v_add_u32_e32 v64, 1, v59
	v_cndmask_b32_e64 v66, v66, v58, s[20:21]
	v_cndmask_b32_e64 v65, v59, v64, s[20:21]
	v_cmp_ge_i32_e64 s[24:25], v66, v11
	s_waitcnt lgkmcnt(0)
	v_cmp_lt_u16_sdwa s[38:39], v62, v63 src0_sel:BYTE_0 src1_sel:BYTE_0
	v_cmp_lt_i32_e64 s[22:23], v65, v12
	s_or_b64 s[24:25], s[24:25], s[38:39]
	s_and_b64 s[22:23], s[22:23], s[24:25]
	s_xor_b64 s[24:25], s[22:23], -1
                                        ; implicit-def: $vgpr64
	s_and_saveexec_b64 s[38:39], s[24:25]
	s_xor_b64 s[24:25], exec, s[38:39]
	s_cbranch_execz .LBB105_12
; %bb.11:                               ;   in Loop: Header=BB105_2 Depth=1
	ds_read_u8 v64, v66 offset:1
.LBB105_12:                             ;   in Loop: Header=BB105_2 Depth=1
	s_or_saveexec_b64 s[24:25], s[24:25]
	v_mov_b32_e32 v67, v62
	s_xor_b64 exec, exec, s[24:25]
	s_cbranch_execz .LBB105_14
; %bb.13:                               ;   in Loop: Header=BB105_2 Depth=1
	ds_read_u8 v67, v65 offset:1
	s_waitcnt lgkmcnt(1)
	v_mov_b32_e32 v64, v63
.LBB105_14:                             ;   in Loop: Header=BB105_2 Depth=1
	s_or_b64 exec, exec, s[24:25]
	v_perm_b32 v68, v57, v57, s33
	v_cndmask_b32_e64 v57, v57, v68, s[14:15]
	v_cndmask_b32_e64 v58, v58, v59, s[20:21]
	v_lshrrev_b32_e32 v59, 16, v57
	v_cndmask_b32_e64 v60, v60, v61, s[20:21]
	v_lshlrev_b16_e32 v59, 8, v59
	v_lshrrev_b16_e32 v61, 8, v57
	v_or_b32_sdwa v59, v57, v59 dst_sel:DWORD dst_unused:UNUSED_PAD src0_sel:BYTE_0 src1_sel:DWORD
	v_lshlrev_b32_e32 v61, 16, v61
	v_or_b32_sdwa v59, v59, v61 dst_sel:DWORD dst_unused:UNUSED_PAD src0_sel:WORD_0 src1_sel:DWORD
	v_cndmask_b32_e64 v57, v57, v59, s[16:17]
	v_add_u32_e32 v69, 1, v66
	v_perm_b32 v59, 0, v57, s36
	v_cndmask_b32_e64 v62, v63, v62, s[22:23]
	v_add_u32_e32 v63, 1, v65
	v_cndmask_b32_e64 v69, v69, v66, s[22:23]
	v_and_or_b32 v59, v57, s35, v59
	v_cndmask_b32_e64 v63, v65, v63, s[22:23]
	v_cndmask_b32_e64 v57, v57, v59, s[18:19]
	v_cmp_ge_i32_e64 s[16:17], v69, v11
	s_waitcnt lgkmcnt(0)
	v_cmp_lt_u16_sdwa s[18:19], v67, v64 src0_sel:BYTE_0 src1_sel:BYTE_0
	v_cmp_lt_i32_e64 s[14:15], v63, v12
	s_or_b64 s[16:17], s[16:17], s[18:19]
	s_and_b64 s[14:15], s[14:15], s[16:17]
	v_cndmask_b32_e64 v59, v69, v63, s[14:15]
	v_lshrrev_b32_e32 v63, 8, v57
	v_cndmask_b32_e64 v65, v66, v65, s[22:23]
	s_barrier
	ds_write_b8 v2, v57
	ds_write_b8 v2, v63 offset:1
	ds_write_b8_d16_hi v2, v57 offset:2
	s_waitcnt lgkmcnt(0)
	s_barrier
	ds_read_u8 v57, v59
	ds_read_u8 v58, v58
	;; [unrolled: 1-line block ×3, first 2 shown]
	v_cndmask_b32_e64 v61, v64, v67, s[14:15]
	s_waitcnt lgkmcnt(0)
	s_barrier
	ds_write_b8 v2, v60
	ds_write_b8 v2, v62 offset:1
	ds_write_b8 v2, v61 offset:2
	v_mov_b32_e32 v61, v26
	s_waitcnt lgkmcnt(0)
	s_barrier
	s_and_saveexec_b64 s[16:17], s[0:1]
	s_cbranch_execz .LBB105_18
; %bb.15:                               ;   in Loop: Header=BB105_2 Depth=1
	s_mov_b64 s[18:19], 0
	v_mov_b32_e32 v61, v26
	v_mov_b32_e32 v60, v23
.LBB105_16:                             ;   Parent Loop BB105_2 Depth=1
                                        ; =>  This Inner Loop Header: Depth=2
	v_sub_u32_e32 v62, v60, v61
	v_lshrrev_b32_e32 v63, 31, v62
	v_add_u32_e32 v62, v62, v63
	v_ashrrev_i32_e32 v62, 1, v62
	v_add_u32_e32 v62, v62, v61
	v_not_b32_e32 v64, v62
	v_add_u32_e32 v63, v8, v62
	v_add3_u32 v64, v4, v64, v13
	ds_read_u8 v63, v63
	ds_read_u8 v64, v64
	v_add_u32_e32 v65, 1, v62
	s_waitcnt lgkmcnt(0)
	v_cmp_lt_u16_e64 s[14:15], v64, v63
	s_nop 1
	v_cndmask_b32_e64 v60, v60, v62, s[14:15]
	v_cndmask_b32_e64 v61, v65, v61, s[14:15]
	v_cmp_ge_i32_e64 s[14:15], v61, v60
	s_or_b64 s[18:19], s[14:15], s[18:19]
	s_andn2_b64 exec, exec, s[18:19]
	s_cbranch_execnz .LBB105_16
; %bb.17:                               ;   in Loop: Header=BB105_2 Depth=1
	s_or_b64 exec, exec, s[18:19]
.LBB105_18:                             ;   in Loop: Header=BB105_2 Depth=1
	s_or_b64 exec, exec, s[16:17]
	v_add_u32_e32 v60, v61, v8
	v_sub_u32_e32 v61, v20, v61
	ds_read_u8 v62, v60
	ds_read_u8 v63, v61
	v_cmp_le_i32_e64 s[16:17], v13, v60
	v_cmp_gt_i32_e64 s[14:15], v14, v61
                                        ; implicit-def: $vgpr64
                                        ; implicit-def: $vgpr65
	s_waitcnt lgkmcnt(0)
	v_cmp_lt_u16_sdwa s[18:19], v63, v62 src0_sel:BYTE_0 src1_sel:BYTE_0
	s_or_b64 s[16:17], s[16:17], s[18:19]
	s_and_b64 s[14:15], s[14:15], s[16:17]
	s_xor_b64 s[16:17], s[14:15], -1
	s_and_saveexec_b64 s[18:19], s[16:17]
	s_xor_b64 s[16:17], exec, s[18:19]
	s_cbranch_execz .LBB105_20
; %bb.19:                               ;   in Loop: Header=BB105_2 Depth=1
	ds_read_u8 v65, v60 offset:1
	v_mov_b32_e32 v64, v63
.LBB105_20:                             ;   in Loop: Header=BB105_2 Depth=1
	s_andn2_saveexec_b64 s[16:17], s[16:17]
	s_cbranch_execz .LBB105_22
; %bb.21:                               ;   in Loop: Header=BB105_2 Depth=1
	ds_read_u8 v64, v61 offset:1
	s_waitcnt lgkmcnt(1)
	v_mov_b32_e32 v65, v62
.LBB105_22:                             ;   in Loop: Header=BB105_2 Depth=1
	s_or_b64 exec, exec, s[16:17]
	v_add_u32_e32 v67, 1, v60
	v_add_u32_e32 v66, 1, v61
	v_cndmask_b32_e64 v67, v67, v60, s[14:15]
	v_cndmask_b32_e64 v66, v61, v66, s[14:15]
	v_cmp_ge_i32_e64 s[18:19], v67, v13
	s_waitcnt lgkmcnt(0)
	v_cmp_lt_u16_sdwa s[20:21], v64, v65 src0_sel:BYTE_0 src1_sel:BYTE_0
	v_cmp_lt_i32_e64 s[16:17], v66, v14
	s_or_b64 s[18:19], s[18:19], s[20:21]
	s_and_b64 s[16:17], s[16:17], s[18:19]
	s_xor_b64 s[18:19], s[16:17], -1
                                        ; implicit-def: $vgpr68
	s_and_saveexec_b64 s[20:21], s[18:19]
	s_xor_b64 s[18:19], exec, s[20:21]
	s_cbranch_execz .LBB105_24
; %bb.23:                               ;   in Loop: Header=BB105_2 Depth=1
	ds_read_u8 v68, v67 offset:1
.LBB105_24:                             ;   in Loop: Header=BB105_2 Depth=1
	s_or_saveexec_b64 s[18:19], s[18:19]
	v_mov_b32_e32 v69, v64
	s_xor_b64 exec, exec, s[18:19]
	s_cbranch_execz .LBB105_26
; %bb.25:                               ;   in Loop: Header=BB105_2 Depth=1
	ds_read_u8 v69, v66 offset:1
	s_waitcnt lgkmcnt(1)
	v_mov_b32_e32 v68, v65
.LBB105_26:                             ;   in Loop: Header=BB105_2 Depth=1
	s_or_b64 exec, exec, s[18:19]
	v_add_u32_e32 v70, 1, v67
	v_cndmask_b32_e64 v64, v65, v64, s[16:17]
	v_add_u32_e32 v65, 1, v66
	v_cndmask_b32_e64 v70, v70, v67, s[16:17]
	v_cndmask_b32_e64 v65, v66, v65, s[16:17]
	;; [unrolled: 1-line block ×3, first 2 shown]
	v_cmp_ge_i32_e64 s[16:17], v70, v13
	s_waitcnt lgkmcnt(0)
	v_cmp_lt_u16_sdwa s[18:19], v69, v68 src0_sel:BYTE_0 src1_sel:BYTE_0
	v_cndmask_b32_e64 v62, v62, v63, s[14:15]
	v_cndmask_b32_e64 v60, v60, v61, s[14:15]
	v_cmp_lt_i32_e64 s[14:15], v65, v14
	s_or_b64 s[16:17], s[16:17], s[18:19]
	s_and_b64 s[14:15], s[14:15], s[16:17]
	v_cndmask_b32_e64 v63, v70, v65, s[14:15]
	s_barrier
	ds_write_b8 v2, v58
	ds_write_b8 v2, v59 offset:1
	ds_write_b8 v2, v57 offset:2
	s_waitcnt lgkmcnt(0)
	s_barrier
	ds_read_u8 v57, v63
	ds_read_u8 v58, v60
	;; [unrolled: 1-line block ×3, first 2 shown]
	v_cndmask_b32_e64 v61, v68, v69, s[14:15]
	s_waitcnt lgkmcnt(0)
	s_barrier
	ds_write_b8 v2, v62
	ds_write_b8 v2, v64 offset:1
	ds_write_b8 v2, v61 offset:2
	v_mov_b32_e32 v61, v27
	s_waitcnt lgkmcnt(0)
	s_barrier
	s_and_saveexec_b64 s[16:17], s[2:3]
	s_cbranch_execz .LBB105_30
; %bb.27:                               ;   in Loop: Header=BB105_2 Depth=1
	s_mov_b64 s[18:19], 0
	v_mov_b32_e32 v61, v27
	v_mov_b32_e32 v60, v24
.LBB105_28:                             ;   Parent Loop BB105_2 Depth=1
                                        ; =>  This Inner Loop Header: Depth=2
	v_sub_u32_e32 v62, v60, v61
	v_lshrrev_b32_e32 v63, 31, v62
	v_add_u32_e32 v62, v62, v63
	v_ashrrev_i32_e32 v62, 1, v62
	v_add_u32_e32 v62, v62, v61
	v_not_b32_e32 v64, v62
	v_add_u32_e32 v63, v9, v62
	v_add3_u32 v64, v5, v64, v15
	ds_read_u8 v63, v63
	ds_read_u8 v64, v64
	v_add_u32_e32 v65, 1, v62
	s_waitcnt lgkmcnt(0)
	v_cmp_lt_u16_e64 s[14:15], v64, v63
	s_nop 1
	v_cndmask_b32_e64 v60, v60, v62, s[14:15]
	v_cndmask_b32_e64 v61, v65, v61, s[14:15]
	v_cmp_ge_i32_e64 s[14:15], v61, v60
	s_or_b64 s[18:19], s[14:15], s[18:19]
	s_andn2_b64 exec, exec, s[18:19]
	s_cbranch_execnz .LBB105_28
; %bb.29:                               ;   in Loop: Header=BB105_2 Depth=1
	s_or_b64 exec, exec, s[18:19]
.LBB105_30:                             ;   in Loop: Header=BB105_2 Depth=1
	s_or_b64 exec, exec, s[16:17]
	v_add_u32_e32 v60, v61, v9
	v_sub_u32_e32 v61, v21, v61
	ds_read_u8 v62, v60
	ds_read_u8 v63, v61
	v_cmp_le_i32_e64 s[16:17], v15, v60
	v_cmp_gt_i32_e64 s[14:15], v16, v61
                                        ; implicit-def: $vgpr64
                                        ; implicit-def: $vgpr65
	s_waitcnt lgkmcnt(0)
	v_cmp_lt_u16_sdwa s[18:19], v63, v62 src0_sel:BYTE_0 src1_sel:BYTE_0
	s_or_b64 s[16:17], s[16:17], s[18:19]
	s_and_b64 s[14:15], s[14:15], s[16:17]
	s_xor_b64 s[16:17], s[14:15], -1
	s_and_saveexec_b64 s[18:19], s[16:17]
	s_xor_b64 s[16:17], exec, s[18:19]
	s_cbranch_execz .LBB105_32
; %bb.31:                               ;   in Loop: Header=BB105_2 Depth=1
	ds_read_u8 v65, v60 offset:1
	v_mov_b32_e32 v64, v63
.LBB105_32:                             ;   in Loop: Header=BB105_2 Depth=1
	s_andn2_saveexec_b64 s[16:17], s[16:17]
	s_cbranch_execz .LBB105_34
; %bb.33:                               ;   in Loop: Header=BB105_2 Depth=1
	ds_read_u8 v64, v61 offset:1
	s_waitcnt lgkmcnt(1)
	v_mov_b32_e32 v65, v62
.LBB105_34:                             ;   in Loop: Header=BB105_2 Depth=1
	s_or_b64 exec, exec, s[16:17]
	v_add_u32_e32 v67, 1, v60
	v_add_u32_e32 v66, 1, v61
	v_cndmask_b32_e64 v67, v67, v60, s[14:15]
	v_cndmask_b32_e64 v66, v61, v66, s[14:15]
	v_cmp_ge_i32_e64 s[18:19], v67, v15
	s_waitcnt lgkmcnt(0)
	v_cmp_lt_u16_sdwa s[20:21], v64, v65 src0_sel:BYTE_0 src1_sel:BYTE_0
	v_cmp_lt_i32_e64 s[16:17], v66, v16
	s_or_b64 s[18:19], s[18:19], s[20:21]
	s_and_b64 s[16:17], s[16:17], s[18:19]
	s_xor_b64 s[18:19], s[16:17], -1
                                        ; implicit-def: $vgpr68
	s_and_saveexec_b64 s[20:21], s[18:19]
	s_xor_b64 s[18:19], exec, s[20:21]
	s_cbranch_execz .LBB105_36
; %bb.35:                               ;   in Loop: Header=BB105_2 Depth=1
	ds_read_u8 v68, v67 offset:1
.LBB105_36:                             ;   in Loop: Header=BB105_2 Depth=1
	s_or_saveexec_b64 s[18:19], s[18:19]
	v_mov_b32_e32 v69, v64
	s_xor_b64 exec, exec, s[18:19]
	s_cbranch_execz .LBB105_38
; %bb.37:                               ;   in Loop: Header=BB105_2 Depth=1
	ds_read_u8 v69, v66 offset:1
	s_waitcnt lgkmcnt(1)
	v_mov_b32_e32 v68, v65
.LBB105_38:                             ;   in Loop: Header=BB105_2 Depth=1
	s_or_b64 exec, exec, s[18:19]
	v_add_u32_e32 v70, 1, v67
	v_cndmask_b32_e64 v64, v65, v64, s[16:17]
	v_add_u32_e32 v65, 1, v66
	v_cndmask_b32_e64 v70, v70, v67, s[16:17]
	v_cndmask_b32_e64 v65, v66, v65, s[16:17]
	;; [unrolled: 1-line block ×3, first 2 shown]
	v_cmp_ge_i32_e64 s[16:17], v70, v15
	s_waitcnt lgkmcnt(0)
	v_cmp_lt_u16_sdwa s[18:19], v69, v68 src0_sel:BYTE_0 src1_sel:BYTE_0
	v_cndmask_b32_e64 v62, v62, v63, s[14:15]
	v_cndmask_b32_e64 v60, v60, v61, s[14:15]
	v_cmp_lt_i32_e64 s[14:15], v65, v16
	s_or_b64 s[16:17], s[16:17], s[18:19]
	s_and_b64 s[14:15], s[14:15], s[16:17]
	v_cndmask_b32_e64 v63, v70, v65, s[14:15]
	s_barrier
	ds_write_b8 v2, v58
	ds_write_b8 v2, v59 offset:1
	ds_write_b8 v2, v57 offset:2
	s_waitcnt lgkmcnt(0)
	s_barrier
	ds_read_u8 v57, v63
	ds_read_u8 v58, v60
	;; [unrolled: 1-line block ×3, first 2 shown]
	v_cndmask_b32_e64 v61, v68, v69, s[14:15]
	s_waitcnt lgkmcnt(0)
	s_barrier
	ds_write_b8 v2, v62
	ds_write_b8 v2, v64 offset:1
	ds_write_b8 v2, v61 offset:2
	v_mov_b32_e32 v61, v28
	s_waitcnt lgkmcnt(0)
	s_barrier
	s_and_saveexec_b64 s[16:17], s[4:5]
	s_cbranch_execz .LBB105_42
; %bb.39:                               ;   in Loop: Header=BB105_2 Depth=1
	s_mov_b64 s[18:19], 0
	v_mov_b32_e32 v61, v28
	v_mov_b32_e32 v60, v29
.LBB105_40:                             ;   Parent Loop BB105_2 Depth=1
                                        ; =>  This Inner Loop Header: Depth=2
	v_sub_u32_e32 v62, v60, v61
	v_lshrrev_b32_e32 v63, 31, v62
	v_add_u32_e32 v62, v62, v63
	v_ashrrev_i32_e32 v62, 1, v62
	v_add_u32_e32 v62, v62, v61
	v_not_b32_e32 v64, v62
	v_add_u32_e32 v63, v10, v62
	v_add3_u32 v64, v6, v64, v17
	ds_read_u8 v63, v63
	ds_read_u8 v64, v64
	v_add_u32_e32 v65, 1, v62
	s_waitcnt lgkmcnt(0)
	v_cmp_lt_u16_e64 s[14:15], v64, v63
	s_nop 1
	v_cndmask_b32_e64 v60, v60, v62, s[14:15]
	v_cndmask_b32_e64 v61, v65, v61, s[14:15]
	v_cmp_ge_i32_e64 s[14:15], v61, v60
	s_or_b64 s[18:19], s[14:15], s[18:19]
	s_andn2_b64 exec, exec, s[18:19]
	s_cbranch_execnz .LBB105_40
; %bb.41:                               ;   in Loop: Header=BB105_2 Depth=1
	s_or_b64 exec, exec, s[18:19]
.LBB105_42:                             ;   in Loop: Header=BB105_2 Depth=1
	s_or_b64 exec, exec, s[16:17]
	v_add_u32_e32 v60, v61, v10
	v_sub_u32_e32 v61, v30, v61
	ds_read_u8 v62, v60
	ds_read_u8 v63, v61
	v_cmp_le_i32_e64 s[16:17], v17, v60
	v_cmp_gt_i32_e64 s[14:15], v18, v61
                                        ; implicit-def: $vgpr64
                                        ; implicit-def: $vgpr65
	s_waitcnt lgkmcnt(0)
	v_cmp_lt_u16_sdwa s[18:19], v63, v62 src0_sel:BYTE_0 src1_sel:BYTE_0
	s_or_b64 s[16:17], s[16:17], s[18:19]
	s_and_b64 s[14:15], s[14:15], s[16:17]
	s_xor_b64 s[16:17], s[14:15], -1
	s_and_saveexec_b64 s[18:19], s[16:17]
	s_xor_b64 s[16:17], exec, s[18:19]
	s_cbranch_execz .LBB105_44
; %bb.43:                               ;   in Loop: Header=BB105_2 Depth=1
	ds_read_u8 v65, v60 offset:1
	v_mov_b32_e32 v64, v63
.LBB105_44:                             ;   in Loop: Header=BB105_2 Depth=1
	s_andn2_saveexec_b64 s[16:17], s[16:17]
	s_cbranch_execz .LBB105_46
; %bb.45:                               ;   in Loop: Header=BB105_2 Depth=1
	ds_read_u8 v64, v61 offset:1
	s_waitcnt lgkmcnt(1)
	v_mov_b32_e32 v65, v62
.LBB105_46:                             ;   in Loop: Header=BB105_2 Depth=1
	s_or_b64 exec, exec, s[16:17]
	v_add_u32_e32 v67, 1, v60
	v_add_u32_e32 v66, 1, v61
	v_cndmask_b32_e64 v67, v67, v60, s[14:15]
	v_cndmask_b32_e64 v66, v61, v66, s[14:15]
	v_cmp_ge_i32_e64 s[18:19], v67, v17
	s_waitcnt lgkmcnt(0)
	v_cmp_lt_u16_sdwa s[20:21], v64, v65 src0_sel:BYTE_0 src1_sel:BYTE_0
	v_cmp_lt_i32_e64 s[16:17], v66, v18
	s_or_b64 s[18:19], s[18:19], s[20:21]
	s_and_b64 s[16:17], s[16:17], s[18:19]
	s_xor_b64 s[18:19], s[16:17], -1
                                        ; implicit-def: $vgpr68
	s_and_saveexec_b64 s[20:21], s[18:19]
	s_xor_b64 s[18:19], exec, s[20:21]
	s_cbranch_execz .LBB105_48
; %bb.47:                               ;   in Loop: Header=BB105_2 Depth=1
	ds_read_u8 v68, v67 offset:1
.LBB105_48:                             ;   in Loop: Header=BB105_2 Depth=1
	s_or_saveexec_b64 s[18:19], s[18:19]
	v_mov_b32_e32 v69, v64
	s_xor_b64 exec, exec, s[18:19]
	s_cbranch_execz .LBB105_50
; %bb.49:                               ;   in Loop: Header=BB105_2 Depth=1
	ds_read_u8 v69, v66 offset:1
	s_waitcnt lgkmcnt(1)
	v_mov_b32_e32 v68, v65
.LBB105_50:                             ;   in Loop: Header=BB105_2 Depth=1
	s_or_b64 exec, exec, s[18:19]
	v_add_u32_e32 v70, 1, v67
	v_cndmask_b32_e64 v64, v65, v64, s[16:17]
	v_add_u32_e32 v65, 1, v66
	v_cndmask_b32_e64 v70, v70, v67, s[16:17]
	v_cndmask_b32_e64 v65, v66, v65, s[16:17]
	;; [unrolled: 1-line block ×3, first 2 shown]
	v_cmp_ge_i32_e64 s[16:17], v70, v17
	s_waitcnt lgkmcnt(0)
	v_cmp_lt_u16_sdwa s[18:19], v69, v68 src0_sel:BYTE_0 src1_sel:BYTE_0
	v_cndmask_b32_e64 v62, v62, v63, s[14:15]
	v_cndmask_b32_e64 v60, v60, v61, s[14:15]
	v_cmp_lt_i32_e64 s[14:15], v65, v18
	s_or_b64 s[16:17], s[16:17], s[18:19]
	s_and_b64 s[14:15], s[14:15], s[16:17]
	v_cndmask_b32_e64 v63, v70, v65, s[14:15]
	s_barrier
	ds_write_b8 v2, v58
	ds_write_b8 v2, v59 offset:1
	ds_write_b8 v2, v57 offset:2
	s_waitcnt lgkmcnt(0)
	s_barrier
	ds_read_u8 v57, v63
	ds_read_u8 v58, v60
	;; [unrolled: 1-line block ×3, first 2 shown]
	v_cndmask_b32_e64 v61, v68, v69, s[14:15]
	s_waitcnt lgkmcnt(0)
	s_barrier
	ds_write_b8 v2, v62
	ds_write_b8 v2, v64 offset:1
	ds_write_b8 v2, v61 offset:2
	v_mov_b32_e32 v61, v35
	s_waitcnt lgkmcnt(0)
	s_barrier
	s_and_saveexec_b64 s[16:17], s[6:7]
	s_cbranch_execz .LBB105_54
; %bb.51:                               ;   in Loop: Header=BB105_2 Depth=1
	s_mov_b64 s[18:19], 0
	v_mov_b32_e32 v61, v35
	v_mov_b32_e32 v60, v36
.LBB105_52:                             ;   Parent Loop BB105_2 Depth=1
                                        ; =>  This Inner Loop Header: Depth=2
	v_sub_u32_e32 v62, v60, v61
	v_lshrrev_b32_e32 v63, 31, v62
	v_add_u32_e32 v62, v62, v63
	v_ashrrev_i32_e32 v62, 1, v62
	v_add_u32_e32 v62, v62, v61
	v_not_b32_e32 v64, v62
	v_add_u32_e32 v63, v32, v62
	v_add3_u32 v64, v31, v64, v33
	ds_read_u8 v63, v63
	ds_read_u8 v64, v64
	v_add_u32_e32 v65, 1, v62
	s_waitcnt lgkmcnt(0)
	v_cmp_lt_u16_e64 s[14:15], v64, v63
	s_nop 1
	v_cndmask_b32_e64 v60, v60, v62, s[14:15]
	v_cndmask_b32_e64 v61, v65, v61, s[14:15]
	v_cmp_ge_i32_e64 s[14:15], v61, v60
	s_or_b64 s[18:19], s[14:15], s[18:19]
	s_andn2_b64 exec, exec, s[18:19]
	s_cbranch_execnz .LBB105_52
; %bb.53:                               ;   in Loop: Header=BB105_2 Depth=1
	s_or_b64 exec, exec, s[18:19]
.LBB105_54:                             ;   in Loop: Header=BB105_2 Depth=1
	s_or_b64 exec, exec, s[16:17]
	v_add_u32_e32 v60, v61, v32
	v_sub_u32_e32 v61, v37, v61
	ds_read_u8 v62, v60
	ds_read_u8 v63, v61
	v_cmp_le_i32_e64 s[16:17], v33, v60
	v_cmp_gt_i32_e64 s[14:15], v34, v61
                                        ; implicit-def: $vgpr64
                                        ; implicit-def: $vgpr65
	s_waitcnt lgkmcnt(0)
	v_cmp_lt_u16_sdwa s[18:19], v63, v62 src0_sel:BYTE_0 src1_sel:BYTE_0
	s_or_b64 s[16:17], s[16:17], s[18:19]
	s_and_b64 s[14:15], s[14:15], s[16:17]
	s_xor_b64 s[16:17], s[14:15], -1
	s_and_saveexec_b64 s[18:19], s[16:17]
	s_xor_b64 s[16:17], exec, s[18:19]
	s_cbranch_execz .LBB105_56
; %bb.55:                               ;   in Loop: Header=BB105_2 Depth=1
	ds_read_u8 v65, v60 offset:1
	v_mov_b32_e32 v64, v63
.LBB105_56:                             ;   in Loop: Header=BB105_2 Depth=1
	s_andn2_saveexec_b64 s[16:17], s[16:17]
	s_cbranch_execz .LBB105_58
; %bb.57:                               ;   in Loop: Header=BB105_2 Depth=1
	ds_read_u8 v64, v61 offset:1
	s_waitcnt lgkmcnt(1)
	v_mov_b32_e32 v65, v62
.LBB105_58:                             ;   in Loop: Header=BB105_2 Depth=1
	s_or_b64 exec, exec, s[16:17]
	v_add_u32_e32 v67, 1, v60
	v_add_u32_e32 v66, 1, v61
	v_cndmask_b32_e64 v67, v67, v60, s[14:15]
	v_cndmask_b32_e64 v66, v61, v66, s[14:15]
	v_cmp_ge_i32_e64 s[18:19], v67, v33
	s_waitcnt lgkmcnt(0)
	v_cmp_lt_u16_sdwa s[20:21], v64, v65 src0_sel:BYTE_0 src1_sel:BYTE_0
	v_cmp_lt_i32_e64 s[16:17], v66, v34
	s_or_b64 s[18:19], s[18:19], s[20:21]
	s_and_b64 s[16:17], s[16:17], s[18:19]
	s_xor_b64 s[18:19], s[16:17], -1
                                        ; implicit-def: $vgpr68
	s_and_saveexec_b64 s[20:21], s[18:19]
	s_xor_b64 s[18:19], exec, s[20:21]
	s_cbranch_execz .LBB105_60
; %bb.59:                               ;   in Loop: Header=BB105_2 Depth=1
	ds_read_u8 v68, v67 offset:1
.LBB105_60:                             ;   in Loop: Header=BB105_2 Depth=1
	s_or_saveexec_b64 s[18:19], s[18:19]
	v_mov_b32_e32 v69, v64
	s_xor_b64 exec, exec, s[18:19]
	s_cbranch_execz .LBB105_62
; %bb.61:                               ;   in Loop: Header=BB105_2 Depth=1
	ds_read_u8 v69, v66 offset:1
	s_waitcnt lgkmcnt(1)
	v_mov_b32_e32 v68, v65
.LBB105_62:                             ;   in Loop: Header=BB105_2 Depth=1
	s_or_b64 exec, exec, s[18:19]
	v_add_u32_e32 v70, 1, v67
	v_cndmask_b32_e64 v64, v65, v64, s[16:17]
	v_add_u32_e32 v65, 1, v66
	v_cndmask_b32_e64 v70, v70, v67, s[16:17]
	v_cndmask_b32_e64 v65, v66, v65, s[16:17]
	v_cndmask_b32_e64 v66, v67, v66, s[16:17]
	v_cmp_ge_i32_e64 s[16:17], v70, v33
	s_waitcnt lgkmcnt(0)
	v_cmp_lt_u16_sdwa s[18:19], v69, v68 src0_sel:BYTE_0 src1_sel:BYTE_0
	v_cndmask_b32_e64 v62, v62, v63, s[14:15]
	v_cndmask_b32_e64 v60, v60, v61, s[14:15]
	v_cmp_lt_i32_e64 s[14:15], v65, v34
	s_or_b64 s[16:17], s[16:17], s[18:19]
	s_and_b64 s[14:15], s[14:15], s[16:17]
	v_cndmask_b32_e64 v63, v70, v65, s[14:15]
	s_barrier
	ds_write_b8 v2, v58
	ds_write_b8 v2, v59 offset:1
	ds_write_b8 v2, v57 offset:2
	s_waitcnt lgkmcnt(0)
	s_barrier
	ds_read_u8 v57, v63
	ds_read_u8 v58, v60
	;; [unrolled: 1-line block ×3, first 2 shown]
	v_cndmask_b32_e64 v61, v68, v69, s[14:15]
	s_waitcnt lgkmcnt(0)
	s_barrier
	ds_write_b8 v2, v62
	ds_write_b8 v2, v64 offset:1
	ds_write_b8 v2, v61 offset:2
	v_mov_b32_e32 v61, v42
	s_waitcnt lgkmcnt(0)
	s_barrier
	s_and_saveexec_b64 s[16:17], s[8:9]
	s_cbranch_execz .LBB105_66
; %bb.63:                               ;   in Loop: Header=BB105_2 Depth=1
	s_mov_b64 s[18:19], 0
	v_mov_b32_e32 v61, v42
	v_mov_b32_e32 v60, v43
.LBB105_64:                             ;   Parent Loop BB105_2 Depth=1
                                        ; =>  This Inner Loop Header: Depth=2
	v_sub_u32_e32 v62, v60, v61
	v_lshrrev_b32_e32 v63, 31, v62
	v_add_u32_e32 v62, v62, v63
	v_ashrrev_i32_e32 v62, 1, v62
	v_add_u32_e32 v62, v62, v61
	v_not_b32_e32 v64, v62
	v_add_u32_e32 v63, v39, v62
	v_add3_u32 v64, v38, v64, v40
	ds_read_u8 v63, v63
	ds_read_u8 v64, v64
	v_add_u32_e32 v65, 1, v62
	s_waitcnt lgkmcnt(0)
	v_cmp_lt_u16_e64 s[14:15], v64, v63
	s_nop 1
	v_cndmask_b32_e64 v60, v60, v62, s[14:15]
	v_cndmask_b32_e64 v61, v65, v61, s[14:15]
	v_cmp_ge_i32_e64 s[14:15], v61, v60
	s_or_b64 s[18:19], s[14:15], s[18:19]
	s_andn2_b64 exec, exec, s[18:19]
	s_cbranch_execnz .LBB105_64
; %bb.65:                               ;   in Loop: Header=BB105_2 Depth=1
	s_or_b64 exec, exec, s[18:19]
.LBB105_66:                             ;   in Loop: Header=BB105_2 Depth=1
	s_or_b64 exec, exec, s[16:17]
	v_add_u32_e32 v60, v61, v39
	v_sub_u32_e32 v61, v44, v61
	ds_read_u8 v62, v60
	ds_read_u8 v63, v61
	v_cmp_le_i32_e64 s[16:17], v40, v60
	v_cmp_gt_i32_e64 s[14:15], v41, v61
                                        ; implicit-def: $vgpr64
                                        ; implicit-def: $vgpr65
	s_waitcnt lgkmcnt(0)
	v_cmp_lt_u16_sdwa s[18:19], v63, v62 src0_sel:BYTE_0 src1_sel:BYTE_0
	s_or_b64 s[16:17], s[16:17], s[18:19]
	s_and_b64 s[14:15], s[14:15], s[16:17]
	s_xor_b64 s[16:17], s[14:15], -1
	s_and_saveexec_b64 s[18:19], s[16:17]
	s_xor_b64 s[16:17], exec, s[18:19]
	s_cbranch_execz .LBB105_68
; %bb.67:                               ;   in Loop: Header=BB105_2 Depth=1
	ds_read_u8 v65, v60 offset:1
	v_mov_b32_e32 v64, v63
.LBB105_68:                             ;   in Loop: Header=BB105_2 Depth=1
	s_andn2_saveexec_b64 s[16:17], s[16:17]
	s_cbranch_execz .LBB105_70
; %bb.69:                               ;   in Loop: Header=BB105_2 Depth=1
	ds_read_u8 v64, v61 offset:1
	s_waitcnt lgkmcnt(1)
	v_mov_b32_e32 v65, v62
.LBB105_70:                             ;   in Loop: Header=BB105_2 Depth=1
	s_or_b64 exec, exec, s[16:17]
	v_add_u32_e32 v67, 1, v60
	v_add_u32_e32 v66, 1, v61
	v_cndmask_b32_e64 v67, v67, v60, s[14:15]
	v_cndmask_b32_e64 v66, v61, v66, s[14:15]
	v_cmp_ge_i32_e64 s[18:19], v67, v40
	s_waitcnt lgkmcnt(0)
	v_cmp_lt_u16_sdwa s[20:21], v64, v65 src0_sel:BYTE_0 src1_sel:BYTE_0
	v_cmp_lt_i32_e64 s[16:17], v66, v41
	s_or_b64 s[18:19], s[18:19], s[20:21]
	s_and_b64 s[16:17], s[16:17], s[18:19]
	s_xor_b64 s[18:19], s[16:17], -1
                                        ; implicit-def: $vgpr68
	s_and_saveexec_b64 s[20:21], s[18:19]
	s_xor_b64 s[18:19], exec, s[20:21]
	s_cbranch_execz .LBB105_72
; %bb.71:                               ;   in Loop: Header=BB105_2 Depth=1
	ds_read_u8 v68, v67 offset:1
.LBB105_72:                             ;   in Loop: Header=BB105_2 Depth=1
	s_or_saveexec_b64 s[18:19], s[18:19]
	v_mov_b32_e32 v69, v64
	s_xor_b64 exec, exec, s[18:19]
	s_cbranch_execz .LBB105_74
; %bb.73:                               ;   in Loop: Header=BB105_2 Depth=1
	ds_read_u8 v69, v66 offset:1
	s_waitcnt lgkmcnt(1)
	v_mov_b32_e32 v68, v65
.LBB105_74:                             ;   in Loop: Header=BB105_2 Depth=1
	s_or_b64 exec, exec, s[18:19]
	v_add_u32_e32 v70, 1, v67
	v_cndmask_b32_e64 v64, v65, v64, s[16:17]
	v_add_u32_e32 v65, 1, v66
	v_cndmask_b32_e64 v70, v70, v67, s[16:17]
	v_cndmask_b32_e64 v65, v66, v65, s[16:17]
	;; [unrolled: 1-line block ×3, first 2 shown]
	v_cmp_ge_i32_e64 s[16:17], v70, v40
	s_waitcnt lgkmcnt(0)
	v_cmp_lt_u16_sdwa s[18:19], v69, v68 src0_sel:BYTE_0 src1_sel:BYTE_0
	v_cndmask_b32_e64 v62, v62, v63, s[14:15]
	v_cndmask_b32_e64 v60, v60, v61, s[14:15]
	v_cmp_lt_i32_e64 s[14:15], v65, v41
	s_or_b64 s[16:17], s[16:17], s[18:19]
	s_and_b64 s[14:15], s[14:15], s[16:17]
	v_cndmask_b32_e64 v63, v70, v65, s[14:15]
	s_barrier
	ds_write_b8 v2, v58
	ds_write_b8 v2, v59 offset:1
	ds_write_b8 v2, v57 offset:2
	s_waitcnt lgkmcnt(0)
	s_barrier
	ds_read_u8 v57, v63
	ds_read_u8 v58, v60
	;; [unrolled: 1-line block ×3, first 2 shown]
	v_cndmask_b32_e64 v61, v68, v69, s[14:15]
	s_waitcnt lgkmcnt(0)
	s_barrier
	ds_write_b8 v2, v62
	ds_write_b8 v2, v64 offset:1
	ds_write_b8 v2, v61 offset:2
	v_mov_b32_e32 v61, v50
	s_waitcnt lgkmcnt(0)
	s_barrier
	s_and_saveexec_b64 s[16:17], s[10:11]
	s_cbranch_execz .LBB105_78
; %bb.75:                               ;   in Loop: Header=BB105_2 Depth=1
	s_mov_b64 s[18:19], 0
	v_mov_b32_e32 v61, v50
	v_mov_b32_e32 v60, v51
.LBB105_76:                             ;   Parent Loop BB105_2 Depth=1
                                        ; =>  This Inner Loop Header: Depth=2
	v_sub_u32_e32 v62, v60, v61
	v_lshrrev_b32_e32 v63, 31, v62
	v_add_u32_e32 v62, v62, v63
	v_ashrrev_i32_e32 v62, 1, v62
	v_add_u32_e32 v62, v62, v61
	v_not_b32_e32 v64, v62
	v_add_u32_e32 v63, v46, v62
	v_add3_u32 v64, v45, v64, v47
	ds_read_u8 v63, v63
	ds_read_u8 v64, v64
	v_add_u32_e32 v65, 1, v62
	s_waitcnt lgkmcnt(0)
	v_cmp_lt_u16_e64 s[14:15], v64, v63
	s_nop 1
	v_cndmask_b32_e64 v60, v60, v62, s[14:15]
	v_cndmask_b32_e64 v61, v65, v61, s[14:15]
	v_cmp_ge_i32_e64 s[14:15], v61, v60
	s_or_b64 s[18:19], s[14:15], s[18:19]
	s_andn2_b64 exec, exec, s[18:19]
	s_cbranch_execnz .LBB105_76
; %bb.77:                               ;   in Loop: Header=BB105_2 Depth=1
	s_or_b64 exec, exec, s[18:19]
.LBB105_78:                             ;   in Loop: Header=BB105_2 Depth=1
	s_or_b64 exec, exec, s[16:17]
	v_add_u32_e32 v60, v61, v46
	v_sub_u32_e32 v61, v52, v61
	ds_read_u8 v62, v60
	ds_read_u8 v63, v61
	v_cmp_le_i32_e64 s[16:17], v47, v60
	v_cmp_gt_i32_e64 s[14:15], v49, v61
                                        ; implicit-def: $vgpr64
                                        ; implicit-def: $vgpr65
	s_waitcnt lgkmcnt(0)
	v_cmp_lt_u16_sdwa s[18:19], v63, v62 src0_sel:BYTE_0 src1_sel:BYTE_0
	s_or_b64 s[16:17], s[16:17], s[18:19]
	s_and_b64 s[14:15], s[14:15], s[16:17]
	s_xor_b64 s[16:17], s[14:15], -1
	s_and_saveexec_b64 s[18:19], s[16:17]
	s_xor_b64 s[16:17], exec, s[18:19]
	s_cbranch_execz .LBB105_80
; %bb.79:                               ;   in Loop: Header=BB105_2 Depth=1
	ds_read_u8 v65, v60 offset:1
	v_mov_b32_e32 v64, v63
.LBB105_80:                             ;   in Loop: Header=BB105_2 Depth=1
	s_andn2_saveexec_b64 s[16:17], s[16:17]
	s_cbranch_execz .LBB105_82
; %bb.81:                               ;   in Loop: Header=BB105_2 Depth=1
	ds_read_u8 v64, v61 offset:1
	s_waitcnt lgkmcnt(1)
	v_mov_b32_e32 v65, v62
.LBB105_82:                             ;   in Loop: Header=BB105_2 Depth=1
	s_or_b64 exec, exec, s[16:17]
	v_add_u32_e32 v67, 1, v60
	v_add_u32_e32 v66, 1, v61
	v_cndmask_b32_e64 v67, v67, v60, s[14:15]
	v_cndmask_b32_e64 v66, v61, v66, s[14:15]
	v_cmp_ge_i32_e64 s[18:19], v67, v47
	s_waitcnt lgkmcnt(0)
	v_cmp_lt_u16_sdwa s[20:21], v64, v65 src0_sel:BYTE_0 src1_sel:BYTE_0
	v_cmp_lt_i32_e64 s[16:17], v66, v49
	s_or_b64 s[18:19], s[18:19], s[20:21]
	s_and_b64 s[16:17], s[16:17], s[18:19]
	s_xor_b64 s[18:19], s[16:17], -1
                                        ; implicit-def: $vgpr68
	s_and_saveexec_b64 s[20:21], s[18:19]
	s_xor_b64 s[18:19], exec, s[20:21]
	s_cbranch_execz .LBB105_84
; %bb.83:                               ;   in Loop: Header=BB105_2 Depth=1
	ds_read_u8 v68, v67 offset:1
.LBB105_84:                             ;   in Loop: Header=BB105_2 Depth=1
	s_or_saveexec_b64 s[18:19], s[18:19]
	v_mov_b32_e32 v69, v64
	s_xor_b64 exec, exec, s[18:19]
	s_cbranch_execz .LBB105_86
; %bb.85:                               ;   in Loop: Header=BB105_2 Depth=1
	ds_read_u8 v69, v66 offset:1
	s_waitcnt lgkmcnt(1)
	v_mov_b32_e32 v68, v65
.LBB105_86:                             ;   in Loop: Header=BB105_2 Depth=1
	s_or_b64 exec, exec, s[18:19]
	v_add_u32_e32 v70, 1, v67
	v_cndmask_b32_e64 v64, v65, v64, s[16:17]
	v_add_u32_e32 v65, 1, v66
	v_cndmask_b32_e64 v70, v70, v67, s[16:17]
	v_cndmask_b32_e64 v65, v66, v65, s[16:17]
	;; [unrolled: 1-line block ×3, first 2 shown]
	v_cmp_ge_i32_e64 s[16:17], v70, v47
	s_waitcnt lgkmcnt(0)
	v_cmp_lt_u16_sdwa s[18:19], v69, v68 src0_sel:BYTE_0 src1_sel:BYTE_0
	v_cndmask_b32_e64 v62, v62, v63, s[14:15]
	v_cndmask_b32_e64 v60, v60, v61, s[14:15]
	v_cmp_lt_i32_e64 s[14:15], v65, v49
	s_or_b64 s[16:17], s[16:17], s[18:19]
	s_and_b64 s[14:15], s[14:15], s[16:17]
	v_cndmask_b32_e64 v63, v70, v65, s[14:15]
	s_barrier
	ds_write_b8 v2, v58
	ds_write_b8 v2, v59 offset:1
	ds_write_b8 v2, v57 offset:2
	s_waitcnt lgkmcnt(0)
	s_barrier
	ds_read_u8 v57, v63
	ds_read_u8 v58, v60
	;; [unrolled: 1-line block ×3, first 2 shown]
	v_mov_b32_e32 v60, v53
	v_cndmask_b32_e64 v61, v68, v69, s[14:15]
	s_waitcnt lgkmcnt(0)
	s_barrier
	ds_write_b8 v2, v62
	ds_write_b8 v2, v64 offset:1
	ds_write_b8 v2, v61 offset:2
	s_waitcnt lgkmcnt(0)
	s_barrier
	s_and_saveexec_b64 s[16:17], s[12:13]
	s_cbranch_execz .LBB105_90
; %bb.87:                               ;   in Loop: Header=BB105_2 Depth=1
	s_mov_b64 s[18:19], 0
	v_mov_b32_e32 v60, v53
	v_mov_b32_e32 v61, v54
.LBB105_88:                             ;   Parent Loop BB105_2 Depth=1
                                        ; =>  This Inner Loop Header: Depth=2
	v_sub_u32_e32 v62, v61, v60
	v_lshrrev_b32_e32 v63, 31, v62
	v_add_u32_e32 v62, v62, v63
	v_ashrrev_i32_e32 v62, 1, v62
	v_add_u32_e32 v62, v62, v60
	v_not_b32_e32 v63, v62
	v_add3_u32 v63, v2, v63, v48
	ds_read_u8 v64, v62
	ds_read_u8 v63, v63
	v_add_u32_e32 v65, 1, v62
	s_waitcnt lgkmcnt(0)
	v_cmp_lt_u16_e64 s[14:15], v63, v64
	s_nop 1
	v_cndmask_b32_e64 v61, v61, v62, s[14:15]
	v_cndmask_b32_e64 v60, v65, v60, s[14:15]
	v_cmp_ge_i32_e64 s[14:15], v60, v61
	s_or_b64 s[18:19], s[14:15], s[18:19]
	s_andn2_b64 exec, exec, s[18:19]
	s_cbranch_execnz .LBB105_88
; %bb.89:                               ;   in Loop: Header=BB105_2 Depth=1
	s_or_b64 exec, exec, s[18:19]
.LBB105_90:                             ;   in Loop: Header=BB105_2 Depth=1
	s_or_b64 exec, exec, s[16:17]
	v_sub_u32_e32 v61, v55, v60
	ds_read_u8 v62, v60
	ds_read_u8 v63, v61
	v_cmp_le_i32_e64 s[16:17], v48, v60
	v_cmp_gt_i32_e64 s[14:15], s29, v61
                                        ; implicit-def: $vgpr64
                                        ; implicit-def: $vgpr65
	s_waitcnt lgkmcnt(0)
	v_cmp_lt_u16_sdwa s[18:19], v63, v62 src0_sel:BYTE_0 src1_sel:BYTE_0
	s_or_b64 s[16:17], s[16:17], s[18:19]
	s_and_b64 s[14:15], s[14:15], s[16:17]
	s_xor_b64 s[16:17], s[14:15], -1
	s_and_saveexec_b64 s[18:19], s[16:17]
	s_xor_b64 s[16:17], exec, s[18:19]
	s_cbranch_execz .LBB105_92
; %bb.91:                               ;   in Loop: Header=BB105_2 Depth=1
	ds_read_u8 v65, v60 offset:1
	v_mov_b32_e32 v64, v63
.LBB105_92:                             ;   in Loop: Header=BB105_2 Depth=1
	s_andn2_saveexec_b64 s[16:17], s[16:17]
	s_cbranch_execz .LBB105_94
; %bb.93:                               ;   in Loop: Header=BB105_2 Depth=1
	ds_read_u8 v64, v61 offset:1
	s_waitcnt lgkmcnt(1)
	v_mov_b32_e32 v65, v62
.LBB105_94:                             ;   in Loop: Header=BB105_2 Depth=1
	s_or_b64 exec, exec, s[16:17]
	v_add_u32_e32 v67, 1, v60
	v_add_u32_e32 v66, 1, v61
	v_cndmask_b32_e64 v69, v67, v60, s[14:15]
	v_cndmask_b32_e64 v66, v61, v66, s[14:15]
	v_cmp_ge_i32_e64 s[18:19], v69, v48
	s_waitcnt lgkmcnt(0)
	v_cmp_lt_u16_sdwa s[20:21], v64, v65 src0_sel:BYTE_0 src1_sel:BYTE_0
	v_cmp_gt_i32_e64 s[16:17], s29, v66
	s_or_b64 s[18:19], s[18:19], s[20:21]
	s_and_b64 s[16:17], s[16:17], s[18:19]
	s_xor_b64 s[18:19], s[16:17], -1
                                        ; implicit-def: $vgpr68
                                        ; implicit-def: $vgpr67
	s_and_saveexec_b64 s[20:21], s[18:19]
	s_xor_b64 s[18:19], exec, s[20:21]
	s_cbranch_execz .LBB105_96
; %bb.95:                               ;   in Loop: Header=BB105_2 Depth=1
	ds_read_u8 v68, v69 offset:1
	v_add_u32_e32 v67, 1, v69
.LBB105_96:                             ;   in Loop: Header=BB105_2 Depth=1
	s_or_saveexec_b64 s[18:19], s[18:19]
	v_mov_b32_e32 v70, v69
	v_mov_b32_e32 v71, v64
	s_xor_b64 exec, exec, s[18:19]
	s_cbranch_execz .LBB105_1
; %bb.97:                               ;   in Loop: Header=BB105_2 Depth=1
	ds_read_u8 v71, v66 offset:1
	s_waitcnt lgkmcnt(1)
	v_add_u32_e32 v68, 1, v66
	v_mov_b32_e32 v70, v66
	v_mov_b32_e32 v67, v69
	;; [unrolled: 1-line block ×4, first 2 shown]
	s_branch .LBB105_1
.LBB105_98:
	s_add_u32 s0, s26, s28
	s_addc_u32 s1, s27, 0
	v_add_u16_e32 v2, v62, v64
	v_lshl_add_u64 v[0:1], s[0:1], 0, v[0:1]
	v_add_u16_e32 v3, v63, v59
	v_add_u16_e32 v4, v60, v61
	global_store_byte v[0:1], v2, off
	global_store_byte v[0:1], v3, off offset:256
	global_store_byte v[0:1], v4, off offset:512
	s_endpgm
	.section	.rodata,"a",@progbits
	.p2align	6, 0x0
	.amdhsa_kernel _Z17sort_pairs_kernelIhLj256ELj3EN10test_utils4lessELj10EEvPKT_PS2_T2_
		.amdhsa_group_segment_fixed_size 769
		.amdhsa_private_segment_fixed_size 0
		.amdhsa_kernarg_size 20
		.amdhsa_user_sgpr_count 2
		.amdhsa_user_sgpr_dispatch_ptr 0
		.amdhsa_user_sgpr_queue_ptr 0
		.amdhsa_user_sgpr_kernarg_segment_ptr 1
		.amdhsa_user_sgpr_dispatch_id 0
		.amdhsa_user_sgpr_kernarg_preload_length 0
		.amdhsa_user_sgpr_kernarg_preload_offset 0
		.amdhsa_user_sgpr_private_segment_size 0
		.amdhsa_uses_dynamic_stack 0
		.amdhsa_enable_private_segment 0
		.amdhsa_system_sgpr_workgroup_id_x 1
		.amdhsa_system_sgpr_workgroup_id_y 0
		.amdhsa_system_sgpr_workgroup_id_z 0
		.amdhsa_system_sgpr_workgroup_info 0
		.amdhsa_system_vgpr_workitem_id 0
		.amdhsa_next_free_vgpr 72
		.amdhsa_next_free_sgpr 40
		.amdhsa_accum_offset 72
		.amdhsa_reserve_vcc 1
		.amdhsa_float_round_mode_32 0
		.amdhsa_float_round_mode_16_64 0
		.amdhsa_float_denorm_mode_32 3
		.amdhsa_float_denorm_mode_16_64 3
		.amdhsa_dx10_clamp 1
		.amdhsa_ieee_mode 1
		.amdhsa_fp16_overflow 0
		.amdhsa_tg_split 0
		.amdhsa_exception_fp_ieee_invalid_op 0
		.amdhsa_exception_fp_denorm_src 0
		.amdhsa_exception_fp_ieee_div_zero 0
		.amdhsa_exception_fp_ieee_overflow 0
		.amdhsa_exception_fp_ieee_underflow 0
		.amdhsa_exception_fp_ieee_inexact 0
		.amdhsa_exception_int_div_zero 0
	.end_amdhsa_kernel
	.section	.text._Z17sort_pairs_kernelIhLj256ELj3EN10test_utils4lessELj10EEvPKT_PS2_T2_,"axG",@progbits,_Z17sort_pairs_kernelIhLj256ELj3EN10test_utils4lessELj10EEvPKT_PS2_T2_,comdat
.Lfunc_end105:
	.size	_Z17sort_pairs_kernelIhLj256ELj3EN10test_utils4lessELj10EEvPKT_PS2_T2_, .Lfunc_end105-_Z17sort_pairs_kernelIhLj256ELj3EN10test_utils4lessELj10EEvPKT_PS2_T2_
                                        ; -- End function
	.section	.AMDGPU.csdata,"",@progbits
; Kernel info:
; codeLenInByte = 5944
; NumSgprs: 46
; NumVgprs: 72
; NumAgprs: 0
; TotalNumVgprs: 72
; ScratchSize: 0
; MemoryBound: 0
; FloatMode: 240
; IeeeMode: 1
; LDSByteSize: 769 bytes/workgroup (compile time only)
; SGPRBlocks: 5
; VGPRBlocks: 8
; NumSGPRsForWavesPerEU: 46
; NumVGPRsForWavesPerEU: 72
; AccumOffset: 72
; Occupancy: 7
; WaveLimiterHint : 1
; COMPUTE_PGM_RSRC2:SCRATCH_EN: 0
; COMPUTE_PGM_RSRC2:USER_SGPR: 2
; COMPUTE_PGM_RSRC2:TRAP_HANDLER: 0
; COMPUTE_PGM_RSRC2:TGID_X_EN: 1
; COMPUTE_PGM_RSRC2:TGID_Y_EN: 0
; COMPUTE_PGM_RSRC2:TGID_Z_EN: 0
; COMPUTE_PGM_RSRC2:TIDIG_COMP_CNT: 0
; COMPUTE_PGM_RSRC3_GFX90A:ACCUM_OFFSET: 17
; COMPUTE_PGM_RSRC3_GFX90A:TG_SPLIT: 0
	.section	.text._Z16sort_keys_kernelIhLj256ELj4EN10test_utils4lessELj10EEvPKT_PS2_T2_,"axG",@progbits,_Z16sort_keys_kernelIhLj256ELj4EN10test_utils4lessELj10EEvPKT_PS2_T2_,comdat
	.protected	_Z16sort_keys_kernelIhLj256ELj4EN10test_utils4lessELj10EEvPKT_PS2_T2_ ; -- Begin function _Z16sort_keys_kernelIhLj256ELj4EN10test_utils4lessELj10EEvPKT_PS2_T2_
	.globl	_Z16sort_keys_kernelIhLj256ELj4EN10test_utils4lessELj10EEvPKT_PS2_T2_
	.p2align	8
	.type	_Z16sort_keys_kernelIhLj256ELj4EN10test_utils4lessELj10EEvPKT_PS2_T2_,@function
_Z16sort_keys_kernelIhLj256ELj4EN10test_utils4lessELj10EEvPKT_PS2_T2_: ; @_Z16sort_keys_kernelIhLj256ELj4EN10test_utils4lessELj10EEvPKT_PS2_T2_
; %bb.0:
	s_load_dwordx4 s[20:23], s[0:1], 0x0
	s_lshl_b32 s24, s2, 10
	v_lshlrev_b32_e32 v2, 2, v0
	v_and_b32_e32 v3, 0x3f8, v2
	v_and_b32_e32 v5, 0x3f0, v2
	s_waitcnt lgkmcnt(0)
	s_add_u32 s0, s20, s24
	s_addc_u32 s1, s21, 0
	global_load_ubyte v44, v0, s[0:1] offset:256
	global_load_ubyte v45, v0, s[0:1] offset:768
	global_load_ubyte v46, v0, s[0:1]
	global_load_ubyte v47, v0, s[0:1] offset:512
	v_or_b32_e32 v15, 4, v3
	v_add_u32_e32 v16, 8, v3
	v_and_b32_e32 v4, 4, v2
	v_and_b32_e32 v7, 0x3e0, v2
	v_or_b32_e32 v17, 8, v5
	v_add_u32_e32 v18, 16, v5
	v_sub_u32_e32 v38, v16, v15
	v_and_b32_e32 v6, 12, v2
	v_and_b32_e32 v9, 0x3c0, v2
	v_or_b32_e32 v19, 16, v7
	v_add_u32_e32 v20, 32, v7
	v_sub_u32_e32 v39, v18, v17
	v_sub_u32_e32 v48, v4, v38
	v_cmp_ge_i32_e32 vcc, v4, v38
	v_and_b32_e32 v8, 28, v2
	v_and_b32_e32 v11, 0x380, v2
	v_or_b32_e32 v21, 32, v9
	v_add_u32_e32 v22, 64, v9
	v_sub_u32_e32 v40, v20, v19
	v_sub_u32_e32 v49, v6, v39
	v_cndmask_b32_e32 v38, 0, v48, vcc
	v_cmp_ge_i32_e32 vcc, v6, v39
	v_and_b32_e32 v10, 60, v2
	v_and_b32_e32 v13, 0x300, v2
	v_or_b32_e32 v23, 64, v11
	v_add_u32_e32 v24, 0x80, v11
	v_sub_u32_e32 v41, v22, v21
	v_sub_u32_e32 v50, v8, v40
	v_cndmask_b32_e32 v39, 0, v49, vcc
	v_cmp_ge_i32_e32 vcc, v8, v40
	v_and_b32_e32 v12, 0x7c, v2
	v_or_b32_e32 v25, 0x80, v13
	v_add_u32_e32 v26, 0x100, v13
	v_sub_u32_e32 v42, v24, v23
	v_sub_u32_e32 v51, v10, v41
	v_cndmask_b32_e32 v40, 0, v50, vcc
	v_cmp_ge_i32_e32 vcc, v10, v41
	v_and_b32_e32 v14, 0xfc, v2
	v_sub_u32_e32 v43, v26, v25
	v_sub_u32_e32 v52, v12, v42
	v_cndmask_b32_e32 v41, 0, v51, vcc
	v_cmp_ge_i32_e32 vcc, v12, v42
	v_sub_u32_e32 v32, v15, v3
	v_sub_u32_e32 v33, v17, v5
	;; [unrolled: 1-line block ×7, first 2 shown]
	v_cndmask_b32_e32 v42, 0, v52, vcc
	v_cmp_ge_i32_e32 vcc, v14, v43
	v_min_i32_e32 v32, v4, v32
	v_min_i32_e32 v33, v6, v33
	;; [unrolled: 1-line block ×6, first 2 shown]
	v_cndmask_b32_e32 v43, 0, v53, vcc
	v_min_i32_e32 v54, 0x200, v2
	s_mov_b32 s25, 0
	v_mov_b32_e32 v1, 0
	s_mov_b32 s26, 0xffff
	v_add_u32_e32 v27, v15, v4
	v_add_u32_e32 v28, v17, v6
	;; [unrolled: 1-line block ×5, first 2 shown]
	v_cmp_lt_i32_e32 vcc, v38, v32
	v_cmp_lt_i32_e64 s[0:1], v39, v33
	v_cmp_lt_i32_e64 s[2:3], v40, v34
	;; [unrolled: 1-line block ×5, first 2 shown]
	v_add_u32_e32 v55, 0x200, v2
	s_mov_b32 s27, 0x7060405
	s_mov_b32 s28, 0xc0c0001
	s_waitcnt vmcnt(3)
	v_lshlrev_b16_e32 v44, 8, v44
	s_waitcnt vmcnt(2)
	v_lshlrev_b16_e32 v45, 8, v45
	s_waitcnt vmcnt(1)
	v_or_b32_e32 v44, v46, v44
	v_and_b32_e32 v46, 0x200, v2
	v_or_b32_e32 v48, 0x100, v46
	v_add_u32_e32 v49, 0x200, v46
	s_waitcnt vmcnt(0)
	v_or_b32_sdwa v45, v47, v45 dst_sel:WORD_1 dst_unused:UNUSED_PAD src0_sel:DWORD src1_sel:DWORD
	v_and_b32_e32 v47, 0x1fc, v2
	v_sub_u32_e32 v50, v49, v48
	v_or_b32_sdwa v56, v44, v45 dst_sel:DWORD dst_unused:UNUSED_PAD src0_sel:WORD_0 src1_sel:DWORD
	v_mov_b32_e32 v45, 0x200
	v_sub_u32_e32 v51, v48, v46
	v_sub_u32_e32 v52, v47, v50
	v_cmp_ge_i32_e64 s[10:11], v47, v50
	v_min_i32_e32 v51, v47, v51
	v_sub_u32_e64 v53, v2, v45 clamp
	v_cndmask_b32_e64 v50, 0, v52, s[10:11]
	v_add_u32_e32 v44, v25, v14
	v_cmp_lt_i32_e64 s[10:11], v50, v51
	v_add_u32_e32 v52, v48, v47
	v_cmp_lt_i32_e64 s[12:13], v53, v54
	s_movk_i32 s29, 0xff00
	s_mov_b32 s30, 0xffff0000
	s_movk_i32 s31, 0x400
	s_branch .LBB106_2
.LBB106_1:                              ;   in Loop: Header=BB106_2 Depth=1
	s_or_b64 exec, exec, s[20:21]
	v_cndmask_b32_e64 v58, v59, v58, s[16:17]
	v_cndmask_b32_e64 v59, v60, v61, s[18:19]
	v_cmp_ge_i32_e64 s[16:17], v64, v45
	s_waitcnt lgkmcnt(0)
	v_cmp_lt_u16_sdwa s[18:19], v66, v63 src0_sel:BYTE_0 src1_sel:BYTE_0
	v_cndmask_b32_e64 v57, v56, v57, s[14:15]
	v_cmp_gt_i32_e64 s[14:15], s31, v62
	s_or_b64 s[16:17], s[16:17], s[18:19]
	s_and_b64 s[14:15], s[14:15], s[16:17]
	v_cndmask_b32_e64 v60, v63, v66, s[14:15]
	v_lshlrev_b16_e32 v56, 8, v58
	v_lshlrev_b16_e32 v61, 8, v60
	v_or_b32_sdwa v56, v57, v56 dst_sel:DWORD dst_unused:UNUSED_PAD src0_sel:BYTE_0 src1_sel:DWORD
	v_or_b32_sdwa v61, v59, v61 dst_sel:WORD_1 dst_unused:UNUSED_PAD src0_sel:BYTE_0 src1_sel:DWORD
	s_add_i32 s25, s25, 1
	s_cmp_eq_u32 s25, 10
	v_or_b32_sdwa v56, v56, v61 dst_sel:DWORD dst_unused:UNUSED_PAD src0_sel:WORD_0 src1_sel:DWORD
	s_cbranch_scc1 .LBB106_130
.LBB106_2:                              ; =>This Loop Header: Depth=1
                                        ;     Child Loop BB106_4 Depth 2
                                        ;     Child Loop BB106_20 Depth 2
	;; [unrolled: 1-line block ×8, first 2 shown]
	v_lshrrev_b32_e32 v58, 8, v56
	v_perm_b32 v57, v56, v56, s27
	v_cmp_lt_u16_sdwa s[14:15], v58, v56 src0_sel:BYTE_0 src1_sel:BYTE_0
	v_min_u16_sdwa v61, v58, v56 dst_sel:DWORD dst_unused:UNUSED_PAD src0_sel:BYTE_0 src1_sel:BYTE_0
	s_nop 0
	v_cndmask_b32_e64 v57, v56, v57, s[14:15]
	v_lshrrev_b32_e32 v59, 16, v57
	v_perm_b32 v60, 0, v59, s28
	v_max_u16_sdwa v56, v58, v56 dst_sel:DWORD dst_unused:UNUSED_PAD src0_sel:BYTE_0 src1_sel:BYTE_0
	v_lshlrev_b32_e32 v58, 16, v60
	v_and_or_b32 v58, v57, s26, v58
	v_cmp_lt_u16_sdwa s[14:15], v57, v59 src0_sel:BYTE_3 src1_sel:BYTE_0
	v_max_u16_sdwa v62, v57, v59 dst_sel:DWORD dst_unused:UNUSED_PAD src0_sel:BYTE_3 src1_sel:BYTE_0
	s_barrier
	v_cndmask_b32_e64 v58, v57, v58, s[14:15]
	v_min_u16_sdwa v57, v57, v59 dst_sel:DWORD dst_unused:UNUSED_PAD src0_sel:BYTE_3 src1_sel:BYTE_0
	v_and_b32_sdwa v60, v58, s29 dst_sel:DWORD dst_unused:UNUSED_PAD src0_sel:WORD_1 src1_sel:DWORD
	v_lshlrev_b16_e32 v59, 8, v57
	v_or_b32_sdwa v60, v56, v60 dst_sel:WORD_1 dst_unused:UNUSED_PAD src0_sel:DWORD src1_sel:DWORD
	v_or_b32_sdwa v59, v58, v59 dst_sel:DWORD dst_unused:UNUSED_PAD src0_sel:BYTE_0 src1_sel:DWORD
	v_or_b32_sdwa v59, v59, v60 dst_sel:DWORD dst_unused:UNUSED_PAD src0_sel:WORD_0 src1_sel:DWORD
	v_cmp_lt_u16_e64 s[14:15], v57, v56
	v_lshlrev_b16_e32 v60, 8, v61
	v_max_u16_e32 v63, v57, v56
	v_cndmask_b32_e64 v58, v58, v59, s[14:15]
	v_min_u16_e32 v59, v57, v56
	v_or_b32_e32 v60, v59, v60
	v_and_b32_e32 v60, 0xffff, v60
	v_and_or_b32 v60, v58, s30, v60
	v_cmp_lt_u16_e64 s[14:15], v57, v61
	s_nop 1
	v_cndmask_b32_e64 v57, v58, v60, s[14:15]
	v_cndmask_b32_e64 v58, v59, v61, s[14:15]
	v_lshlrev_b16_e32 v59, 8, v63
	v_or_b32_sdwa v59, v62, v59 dst_sel:WORD_1 dst_unused:UNUSED_PAD src0_sel:DWORD src1_sel:DWORD
	v_cmp_gt_u16_e64 s[14:15], v56, v62
	v_and_or_b32 v59, v57, s26, v59
	s_nop 0
	v_cndmask_b32_e64 v56, v57, v59, s[14:15]
	v_cndmask_b32_e64 v59, v63, v62, s[14:15]
	v_and_b32_sdwa v57, v56, s29 dst_sel:DWORD dst_unused:UNUSED_PAD src0_sel:WORD_1 src1_sel:DWORD
	v_lshlrev_b16_e32 v60, 8, v59
	v_or_b32_sdwa v57, v58, v57 dst_sel:WORD_1 dst_unused:UNUSED_PAD src0_sel:DWORD src1_sel:DWORD
	v_or_b32_sdwa v60, v56, v60 dst_sel:DWORD dst_unused:UNUSED_PAD src0_sel:BYTE_0 src1_sel:DWORD
	v_or_b32_sdwa v57, v60, v57 dst_sel:DWORD dst_unused:UNUSED_PAD src0_sel:WORD_0 src1_sel:DWORD
	v_cmp_lt_u16_e64 s[14:15], v59, v58
	s_nop 1
	v_cndmask_b32_e64 v56, v56, v57, s[14:15]
	ds_write_b32 v2, v56
	v_mov_b32_e32 v56, v38
	s_waitcnt lgkmcnt(0)
	s_barrier
	s_and_saveexec_b64 s[16:17], vcc
	s_cbranch_execz .LBB106_6
; %bb.3:                                ;   in Loop: Header=BB106_2 Depth=1
	s_mov_b64 s[18:19], 0
	v_mov_b32_e32 v56, v38
	v_mov_b32_e32 v57, v32
.LBB106_4:                              ;   Parent Loop BB106_2 Depth=1
                                        ; =>  This Inner Loop Header: Depth=2
	v_sub_u32_e32 v58, v57, v56
	v_lshrrev_b32_e32 v59, 31, v58
	v_add_u32_e32 v58, v58, v59
	v_ashrrev_i32_e32 v58, 1, v58
	v_add_u32_e32 v58, v58, v56
	v_not_b32_e32 v60, v58
	v_add_u32_e32 v59, v3, v58
	v_add3_u32 v60, v4, v60, v15
	ds_read_u8 v59, v59
	ds_read_u8 v60, v60
	v_add_u32_e32 v61, 1, v58
	s_waitcnt lgkmcnt(0)
	v_cmp_lt_u16_e64 s[14:15], v60, v59
	s_nop 1
	v_cndmask_b32_e64 v57, v57, v58, s[14:15]
	v_cndmask_b32_e64 v56, v61, v56, s[14:15]
	v_cmp_ge_i32_e64 s[14:15], v56, v57
	s_or_b64 s[18:19], s[14:15], s[18:19]
	s_andn2_b64 exec, exec, s[18:19]
	s_cbranch_execnz .LBB106_4
; %bb.5:                                ;   in Loop: Header=BB106_2 Depth=1
	s_or_b64 exec, exec, s[18:19]
.LBB106_6:                              ;   in Loop: Header=BB106_2 Depth=1
	s_or_b64 exec, exec, s[16:17]
	v_add_u32_e32 v60, v56, v3
	v_sub_u32_e32 v61, v27, v56
	ds_read_u8 v56, v60
	ds_read_u8 v57, v61
	v_cmp_le_i32_e64 s[16:17], v15, v60
	v_cmp_gt_i32_e64 s[14:15], v16, v61
                                        ; implicit-def: $vgpr58
                                        ; implicit-def: $vgpr59
	s_waitcnt lgkmcnt(0)
	v_cmp_lt_u16_sdwa s[18:19], v57, v56 src0_sel:BYTE_0 src1_sel:BYTE_0
	s_or_b64 s[16:17], s[16:17], s[18:19]
	s_and_b64 s[14:15], s[14:15], s[16:17]
	s_xor_b64 s[16:17], s[14:15], -1
	s_and_saveexec_b64 s[18:19], s[16:17]
	s_xor_b64 s[16:17], exec, s[18:19]
	s_cbranch_execz .LBB106_8
; %bb.7:                                ;   in Loop: Header=BB106_2 Depth=1
	ds_read_u8 v59, v60 offset:1
	v_mov_b32_e32 v58, v57
.LBB106_8:                              ;   in Loop: Header=BB106_2 Depth=1
	s_andn2_saveexec_b64 s[16:17], s[16:17]
	s_cbranch_execz .LBB106_10
; %bb.9:                                ;   in Loop: Header=BB106_2 Depth=1
	ds_read_u8 v58, v61 offset:1
	s_waitcnt lgkmcnt(1)
	v_mov_b32_e32 v59, v56
.LBB106_10:                             ;   in Loop: Header=BB106_2 Depth=1
	s_or_b64 exec, exec, s[16:17]
	v_add_u32_e32 v63, 1, v60
	v_add_u32_e32 v62, 1, v61
	v_cndmask_b32_e64 v63, v63, v60, s[14:15]
	v_cndmask_b32_e64 v62, v61, v62, s[14:15]
	v_cmp_ge_i32_e64 s[18:19], v63, v15
	s_waitcnt lgkmcnt(0)
	v_cmp_lt_u16_sdwa s[20:21], v58, v59 src0_sel:BYTE_0 src1_sel:BYTE_0
	v_cmp_lt_i32_e64 s[16:17], v62, v16
	s_or_b64 s[18:19], s[18:19], s[20:21]
	s_and_b64 s[16:17], s[16:17], s[18:19]
	s_xor_b64 s[18:19], s[16:17], -1
                                        ; implicit-def: $vgpr60
	s_and_saveexec_b64 s[20:21], s[18:19]
	s_xor_b64 s[18:19], exec, s[20:21]
	s_cbranch_execz .LBB106_12
; %bb.11:                               ;   in Loop: Header=BB106_2 Depth=1
	ds_read_u8 v60, v63 offset:1
.LBB106_12:                             ;   in Loop: Header=BB106_2 Depth=1
	s_or_saveexec_b64 s[18:19], s[18:19]
	v_mov_b32_e32 v61, v58
	s_xor_b64 exec, exec, s[18:19]
	s_cbranch_execz .LBB106_14
; %bb.13:                               ;   in Loop: Header=BB106_2 Depth=1
	ds_read_u8 v61, v62 offset:1
	s_waitcnt lgkmcnt(1)
	v_mov_b32_e32 v60, v59
.LBB106_14:                             ;   in Loop: Header=BB106_2 Depth=1
	s_or_b64 exec, exec, s[18:19]
	v_add_u32_e32 v65, 1, v63
	v_add_u32_e32 v64, 1, v62
	v_cndmask_b32_e64 v63, v65, v63, s[16:17]
	v_cndmask_b32_e64 v62, v62, v64, s[16:17]
	v_cmp_ge_i32_e64 s[20:21], v63, v15
	s_waitcnt lgkmcnt(0)
	v_cmp_lt_u16_sdwa s[34:35], v61, v60 src0_sel:BYTE_0 src1_sel:BYTE_0
	v_cmp_lt_i32_e64 s[18:19], v62, v16
	s_or_b64 s[20:21], s[20:21], s[34:35]
	s_and_b64 s[18:19], s[18:19], s[20:21]
	s_xor_b64 s[20:21], s[18:19], -1
                                        ; implicit-def: $vgpr64
	s_and_saveexec_b64 s[34:35], s[20:21]
	s_xor_b64 s[20:21], exec, s[34:35]
	s_cbranch_execz .LBB106_16
; %bb.15:                               ;   in Loop: Header=BB106_2 Depth=1
	ds_read_u8 v64, v63 offset:1
.LBB106_16:                             ;   in Loop: Header=BB106_2 Depth=1
	s_or_saveexec_b64 s[20:21], s[20:21]
	v_mov_b32_e32 v65, v61
	s_xor_b64 exec, exec, s[20:21]
	s_cbranch_execz .LBB106_18
; %bb.17:                               ;   in Loop: Header=BB106_2 Depth=1
	ds_read_u8 v65, v62 offset:1
	s_waitcnt lgkmcnt(1)
	v_mov_b32_e32 v64, v60
.LBB106_18:                             ;   in Loop: Header=BB106_2 Depth=1
	s_or_b64 exec, exec, s[20:21]
	v_cndmask_b32_e64 v60, v60, v61, s[18:19]
	v_add_u32_e32 v61, 1, v62
	v_add_u32_e32 v66, 1, v63
	v_cndmask_b32_e64 v61, v62, v61, s[18:19]
	v_cndmask_b32_e64 v62, v66, v63, s[18:19]
	v_cndmask_b32_e64 v58, v59, v58, s[16:17]
	v_cmp_ge_i32_e64 s[16:17], v62, v15
	s_waitcnt lgkmcnt(0)
	v_cmp_lt_u16_sdwa s[18:19], v65, v64 src0_sel:BYTE_0 src1_sel:BYTE_0
	v_cndmask_b32_e64 v56, v56, v57, s[14:15]
	v_cmp_lt_i32_e64 s[14:15], v61, v16
	s_or_b64 s[16:17], s[16:17], s[18:19]
	s_and_b64 s[14:15], s[14:15], s[16:17]
	v_cndmask_b32_e64 v57, v64, v65, s[14:15]
	s_barrier
	ds_write_b8 v2, v56
	ds_write_b8 v2, v58 offset:1
	ds_write_b8 v2, v60 offset:2
	;; [unrolled: 1-line block ×3, first 2 shown]
	v_mov_b32_e32 v56, v39
	s_waitcnt lgkmcnt(0)
	s_barrier
	s_and_saveexec_b64 s[16:17], s[0:1]
	s_cbranch_execz .LBB106_22
; %bb.19:                               ;   in Loop: Header=BB106_2 Depth=1
	s_mov_b64 s[18:19], 0
	v_mov_b32_e32 v56, v39
	v_mov_b32_e32 v57, v33
.LBB106_20:                             ;   Parent Loop BB106_2 Depth=1
                                        ; =>  This Inner Loop Header: Depth=2
	v_sub_u32_e32 v58, v57, v56
	v_lshrrev_b32_e32 v59, 31, v58
	v_add_u32_e32 v58, v58, v59
	v_ashrrev_i32_e32 v58, 1, v58
	v_add_u32_e32 v58, v58, v56
	v_not_b32_e32 v60, v58
	v_add_u32_e32 v59, v5, v58
	v_add3_u32 v60, v6, v60, v17
	ds_read_u8 v59, v59
	ds_read_u8 v60, v60
	v_add_u32_e32 v61, 1, v58
	s_waitcnt lgkmcnt(0)
	v_cmp_lt_u16_e64 s[14:15], v60, v59
	s_nop 1
	v_cndmask_b32_e64 v57, v57, v58, s[14:15]
	v_cndmask_b32_e64 v56, v61, v56, s[14:15]
	v_cmp_ge_i32_e64 s[14:15], v56, v57
	s_or_b64 s[18:19], s[14:15], s[18:19]
	s_andn2_b64 exec, exec, s[18:19]
	s_cbranch_execnz .LBB106_20
; %bb.21:                               ;   in Loop: Header=BB106_2 Depth=1
	s_or_b64 exec, exec, s[18:19]
.LBB106_22:                             ;   in Loop: Header=BB106_2 Depth=1
	s_or_b64 exec, exec, s[16:17]
	v_add_u32_e32 v60, v56, v5
	v_sub_u32_e32 v61, v28, v56
	ds_read_u8 v56, v60
	ds_read_u8 v57, v61
	v_cmp_le_i32_e64 s[16:17], v17, v60
	v_cmp_gt_i32_e64 s[14:15], v18, v61
                                        ; implicit-def: $vgpr58
                                        ; implicit-def: $vgpr59
	s_waitcnt lgkmcnt(0)
	v_cmp_lt_u16_sdwa s[18:19], v57, v56 src0_sel:BYTE_0 src1_sel:BYTE_0
	s_or_b64 s[16:17], s[16:17], s[18:19]
	s_and_b64 s[14:15], s[14:15], s[16:17]
	s_xor_b64 s[16:17], s[14:15], -1
	s_and_saveexec_b64 s[18:19], s[16:17]
	s_xor_b64 s[16:17], exec, s[18:19]
	s_cbranch_execz .LBB106_24
; %bb.23:                               ;   in Loop: Header=BB106_2 Depth=1
	ds_read_u8 v59, v60 offset:1
	v_mov_b32_e32 v58, v57
.LBB106_24:                             ;   in Loop: Header=BB106_2 Depth=1
	s_andn2_saveexec_b64 s[16:17], s[16:17]
	s_cbranch_execz .LBB106_26
; %bb.25:                               ;   in Loop: Header=BB106_2 Depth=1
	ds_read_u8 v58, v61 offset:1
	s_waitcnt lgkmcnt(1)
	v_mov_b32_e32 v59, v56
.LBB106_26:                             ;   in Loop: Header=BB106_2 Depth=1
	s_or_b64 exec, exec, s[16:17]
	v_add_u32_e32 v63, 1, v60
	v_add_u32_e32 v62, 1, v61
	v_cndmask_b32_e64 v63, v63, v60, s[14:15]
	v_cndmask_b32_e64 v62, v61, v62, s[14:15]
	v_cmp_ge_i32_e64 s[18:19], v63, v17
	s_waitcnt lgkmcnt(0)
	v_cmp_lt_u16_sdwa s[20:21], v58, v59 src0_sel:BYTE_0 src1_sel:BYTE_0
	v_cmp_lt_i32_e64 s[16:17], v62, v18
	s_or_b64 s[18:19], s[18:19], s[20:21]
	s_and_b64 s[16:17], s[16:17], s[18:19]
	s_xor_b64 s[18:19], s[16:17], -1
                                        ; implicit-def: $vgpr60
	s_and_saveexec_b64 s[20:21], s[18:19]
	s_xor_b64 s[18:19], exec, s[20:21]
	s_cbranch_execz .LBB106_28
; %bb.27:                               ;   in Loop: Header=BB106_2 Depth=1
	ds_read_u8 v60, v63 offset:1
.LBB106_28:                             ;   in Loop: Header=BB106_2 Depth=1
	s_or_saveexec_b64 s[18:19], s[18:19]
	v_mov_b32_e32 v61, v58
	s_xor_b64 exec, exec, s[18:19]
	s_cbranch_execz .LBB106_30
; %bb.29:                               ;   in Loop: Header=BB106_2 Depth=1
	ds_read_u8 v61, v62 offset:1
	s_waitcnt lgkmcnt(1)
	v_mov_b32_e32 v60, v59
.LBB106_30:                             ;   in Loop: Header=BB106_2 Depth=1
	s_or_b64 exec, exec, s[18:19]
	v_add_u32_e32 v65, 1, v63
	v_add_u32_e32 v64, 1, v62
	v_cndmask_b32_e64 v63, v65, v63, s[16:17]
	v_cndmask_b32_e64 v62, v62, v64, s[16:17]
	v_cmp_ge_i32_e64 s[20:21], v63, v17
	s_waitcnt lgkmcnt(0)
	v_cmp_lt_u16_sdwa s[34:35], v61, v60 src0_sel:BYTE_0 src1_sel:BYTE_0
	v_cmp_lt_i32_e64 s[18:19], v62, v18
	s_or_b64 s[20:21], s[20:21], s[34:35]
	s_and_b64 s[18:19], s[18:19], s[20:21]
	s_xor_b64 s[20:21], s[18:19], -1
                                        ; implicit-def: $vgpr64
	s_and_saveexec_b64 s[34:35], s[20:21]
	s_xor_b64 s[20:21], exec, s[34:35]
	s_cbranch_execz .LBB106_32
; %bb.31:                               ;   in Loop: Header=BB106_2 Depth=1
	ds_read_u8 v64, v63 offset:1
.LBB106_32:                             ;   in Loop: Header=BB106_2 Depth=1
	s_or_saveexec_b64 s[20:21], s[20:21]
	v_mov_b32_e32 v65, v61
	s_xor_b64 exec, exec, s[20:21]
	s_cbranch_execz .LBB106_34
; %bb.33:                               ;   in Loop: Header=BB106_2 Depth=1
	ds_read_u8 v65, v62 offset:1
	s_waitcnt lgkmcnt(1)
	v_mov_b32_e32 v64, v60
.LBB106_34:                             ;   in Loop: Header=BB106_2 Depth=1
	s_or_b64 exec, exec, s[20:21]
	v_cndmask_b32_e64 v60, v60, v61, s[18:19]
	v_add_u32_e32 v61, 1, v62
	v_add_u32_e32 v66, 1, v63
	v_cndmask_b32_e64 v61, v62, v61, s[18:19]
	v_cndmask_b32_e64 v62, v66, v63, s[18:19]
	;; [unrolled: 1-line block ×3, first 2 shown]
	v_cmp_ge_i32_e64 s[16:17], v62, v17
	s_waitcnt lgkmcnt(0)
	v_cmp_lt_u16_sdwa s[18:19], v65, v64 src0_sel:BYTE_0 src1_sel:BYTE_0
	v_cndmask_b32_e64 v56, v56, v57, s[14:15]
	v_cmp_lt_i32_e64 s[14:15], v61, v18
	s_or_b64 s[16:17], s[16:17], s[18:19]
	s_and_b64 s[14:15], s[14:15], s[16:17]
	v_cndmask_b32_e64 v57, v64, v65, s[14:15]
	s_barrier
	ds_write_b8 v2, v56
	ds_write_b8 v2, v58 offset:1
	ds_write_b8 v2, v60 offset:2
	;; [unrolled: 1-line block ×3, first 2 shown]
	v_mov_b32_e32 v56, v40
	s_waitcnt lgkmcnt(0)
	s_barrier
	s_and_saveexec_b64 s[16:17], s[2:3]
	s_cbranch_execz .LBB106_38
; %bb.35:                               ;   in Loop: Header=BB106_2 Depth=1
	s_mov_b64 s[18:19], 0
	v_mov_b32_e32 v56, v40
	v_mov_b32_e32 v57, v34
.LBB106_36:                             ;   Parent Loop BB106_2 Depth=1
                                        ; =>  This Inner Loop Header: Depth=2
	v_sub_u32_e32 v58, v57, v56
	v_lshrrev_b32_e32 v59, 31, v58
	v_add_u32_e32 v58, v58, v59
	v_ashrrev_i32_e32 v58, 1, v58
	v_add_u32_e32 v58, v58, v56
	v_not_b32_e32 v60, v58
	v_add_u32_e32 v59, v7, v58
	v_add3_u32 v60, v8, v60, v19
	ds_read_u8 v59, v59
	ds_read_u8 v60, v60
	v_add_u32_e32 v61, 1, v58
	s_waitcnt lgkmcnt(0)
	v_cmp_lt_u16_e64 s[14:15], v60, v59
	s_nop 1
	v_cndmask_b32_e64 v57, v57, v58, s[14:15]
	v_cndmask_b32_e64 v56, v61, v56, s[14:15]
	v_cmp_ge_i32_e64 s[14:15], v56, v57
	s_or_b64 s[18:19], s[14:15], s[18:19]
	s_andn2_b64 exec, exec, s[18:19]
	s_cbranch_execnz .LBB106_36
; %bb.37:                               ;   in Loop: Header=BB106_2 Depth=1
	s_or_b64 exec, exec, s[18:19]
.LBB106_38:                             ;   in Loop: Header=BB106_2 Depth=1
	s_or_b64 exec, exec, s[16:17]
	v_add_u32_e32 v60, v56, v7
	v_sub_u32_e32 v61, v29, v56
	ds_read_u8 v56, v60
	ds_read_u8 v57, v61
	v_cmp_le_i32_e64 s[16:17], v19, v60
	v_cmp_gt_i32_e64 s[14:15], v20, v61
                                        ; implicit-def: $vgpr58
                                        ; implicit-def: $vgpr59
	s_waitcnt lgkmcnt(0)
	v_cmp_lt_u16_sdwa s[18:19], v57, v56 src0_sel:BYTE_0 src1_sel:BYTE_0
	s_or_b64 s[16:17], s[16:17], s[18:19]
	s_and_b64 s[14:15], s[14:15], s[16:17]
	s_xor_b64 s[16:17], s[14:15], -1
	s_and_saveexec_b64 s[18:19], s[16:17]
	s_xor_b64 s[16:17], exec, s[18:19]
	s_cbranch_execz .LBB106_40
; %bb.39:                               ;   in Loop: Header=BB106_2 Depth=1
	ds_read_u8 v59, v60 offset:1
	v_mov_b32_e32 v58, v57
.LBB106_40:                             ;   in Loop: Header=BB106_2 Depth=1
	s_andn2_saveexec_b64 s[16:17], s[16:17]
	s_cbranch_execz .LBB106_42
; %bb.41:                               ;   in Loop: Header=BB106_2 Depth=1
	ds_read_u8 v58, v61 offset:1
	s_waitcnt lgkmcnt(1)
	v_mov_b32_e32 v59, v56
.LBB106_42:                             ;   in Loop: Header=BB106_2 Depth=1
	s_or_b64 exec, exec, s[16:17]
	v_add_u32_e32 v63, 1, v60
	v_add_u32_e32 v62, 1, v61
	v_cndmask_b32_e64 v63, v63, v60, s[14:15]
	v_cndmask_b32_e64 v62, v61, v62, s[14:15]
	v_cmp_ge_i32_e64 s[18:19], v63, v19
	s_waitcnt lgkmcnt(0)
	v_cmp_lt_u16_sdwa s[20:21], v58, v59 src0_sel:BYTE_0 src1_sel:BYTE_0
	v_cmp_lt_i32_e64 s[16:17], v62, v20
	s_or_b64 s[18:19], s[18:19], s[20:21]
	s_and_b64 s[16:17], s[16:17], s[18:19]
	s_xor_b64 s[18:19], s[16:17], -1
                                        ; implicit-def: $vgpr60
	s_and_saveexec_b64 s[20:21], s[18:19]
	s_xor_b64 s[18:19], exec, s[20:21]
	s_cbranch_execz .LBB106_44
; %bb.43:                               ;   in Loop: Header=BB106_2 Depth=1
	ds_read_u8 v60, v63 offset:1
.LBB106_44:                             ;   in Loop: Header=BB106_2 Depth=1
	s_or_saveexec_b64 s[18:19], s[18:19]
	v_mov_b32_e32 v61, v58
	s_xor_b64 exec, exec, s[18:19]
	s_cbranch_execz .LBB106_46
; %bb.45:                               ;   in Loop: Header=BB106_2 Depth=1
	ds_read_u8 v61, v62 offset:1
	s_waitcnt lgkmcnt(1)
	v_mov_b32_e32 v60, v59
.LBB106_46:                             ;   in Loop: Header=BB106_2 Depth=1
	s_or_b64 exec, exec, s[18:19]
	v_add_u32_e32 v65, 1, v63
	v_add_u32_e32 v64, 1, v62
	v_cndmask_b32_e64 v63, v65, v63, s[16:17]
	v_cndmask_b32_e64 v62, v62, v64, s[16:17]
	v_cmp_ge_i32_e64 s[20:21], v63, v19
	s_waitcnt lgkmcnt(0)
	v_cmp_lt_u16_sdwa s[34:35], v61, v60 src0_sel:BYTE_0 src1_sel:BYTE_0
	v_cmp_lt_i32_e64 s[18:19], v62, v20
	s_or_b64 s[20:21], s[20:21], s[34:35]
	s_and_b64 s[18:19], s[18:19], s[20:21]
	s_xor_b64 s[20:21], s[18:19], -1
                                        ; implicit-def: $vgpr64
	s_and_saveexec_b64 s[34:35], s[20:21]
	s_xor_b64 s[20:21], exec, s[34:35]
	s_cbranch_execz .LBB106_48
; %bb.47:                               ;   in Loop: Header=BB106_2 Depth=1
	ds_read_u8 v64, v63 offset:1
.LBB106_48:                             ;   in Loop: Header=BB106_2 Depth=1
	s_or_saveexec_b64 s[20:21], s[20:21]
	v_mov_b32_e32 v65, v61
	s_xor_b64 exec, exec, s[20:21]
	s_cbranch_execz .LBB106_50
; %bb.49:                               ;   in Loop: Header=BB106_2 Depth=1
	ds_read_u8 v65, v62 offset:1
	s_waitcnt lgkmcnt(1)
	v_mov_b32_e32 v64, v60
.LBB106_50:                             ;   in Loop: Header=BB106_2 Depth=1
	s_or_b64 exec, exec, s[20:21]
	v_cndmask_b32_e64 v60, v60, v61, s[18:19]
	v_add_u32_e32 v61, 1, v62
	v_add_u32_e32 v66, 1, v63
	v_cndmask_b32_e64 v61, v62, v61, s[18:19]
	v_cndmask_b32_e64 v62, v66, v63, s[18:19]
	;; [unrolled: 1-line block ×3, first 2 shown]
	v_cmp_ge_i32_e64 s[16:17], v62, v19
	s_waitcnt lgkmcnt(0)
	v_cmp_lt_u16_sdwa s[18:19], v65, v64 src0_sel:BYTE_0 src1_sel:BYTE_0
	v_cndmask_b32_e64 v56, v56, v57, s[14:15]
	v_cmp_lt_i32_e64 s[14:15], v61, v20
	s_or_b64 s[16:17], s[16:17], s[18:19]
	s_and_b64 s[14:15], s[14:15], s[16:17]
	v_cndmask_b32_e64 v57, v64, v65, s[14:15]
	s_barrier
	ds_write_b8 v2, v56
	ds_write_b8 v2, v58 offset:1
	ds_write_b8 v2, v60 offset:2
	;; [unrolled: 1-line block ×3, first 2 shown]
	v_mov_b32_e32 v56, v41
	s_waitcnt lgkmcnt(0)
	s_barrier
	s_and_saveexec_b64 s[16:17], s[4:5]
	s_cbranch_execz .LBB106_54
; %bb.51:                               ;   in Loop: Header=BB106_2 Depth=1
	s_mov_b64 s[18:19], 0
	v_mov_b32_e32 v56, v41
	v_mov_b32_e32 v57, v35
.LBB106_52:                             ;   Parent Loop BB106_2 Depth=1
                                        ; =>  This Inner Loop Header: Depth=2
	v_sub_u32_e32 v58, v57, v56
	v_lshrrev_b32_e32 v59, 31, v58
	v_add_u32_e32 v58, v58, v59
	v_ashrrev_i32_e32 v58, 1, v58
	v_add_u32_e32 v58, v58, v56
	v_not_b32_e32 v60, v58
	v_add_u32_e32 v59, v9, v58
	v_add3_u32 v60, v10, v60, v21
	ds_read_u8 v59, v59
	ds_read_u8 v60, v60
	v_add_u32_e32 v61, 1, v58
	s_waitcnt lgkmcnt(0)
	v_cmp_lt_u16_e64 s[14:15], v60, v59
	s_nop 1
	v_cndmask_b32_e64 v57, v57, v58, s[14:15]
	v_cndmask_b32_e64 v56, v61, v56, s[14:15]
	v_cmp_ge_i32_e64 s[14:15], v56, v57
	s_or_b64 s[18:19], s[14:15], s[18:19]
	s_andn2_b64 exec, exec, s[18:19]
	s_cbranch_execnz .LBB106_52
; %bb.53:                               ;   in Loop: Header=BB106_2 Depth=1
	s_or_b64 exec, exec, s[18:19]
.LBB106_54:                             ;   in Loop: Header=BB106_2 Depth=1
	s_or_b64 exec, exec, s[16:17]
	v_add_u32_e32 v60, v56, v9
	v_sub_u32_e32 v61, v30, v56
	ds_read_u8 v56, v60
	ds_read_u8 v57, v61
	v_cmp_le_i32_e64 s[16:17], v21, v60
	v_cmp_gt_i32_e64 s[14:15], v22, v61
                                        ; implicit-def: $vgpr58
                                        ; implicit-def: $vgpr59
	s_waitcnt lgkmcnt(0)
	v_cmp_lt_u16_sdwa s[18:19], v57, v56 src0_sel:BYTE_0 src1_sel:BYTE_0
	s_or_b64 s[16:17], s[16:17], s[18:19]
	s_and_b64 s[14:15], s[14:15], s[16:17]
	s_xor_b64 s[16:17], s[14:15], -1
	s_and_saveexec_b64 s[18:19], s[16:17]
	s_xor_b64 s[16:17], exec, s[18:19]
	s_cbranch_execz .LBB106_56
; %bb.55:                               ;   in Loop: Header=BB106_2 Depth=1
	ds_read_u8 v59, v60 offset:1
	v_mov_b32_e32 v58, v57
.LBB106_56:                             ;   in Loop: Header=BB106_2 Depth=1
	s_andn2_saveexec_b64 s[16:17], s[16:17]
	s_cbranch_execz .LBB106_58
; %bb.57:                               ;   in Loop: Header=BB106_2 Depth=1
	ds_read_u8 v58, v61 offset:1
	s_waitcnt lgkmcnt(1)
	v_mov_b32_e32 v59, v56
.LBB106_58:                             ;   in Loop: Header=BB106_2 Depth=1
	s_or_b64 exec, exec, s[16:17]
	v_add_u32_e32 v63, 1, v60
	v_add_u32_e32 v62, 1, v61
	v_cndmask_b32_e64 v63, v63, v60, s[14:15]
	v_cndmask_b32_e64 v62, v61, v62, s[14:15]
	v_cmp_ge_i32_e64 s[18:19], v63, v21
	s_waitcnt lgkmcnt(0)
	v_cmp_lt_u16_sdwa s[20:21], v58, v59 src0_sel:BYTE_0 src1_sel:BYTE_0
	v_cmp_lt_i32_e64 s[16:17], v62, v22
	s_or_b64 s[18:19], s[18:19], s[20:21]
	s_and_b64 s[16:17], s[16:17], s[18:19]
	s_xor_b64 s[18:19], s[16:17], -1
                                        ; implicit-def: $vgpr60
	s_and_saveexec_b64 s[20:21], s[18:19]
	s_xor_b64 s[18:19], exec, s[20:21]
	s_cbranch_execz .LBB106_60
; %bb.59:                               ;   in Loop: Header=BB106_2 Depth=1
	ds_read_u8 v60, v63 offset:1
.LBB106_60:                             ;   in Loop: Header=BB106_2 Depth=1
	s_or_saveexec_b64 s[18:19], s[18:19]
	v_mov_b32_e32 v61, v58
	s_xor_b64 exec, exec, s[18:19]
	s_cbranch_execz .LBB106_62
; %bb.61:                               ;   in Loop: Header=BB106_2 Depth=1
	ds_read_u8 v61, v62 offset:1
	s_waitcnt lgkmcnt(1)
	v_mov_b32_e32 v60, v59
.LBB106_62:                             ;   in Loop: Header=BB106_2 Depth=1
	s_or_b64 exec, exec, s[18:19]
	v_add_u32_e32 v65, 1, v63
	v_add_u32_e32 v64, 1, v62
	v_cndmask_b32_e64 v63, v65, v63, s[16:17]
	v_cndmask_b32_e64 v62, v62, v64, s[16:17]
	v_cmp_ge_i32_e64 s[20:21], v63, v21
	s_waitcnt lgkmcnt(0)
	v_cmp_lt_u16_sdwa s[34:35], v61, v60 src0_sel:BYTE_0 src1_sel:BYTE_0
	v_cmp_lt_i32_e64 s[18:19], v62, v22
	s_or_b64 s[20:21], s[20:21], s[34:35]
	s_and_b64 s[18:19], s[18:19], s[20:21]
	s_xor_b64 s[20:21], s[18:19], -1
                                        ; implicit-def: $vgpr64
	s_and_saveexec_b64 s[34:35], s[20:21]
	s_xor_b64 s[20:21], exec, s[34:35]
	s_cbranch_execz .LBB106_64
; %bb.63:                               ;   in Loop: Header=BB106_2 Depth=1
	ds_read_u8 v64, v63 offset:1
.LBB106_64:                             ;   in Loop: Header=BB106_2 Depth=1
	s_or_saveexec_b64 s[20:21], s[20:21]
	v_mov_b32_e32 v65, v61
	s_xor_b64 exec, exec, s[20:21]
	s_cbranch_execz .LBB106_66
; %bb.65:                               ;   in Loop: Header=BB106_2 Depth=1
	ds_read_u8 v65, v62 offset:1
	s_waitcnt lgkmcnt(1)
	v_mov_b32_e32 v64, v60
.LBB106_66:                             ;   in Loop: Header=BB106_2 Depth=1
	s_or_b64 exec, exec, s[20:21]
	v_cndmask_b32_e64 v60, v60, v61, s[18:19]
	v_add_u32_e32 v61, 1, v62
	v_add_u32_e32 v66, 1, v63
	v_cndmask_b32_e64 v61, v62, v61, s[18:19]
	v_cndmask_b32_e64 v62, v66, v63, s[18:19]
	;; [unrolled: 1-line block ×3, first 2 shown]
	v_cmp_ge_i32_e64 s[16:17], v62, v21
	s_waitcnt lgkmcnt(0)
	v_cmp_lt_u16_sdwa s[18:19], v65, v64 src0_sel:BYTE_0 src1_sel:BYTE_0
	v_cndmask_b32_e64 v56, v56, v57, s[14:15]
	v_cmp_lt_i32_e64 s[14:15], v61, v22
	s_or_b64 s[16:17], s[16:17], s[18:19]
	s_and_b64 s[14:15], s[14:15], s[16:17]
	v_cndmask_b32_e64 v57, v64, v65, s[14:15]
	s_barrier
	ds_write_b8 v2, v56
	ds_write_b8 v2, v58 offset:1
	ds_write_b8 v2, v60 offset:2
	ds_write_b8 v2, v57 offset:3
	v_mov_b32_e32 v56, v42
	s_waitcnt lgkmcnt(0)
	s_barrier
	s_and_saveexec_b64 s[16:17], s[6:7]
	s_cbranch_execz .LBB106_70
; %bb.67:                               ;   in Loop: Header=BB106_2 Depth=1
	s_mov_b64 s[18:19], 0
	v_mov_b32_e32 v56, v42
	v_mov_b32_e32 v57, v36
.LBB106_68:                             ;   Parent Loop BB106_2 Depth=1
                                        ; =>  This Inner Loop Header: Depth=2
	v_sub_u32_e32 v58, v57, v56
	v_lshrrev_b32_e32 v59, 31, v58
	v_add_u32_e32 v58, v58, v59
	v_ashrrev_i32_e32 v58, 1, v58
	v_add_u32_e32 v58, v58, v56
	v_not_b32_e32 v60, v58
	v_add_u32_e32 v59, v11, v58
	v_add3_u32 v60, v12, v60, v23
	ds_read_u8 v59, v59
	ds_read_u8 v60, v60
	v_add_u32_e32 v61, 1, v58
	s_waitcnt lgkmcnt(0)
	v_cmp_lt_u16_e64 s[14:15], v60, v59
	s_nop 1
	v_cndmask_b32_e64 v57, v57, v58, s[14:15]
	v_cndmask_b32_e64 v56, v61, v56, s[14:15]
	v_cmp_ge_i32_e64 s[14:15], v56, v57
	s_or_b64 s[18:19], s[14:15], s[18:19]
	s_andn2_b64 exec, exec, s[18:19]
	s_cbranch_execnz .LBB106_68
; %bb.69:                               ;   in Loop: Header=BB106_2 Depth=1
	s_or_b64 exec, exec, s[18:19]
.LBB106_70:                             ;   in Loop: Header=BB106_2 Depth=1
	s_or_b64 exec, exec, s[16:17]
	v_add_u32_e32 v60, v56, v11
	v_sub_u32_e32 v61, v31, v56
	ds_read_u8 v56, v60
	ds_read_u8 v57, v61
	v_cmp_le_i32_e64 s[16:17], v23, v60
	v_cmp_gt_i32_e64 s[14:15], v24, v61
                                        ; implicit-def: $vgpr58
                                        ; implicit-def: $vgpr59
	s_waitcnt lgkmcnt(0)
	v_cmp_lt_u16_sdwa s[18:19], v57, v56 src0_sel:BYTE_0 src1_sel:BYTE_0
	s_or_b64 s[16:17], s[16:17], s[18:19]
	s_and_b64 s[14:15], s[14:15], s[16:17]
	s_xor_b64 s[16:17], s[14:15], -1
	s_and_saveexec_b64 s[18:19], s[16:17]
	s_xor_b64 s[16:17], exec, s[18:19]
	s_cbranch_execz .LBB106_72
; %bb.71:                               ;   in Loop: Header=BB106_2 Depth=1
	ds_read_u8 v59, v60 offset:1
	v_mov_b32_e32 v58, v57
.LBB106_72:                             ;   in Loop: Header=BB106_2 Depth=1
	s_andn2_saveexec_b64 s[16:17], s[16:17]
	s_cbranch_execz .LBB106_74
; %bb.73:                               ;   in Loop: Header=BB106_2 Depth=1
	ds_read_u8 v58, v61 offset:1
	s_waitcnt lgkmcnt(1)
	v_mov_b32_e32 v59, v56
.LBB106_74:                             ;   in Loop: Header=BB106_2 Depth=1
	s_or_b64 exec, exec, s[16:17]
	v_add_u32_e32 v63, 1, v60
	v_add_u32_e32 v62, 1, v61
	v_cndmask_b32_e64 v63, v63, v60, s[14:15]
	v_cndmask_b32_e64 v62, v61, v62, s[14:15]
	v_cmp_ge_i32_e64 s[18:19], v63, v23
	s_waitcnt lgkmcnt(0)
	v_cmp_lt_u16_sdwa s[20:21], v58, v59 src0_sel:BYTE_0 src1_sel:BYTE_0
	v_cmp_lt_i32_e64 s[16:17], v62, v24
	s_or_b64 s[18:19], s[18:19], s[20:21]
	s_and_b64 s[16:17], s[16:17], s[18:19]
	s_xor_b64 s[18:19], s[16:17], -1
                                        ; implicit-def: $vgpr60
	s_and_saveexec_b64 s[20:21], s[18:19]
	s_xor_b64 s[18:19], exec, s[20:21]
	s_cbranch_execz .LBB106_76
; %bb.75:                               ;   in Loop: Header=BB106_2 Depth=1
	ds_read_u8 v60, v63 offset:1
.LBB106_76:                             ;   in Loop: Header=BB106_2 Depth=1
	s_or_saveexec_b64 s[18:19], s[18:19]
	v_mov_b32_e32 v61, v58
	s_xor_b64 exec, exec, s[18:19]
	s_cbranch_execz .LBB106_78
; %bb.77:                               ;   in Loop: Header=BB106_2 Depth=1
	ds_read_u8 v61, v62 offset:1
	s_waitcnt lgkmcnt(1)
	v_mov_b32_e32 v60, v59
.LBB106_78:                             ;   in Loop: Header=BB106_2 Depth=1
	s_or_b64 exec, exec, s[18:19]
	v_add_u32_e32 v65, 1, v63
	v_add_u32_e32 v64, 1, v62
	v_cndmask_b32_e64 v63, v65, v63, s[16:17]
	v_cndmask_b32_e64 v62, v62, v64, s[16:17]
	v_cmp_ge_i32_e64 s[20:21], v63, v23
	s_waitcnt lgkmcnt(0)
	v_cmp_lt_u16_sdwa s[34:35], v61, v60 src0_sel:BYTE_0 src1_sel:BYTE_0
	v_cmp_lt_i32_e64 s[18:19], v62, v24
	s_or_b64 s[20:21], s[20:21], s[34:35]
	s_and_b64 s[18:19], s[18:19], s[20:21]
	s_xor_b64 s[20:21], s[18:19], -1
                                        ; implicit-def: $vgpr64
	s_and_saveexec_b64 s[34:35], s[20:21]
	s_xor_b64 s[20:21], exec, s[34:35]
	s_cbranch_execz .LBB106_80
; %bb.79:                               ;   in Loop: Header=BB106_2 Depth=1
	ds_read_u8 v64, v63 offset:1
.LBB106_80:                             ;   in Loop: Header=BB106_2 Depth=1
	s_or_saveexec_b64 s[20:21], s[20:21]
	v_mov_b32_e32 v65, v61
	s_xor_b64 exec, exec, s[20:21]
	s_cbranch_execz .LBB106_82
; %bb.81:                               ;   in Loop: Header=BB106_2 Depth=1
	ds_read_u8 v65, v62 offset:1
	s_waitcnt lgkmcnt(1)
	v_mov_b32_e32 v64, v60
.LBB106_82:                             ;   in Loop: Header=BB106_2 Depth=1
	s_or_b64 exec, exec, s[20:21]
	v_cndmask_b32_e64 v60, v60, v61, s[18:19]
	v_add_u32_e32 v61, 1, v62
	v_add_u32_e32 v66, 1, v63
	v_cndmask_b32_e64 v61, v62, v61, s[18:19]
	v_cndmask_b32_e64 v62, v66, v63, s[18:19]
	;; [unrolled: 1-line block ×3, first 2 shown]
	v_cmp_ge_i32_e64 s[16:17], v62, v23
	s_waitcnt lgkmcnt(0)
	v_cmp_lt_u16_sdwa s[18:19], v65, v64 src0_sel:BYTE_0 src1_sel:BYTE_0
	v_cndmask_b32_e64 v56, v56, v57, s[14:15]
	v_cmp_lt_i32_e64 s[14:15], v61, v24
	s_or_b64 s[16:17], s[16:17], s[18:19]
	s_and_b64 s[14:15], s[14:15], s[16:17]
	v_cndmask_b32_e64 v57, v64, v65, s[14:15]
	s_barrier
	ds_write_b8 v2, v56
	ds_write_b8 v2, v58 offset:1
	ds_write_b8 v2, v60 offset:2
	;; [unrolled: 1-line block ×3, first 2 shown]
	v_mov_b32_e32 v56, v43
	s_waitcnt lgkmcnt(0)
	s_barrier
	s_and_saveexec_b64 s[16:17], s[8:9]
	s_cbranch_execz .LBB106_86
; %bb.83:                               ;   in Loop: Header=BB106_2 Depth=1
	s_mov_b64 s[18:19], 0
	v_mov_b32_e32 v56, v43
	v_mov_b32_e32 v57, v37
.LBB106_84:                             ;   Parent Loop BB106_2 Depth=1
                                        ; =>  This Inner Loop Header: Depth=2
	v_sub_u32_e32 v58, v57, v56
	v_lshrrev_b32_e32 v59, 31, v58
	v_add_u32_e32 v58, v58, v59
	v_ashrrev_i32_e32 v58, 1, v58
	v_add_u32_e32 v58, v58, v56
	v_not_b32_e32 v60, v58
	v_add_u32_e32 v59, v13, v58
	v_add3_u32 v60, v14, v60, v25
	ds_read_u8 v59, v59
	ds_read_u8 v60, v60
	v_add_u32_e32 v61, 1, v58
	s_waitcnt lgkmcnt(0)
	v_cmp_lt_u16_e64 s[14:15], v60, v59
	s_nop 1
	v_cndmask_b32_e64 v57, v57, v58, s[14:15]
	v_cndmask_b32_e64 v56, v61, v56, s[14:15]
	v_cmp_ge_i32_e64 s[14:15], v56, v57
	s_or_b64 s[18:19], s[14:15], s[18:19]
	s_andn2_b64 exec, exec, s[18:19]
	s_cbranch_execnz .LBB106_84
; %bb.85:                               ;   in Loop: Header=BB106_2 Depth=1
	s_or_b64 exec, exec, s[18:19]
.LBB106_86:                             ;   in Loop: Header=BB106_2 Depth=1
	s_or_b64 exec, exec, s[16:17]
	v_add_u32_e32 v60, v56, v13
	v_sub_u32_e32 v61, v44, v56
	ds_read_u8 v56, v60
	ds_read_u8 v57, v61
	v_cmp_le_i32_e64 s[16:17], v25, v60
	v_cmp_gt_i32_e64 s[14:15], v26, v61
                                        ; implicit-def: $vgpr58
                                        ; implicit-def: $vgpr59
	s_waitcnt lgkmcnt(0)
	v_cmp_lt_u16_sdwa s[18:19], v57, v56 src0_sel:BYTE_0 src1_sel:BYTE_0
	s_or_b64 s[16:17], s[16:17], s[18:19]
	s_and_b64 s[14:15], s[14:15], s[16:17]
	s_xor_b64 s[16:17], s[14:15], -1
	s_and_saveexec_b64 s[18:19], s[16:17]
	s_xor_b64 s[16:17], exec, s[18:19]
	s_cbranch_execz .LBB106_88
; %bb.87:                               ;   in Loop: Header=BB106_2 Depth=1
	ds_read_u8 v59, v60 offset:1
	v_mov_b32_e32 v58, v57
.LBB106_88:                             ;   in Loop: Header=BB106_2 Depth=1
	s_andn2_saveexec_b64 s[16:17], s[16:17]
	s_cbranch_execz .LBB106_90
; %bb.89:                               ;   in Loop: Header=BB106_2 Depth=1
	ds_read_u8 v58, v61 offset:1
	s_waitcnt lgkmcnt(1)
	v_mov_b32_e32 v59, v56
.LBB106_90:                             ;   in Loop: Header=BB106_2 Depth=1
	s_or_b64 exec, exec, s[16:17]
	v_add_u32_e32 v63, 1, v60
	v_add_u32_e32 v62, 1, v61
	v_cndmask_b32_e64 v63, v63, v60, s[14:15]
	v_cndmask_b32_e64 v62, v61, v62, s[14:15]
	v_cmp_ge_i32_e64 s[18:19], v63, v25
	s_waitcnt lgkmcnt(0)
	v_cmp_lt_u16_sdwa s[20:21], v58, v59 src0_sel:BYTE_0 src1_sel:BYTE_0
	v_cmp_lt_i32_e64 s[16:17], v62, v26
	s_or_b64 s[18:19], s[18:19], s[20:21]
	s_and_b64 s[16:17], s[16:17], s[18:19]
	s_xor_b64 s[18:19], s[16:17], -1
                                        ; implicit-def: $vgpr60
	s_and_saveexec_b64 s[20:21], s[18:19]
	s_xor_b64 s[18:19], exec, s[20:21]
	s_cbranch_execz .LBB106_92
; %bb.91:                               ;   in Loop: Header=BB106_2 Depth=1
	ds_read_u8 v60, v63 offset:1
.LBB106_92:                             ;   in Loop: Header=BB106_2 Depth=1
	s_or_saveexec_b64 s[18:19], s[18:19]
	v_mov_b32_e32 v61, v58
	s_xor_b64 exec, exec, s[18:19]
	s_cbranch_execz .LBB106_94
; %bb.93:                               ;   in Loop: Header=BB106_2 Depth=1
	ds_read_u8 v61, v62 offset:1
	s_waitcnt lgkmcnt(1)
	v_mov_b32_e32 v60, v59
.LBB106_94:                             ;   in Loop: Header=BB106_2 Depth=1
	s_or_b64 exec, exec, s[18:19]
	v_add_u32_e32 v65, 1, v63
	v_add_u32_e32 v64, 1, v62
	v_cndmask_b32_e64 v63, v65, v63, s[16:17]
	v_cndmask_b32_e64 v62, v62, v64, s[16:17]
	v_cmp_ge_i32_e64 s[20:21], v63, v25
	s_waitcnt lgkmcnt(0)
	v_cmp_lt_u16_sdwa s[34:35], v61, v60 src0_sel:BYTE_0 src1_sel:BYTE_0
	v_cmp_lt_i32_e64 s[18:19], v62, v26
	s_or_b64 s[20:21], s[20:21], s[34:35]
	s_and_b64 s[18:19], s[18:19], s[20:21]
	s_xor_b64 s[20:21], s[18:19], -1
                                        ; implicit-def: $vgpr64
	s_and_saveexec_b64 s[34:35], s[20:21]
	s_xor_b64 s[20:21], exec, s[34:35]
	s_cbranch_execz .LBB106_96
; %bb.95:                               ;   in Loop: Header=BB106_2 Depth=1
	ds_read_u8 v64, v63 offset:1
.LBB106_96:                             ;   in Loop: Header=BB106_2 Depth=1
	s_or_saveexec_b64 s[20:21], s[20:21]
	v_mov_b32_e32 v65, v61
	s_xor_b64 exec, exec, s[20:21]
	s_cbranch_execz .LBB106_98
; %bb.97:                               ;   in Loop: Header=BB106_2 Depth=1
	ds_read_u8 v65, v62 offset:1
	s_waitcnt lgkmcnt(1)
	v_mov_b32_e32 v64, v60
.LBB106_98:                             ;   in Loop: Header=BB106_2 Depth=1
	s_or_b64 exec, exec, s[20:21]
	v_cndmask_b32_e64 v60, v60, v61, s[18:19]
	v_add_u32_e32 v61, 1, v62
	v_add_u32_e32 v66, 1, v63
	v_cndmask_b32_e64 v61, v62, v61, s[18:19]
	v_cndmask_b32_e64 v62, v66, v63, s[18:19]
	;; [unrolled: 1-line block ×3, first 2 shown]
	v_cmp_ge_i32_e64 s[16:17], v62, v25
	s_waitcnt lgkmcnt(0)
	v_cmp_lt_u16_sdwa s[18:19], v65, v64 src0_sel:BYTE_0 src1_sel:BYTE_0
	v_cndmask_b32_e64 v56, v56, v57, s[14:15]
	v_cmp_lt_i32_e64 s[14:15], v61, v26
	s_or_b64 s[16:17], s[16:17], s[18:19]
	s_and_b64 s[14:15], s[14:15], s[16:17]
	v_cndmask_b32_e64 v57, v64, v65, s[14:15]
	s_barrier
	ds_write_b8 v2, v56
	ds_write_b8 v2, v58 offset:1
	ds_write_b8 v2, v60 offset:2
	;; [unrolled: 1-line block ×3, first 2 shown]
	v_mov_b32_e32 v56, v50
	s_waitcnt lgkmcnt(0)
	s_barrier
	s_and_saveexec_b64 s[16:17], s[10:11]
	s_cbranch_execz .LBB106_102
; %bb.99:                               ;   in Loop: Header=BB106_2 Depth=1
	s_mov_b64 s[18:19], 0
	v_mov_b32_e32 v56, v50
	v_mov_b32_e32 v57, v51
.LBB106_100:                            ;   Parent Loop BB106_2 Depth=1
                                        ; =>  This Inner Loop Header: Depth=2
	v_sub_u32_e32 v58, v57, v56
	v_lshrrev_b32_e32 v59, 31, v58
	v_add_u32_e32 v58, v58, v59
	v_ashrrev_i32_e32 v58, 1, v58
	v_add_u32_e32 v58, v58, v56
	v_not_b32_e32 v60, v58
	v_add_u32_e32 v59, v46, v58
	v_add3_u32 v60, v47, v60, v48
	ds_read_u8 v59, v59
	ds_read_u8 v60, v60
	v_add_u32_e32 v61, 1, v58
	s_waitcnt lgkmcnt(0)
	v_cmp_lt_u16_e64 s[14:15], v60, v59
	s_nop 1
	v_cndmask_b32_e64 v57, v57, v58, s[14:15]
	v_cndmask_b32_e64 v56, v61, v56, s[14:15]
	v_cmp_ge_i32_e64 s[14:15], v56, v57
	s_or_b64 s[18:19], s[14:15], s[18:19]
	s_andn2_b64 exec, exec, s[18:19]
	s_cbranch_execnz .LBB106_100
; %bb.101:                              ;   in Loop: Header=BB106_2 Depth=1
	s_or_b64 exec, exec, s[18:19]
.LBB106_102:                            ;   in Loop: Header=BB106_2 Depth=1
	s_or_b64 exec, exec, s[16:17]
	v_add_u32_e32 v60, v56, v46
	v_sub_u32_e32 v61, v52, v56
	ds_read_u8 v56, v60
	ds_read_u8 v57, v61
	v_cmp_le_i32_e64 s[16:17], v48, v60
	v_cmp_gt_i32_e64 s[14:15], v49, v61
                                        ; implicit-def: $vgpr58
                                        ; implicit-def: $vgpr59
	s_waitcnt lgkmcnt(0)
	v_cmp_lt_u16_sdwa s[18:19], v57, v56 src0_sel:BYTE_0 src1_sel:BYTE_0
	s_or_b64 s[16:17], s[16:17], s[18:19]
	s_and_b64 s[14:15], s[14:15], s[16:17]
	s_xor_b64 s[16:17], s[14:15], -1
	s_and_saveexec_b64 s[18:19], s[16:17]
	s_xor_b64 s[16:17], exec, s[18:19]
	s_cbranch_execz .LBB106_104
; %bb.103:                              ;   in Loop: Header=BB106_2 Depth=1
	ds_read_u8 v59, v60 offset:1
	v_mov_b32_e32 v58, v57
.LBB106_104:                            ;   in Loop: Header=BB106_2 Depth=1
	s_andn2_saveexec_b64 s[16:17], s[16:17]
	s_cbranch_execz .LBB106_106
; %bb.105:                              ;   in Loop: Header=BB106_2 Depth=1
	ds_read_u8 v58, v61 offset:1
	s_waitcnt lgkmcnt(1)
	v_mov_b32_e32 v59, v56
.LBB106_106:                            ;   in Loop: Header=BB106_2 Depth=1
	s_or_b64 exec, exec, s[16:17]
	v_add_u32_e32 v63, 1, v60
	v_add_u32_e32 v62, 1, v61
	v_cndmask_b32_e64 v63, v63, v60, s[14:15]
	v_cndmask_b32_e64 v62, v61, v62, s[14:15]
	v_cmp_ge_i32_e64 s[18:19], v63, v48
	s_waitcnt lgkmcnt(0)
	v_cmp_lt_u16_sdwa s[20:21], v58, v59 src0_sel:BYTE_0 src1_sel:BYTE_0
	v_cmp_lt_i32_e64 s[16:17], v62, v49
	s_or_b64 s[18:19], s[18:19], s[20:21]
	s_and_b64 s[16:17], s[16:17], s[18:19]
	s_xor_b64 s[18:19], s[16:17], -1
                                        ; implicit-def: $vgpr60
	s_and_saveexec_b64 s[20:21], s[18:19]
	s_xor_b64 s[18:19], exec, s[20:21]
	s_cbranch_execz .LBB106_108
; %bb.107:                              ;   in Loop: Header=BB106_2 Depth=1
	ds_read_u8 v60, v63 offset:1
.LBB106_108:                            ;   in Loop: Header=BB106_2 Depth=1
	s_or_saveexec_b64 s[18:19], s[18:19]
	v_mov_b32_e32 v61, v58
	s_xor_b64 exec, exec, s[18:19]
	s_cbranch_execz .LBB106_110
; %bb.109:                              ;   in Loop: Header=BB106_2 Depth=1
	ds_read_u8 v61, v62 offset:1
	s_waitcnt lgkmcnt(1)
	v_mov_b32_e32 v60, v59
.LBB106_110:                            ;   in Loop: Header=BB106_2 Depth=1
	s_or_b64 exec, exec, s[18:19]
	v_add_u32_e32 v65, 1, v63
	v_add_u32_e32 v64, 1, v62
	v_cndmask_b32_e64 v63, v65, v63, s[16:17]
	v_cndmask_b32_e64 v62, v62, v64, s[16:17]
	v_cmp_ge_i32_e64 s[20:21], v63, v48
	s_waitcnt lgkmcnt(0)
	v_cmp_lt_u16_sdwa s[34:35], v61, v60 src0_sel:BYTE_0 src1_sel:BYTE_0
	v_cmp_lt_i32_e64 s[18:19], v62, v49
	s_or_b64 s[20:21], s[20:21], s[34:35]
	s_and_b64 s[18:19], s[18:19], s[20:21]
	s_xor_b64 s[20:21], s[18:19], -1
                                        ; implicit-def: $vgpr64
	s_and_saveexec_b64 s[34:35], s[20:21]
	s_xor_b64 s[20:21], exec, s[34:35]
	s_cbranch_execz .LBB106_112
; %bb.111:                              ;   in Loop: Header=BB106_2 Depth=1
	ds_read_u8 v64, v63 offset:1
.LBB106_112:                            ;   in Loop: Header=BB106_2 Depth=1
	s_or_saveexec_b64 s[20:21], s[20:21]
	v_mov_b32_e32 v65, v61
	s_xor_b64 exec, exec, s[20:21]
	s_cbranch_execz .LBB106_114
; %bb.113:                              ;   in Loop: Header=BB106_2 Depth=1
	ds_read_u8 v65, v62 offset:1
	s_waitcnt lgkmcnt(1)
	v_mov_b32_e32 v64, v60
.LBB106_114:                            ;   in Loop: Header=BB106_2 Depth=1
	s_or_b64 exec, exec, s[20:21]
	v_cndmask_b32_e64 v60, v60, v61, s[18:19]
	v_add_u32_e32 v61, 1, v62
	v_add_u32_e32 v66, 1, v63
	v_cndmask_b32_e64 v61, v62, v61, s[18:19]
	v_cndmask_b32_e64 v62, v66, v63, s[18:19]
	;; [unrolled: 1-line block ×3, first 2 shown]
	v_cmp_ge_i32_e64 s[16:17], v62, v48
	s_waitcnt lgkmcnt(0)
	v_cmp_lt_u16_sdwa s[18:19], v65, v64 src0_sel:BYTE_0 src1_sel:BYTE_0
	v_cndmask_b32_e64 v56, v56, v57, s[14:15]
	v_cmp_lt_i32_e64 s[14:15], v61, v49
	s_or_b64 s[16:17], s[16:17], s[18:19]
	s_and_b64 s[14:15], s[14:15], s[16:17]
	v_cndmask_b32_e64 v57, v64, v65, s[14:15]
	s_barrier
	ds_write_b8 v2, v56
	ds_write_b8 v2, v58 offset:1
	ds_write_b8 v2, v60 offset:2
	;; [unrolled: 1-line block ×3, first 2 shown]
	v_mov_b32_e32 v60, v53
	s_waitcnt lgkmcnt(0)
	s_barrier
	s_and_saveexec_b64 s[16:17], s[12:13]
	s_cbranch_execz .LBB106_118
; %bb.115:                              ;   in Loop: Header=BB106_2 Depth=1
	s_mov_b64 s[18:19], 0
	v_mov_b32_e32 v60, v53
	v_mov_b32_e32 v56, v54
.LBB106_116:                            ;   Parent Loop BB106_2 Depth=1
                                        ; =>  This Inner Loop Header: Depth=2
	v_sub_u32_e32 v57, v56, v60
	v_lshrrev_b32_e32 v58, 31, v57
	v_add_u32_e32 v57, v57, v58
	v_ashrrev_i32_e32 v57, 1, v57
	v_add_u32_e32 v57, v57, v60
	v_not_b32_e32 v58, v57
	v_add3_u32 v58, v2, v58, v45
	ds_read_u8 v59, v57
	ds_read_u8 v58, v58
	v_add_u32_e32 v61, 1, v57
	s_waitcnt lgkmcnt(0)
	v_cmp_lt_u16_e64 s[14:15], v58, v59
	s_nop 1
	v_cndmask_b32_e64 v56, v56, v57, s[14:15]
	v_cndmask_b32_e64 v60, v61, v60, s[14:15]
	v_cmp_ge_i32_e64 s[14:15], v60, v56
	s_or_b64 s[18:19], s[14:15], s[18:19]
	s_andn2_b64 exec, exec, s[18:19]
	s_cbranch_execnz .LBB106_116
; %bb.117:                              ;   in Loop: Header=BB106_2 Depth=1
	s_or_b64 exec, exec, s[18:19]
.LBB106_118:                            ;   in Loop: Header=BB106_2 Depth=1
	s_or_b64 exec, exec, s[16:17]
	v_sub_u32_e32 v61, v55, v60
	ds_read_u8 v56, v60
	ds_read_u8 v57, v61
	v_cmp_le_i32_e64 s[16:17], v45, v60
	v_cmp_gt_i32_e64 s[14:15], s31, v61
                                        ; implicit-def: $vgpr58
                                        ; implicit-def: $vgpr59
	s_waitcnt lgkmcnt(0)
	v_cmp_lt_u16_sdwa s[18:19], v57, v56 src0_sel:BYTE_0 src1_sel:BYTE_0
	s_or_b64 s[16:17], s[16:17], s[18:19]
	s_and_b64 s[14:15], s[14:15], s[16:17]
	s_xor_b64 s[16:17], s[14:15], -1
	s_and_saveexec_b64 s[18:19], s[16:17]
	s_xor_b64 s[16:17], exec, s[18:19]
	s_cbranch_execz .LBB106_120
; %bb.119:                              ;   in Loop: Header=BB106_2 Depth=1
	ds_read_u8 v59, v60 offset:1
	v_mov_b32_e32 v58, v57
.LBB106_120:                            ;   in Loop: Header=BB106_2 Depth=1
	s_andn2_saveexec_b64 s[16:17], s[16:17]
	s_cbranch_execz .LBB106_122
; %bb.121:                              ;   in Loop: Header=BB106_2 Depth=1
	ds_read_u8 v58, v61 offset:1
	s_waitcnt lgkmcnt(1)
	v_mov_b32_e32 v59, v56
.LBB106_122:                            ;   in Loop: Header=BB106_2 Depth=1
	s_or_b64 exec, exec, s[16:17]
	v_add_u32_e32 v63, 1, v60
	v_add_u32_e32 v62, 1, v61
	v_cndmask_b32_e64 v63, v63, v60, s[14:15]
	v_cndmask_b32_e64 v62, v61, v62, s[14:15]
	v_cmp_ge_i32_e64 s[18:19], v63, v45
	s_waitcnt lgkmcnt(0)
	v_cmp_lt_u16_sdwa s[20:21], v58, v59 src0_sel:BYTE_0 src1_sel:BYTE_0
	v_cmp_gt_i32_e64 s[16:17], s31, v62
	s_or_b64 s[18:19], s[18:19], s[20:21]
	s_and_b64 s[16:17], s[16:17], s[18:19]
	s_xor_b64 s[18:19], s[16:17], -1
                                        ; implicit-def: $vgpr60
	s_and_saveexec_b64 s[20:21], s[18:19]
	s_xor_b64 s[18:19], exec, s[20:21]
	s_cbranch_execz .LBB106_124
; %bb.123:                              ;   in Loop: Header=BB106_2 Depth=1
	ds_read_u8 v60, v63 offset:1
.LBB106_124:                            ;   in Loop: Header=BB106_2 Depth=1
	s_or_saveexec_b64 s[18:19], s[18:19]
	v_mov_b32_e32 v61, v58
	s_xor_b64 exec, exec, s[18:19]
	s_cbranch_execz .LBB106_126
; %bb.125:                              ;   in Loop: Header=BB106_2 Depth=1
	ds_read_u8 v61, v62 offset:1
	s_waitcnt lgkmcnt(1)
	v_mov_b32_e32 v60, v59
.LBB106_126:                            ;   in Loop: Header=BB106_2 Depth=1
	s_or_b64 exec, exec, s[18:19]
	v_add_u32_e32 v65, 1, v63
	v_add_u32_e32 v64, 1, v62
	v_cndmask_b32_e64 v65, v65, v63, s[16:17]
	v_cndmask_b32_e64 v62, v62, v64, s[16:17]
	v_cmp_ge_i32_e64 s[20:21], v65, v45
	s_waitcnt lgkmcnt(0)
	v_cmp_lt_u16_sdwa s[34:35], v61, v60 src0_sel:BYTE_0 src1_sel:BYTE_0
	v_cmp_gt_i32_e64 s[18:19], s31, v62
	s_or_b64 s[20:21], s[20:21], s[34:35]
	s_and_b64 s[18:19], s[18:19], s[20:21]
	s_xor_b64 s[20:21], s[18:19], -1
                                        ; implicit-def: $vgpr63
                                        ; implicit-def: $vgpr64
	s_and_saveexec_b64 s[34:35], s[20:21]
	s_xor_b64 s[20:21], exec, s[34:35]
	s_cbranch_execz .LBB106_128
; %bb.127:                              ;   in Loop: Header=BB106_2 Depth=1
	ds_read_u8 v63, v65 offset:1
	v_add_u32_e32 v64, 1, v65
                                        ; implicit-def: $vgpr65
.LBB106_128:                            ;   in Loop: Header=BB106_2 Depth=1
	s_or_saveexec_b64 s[20:21], s[20:21]
	v_mov_b32_e32 v66, v61
	s_xor_b64 exec, exec, s[20:21]
	s_cbranch_execz .LBB106_1
; %bb.129:                              ;   in Loop: Header=BB106_2 Depth=1
	ds_read_u8 v66, v62 offset:1
	v_add_u32_e32 v62, 1, v62
	v_mov_b32_e32 v64, v65
	s_waitcnt lgkmcnt(1)
	v_mov_b32_e32 v63, v60
	s_branch .LBB106_1
.LBB106_130:
	s_add_u32 s0, s22, s24
	s_addc_u32 s1, s23, 0
	v_lshl_add_u64 v[0:1], s[0:1], 0, v[0:1]
	global_store_byte v[0:1], v57, off
	global_store_byte v[0:1], v58, off offset:256
	global_store_byte v[0:1], v59, off offset:512
	;; [unrolled: 1-line block ×3, first 2 shown]
	s_endpgm
	.section	.rodata,"a",@progbits
	.p2align	6, 0x0
	.amdhsa_kernel _Z16sort_keys_kernelIhLj256ELj4EN10test_utils4lessELj10EEvPKT_PS2_T2_
		.amdhsa_group_segment_fixed_size 1025
		.amdhsa_private_segment_fixed_size 0
		.amdhsa_kernarg_size 20
		.amdhsa_user_sgpr_count 2
		.amdhsa_user_sgpr_dispatch_ptr 0
		.amdhsa_user_sgpr_queue_ptr 0
		.amdhsa_user_sgpr_kernarg_segment_ptr 1
		.amdhsa_user_sgpr_dispatch_id 0
		.amdhsa_user_sgpr_kernarg_preload_length 0
		.amdhsa_user_sgpr_kernarg_preload_offset 0
		.amdhsa_user_sgpr_private_segment_size 0
		.amdhsa_uses_dynamic_stack 0
		.amdhsa_enable_private_segment 0
		.amdhsa_system_sgpr_workgroup_id_x 1
		.amdhsa_system_sgpr_workgroup_id_y 0
		.amdhsa_system_sgpr_workgroup_id_z 0
		.amdhsa_system_sgpr_workgroup_info 0
		.amdhsa_system_vgpr_workitem_id 0
		.amdhsa_next_free_vgpr 67
		.amdhsa_next_free_sgpr 36
		.amdhsa_accum_offset 68
		.amdhsa_reserve_vcc 1
		.amdhsa_float_round_mode_32 0
		.amdhsa_float_round_mode_16_64 0
		.amdhsa_float_denorm_mode_32 3
		.amdhsa_float_denorm_mode_16_64 3
		.amdhsa_dx10_clamp 1
		.amdhsa_ieee_mode 1
		.amdhsa_fp16_overflow 0
		.amdhsa_tg_split 0
		.amdhsa_exception_fp_ieee_invalid_op 0
		.amdhsa_exception_fp_denorm_src 0
		.amdhsa_exception_fp_ieee_div_zero 0
		.amdhsa_exception_fp_ieee_overflow 0
		.amdhsa_exception_fp_ieee_underflow 0
		.amdhsa_exception_fp_ieee_inexact 0
		.amdhsa_exception_int_div_zero 0
	.end_amdhsa_kernel
	.section	.text._Z16sort_keys_kernelIhLj256ELj4EN10test_utils4lessELj10EEvPKT_PS2_T2_,"axG",@progbits,_Z16sort_keys_kernelIhLj256ELj4EN10test_utils4lessELj10EEvPKT_PS2_T2_,comdat
.Lfunc_end106:
	.size	_Z16sort_keys_kernelIhLj256ELj4EN10test_utils4lessELj10EEvPKT_PS2_T2_, .Lfunc_end106-_Z16sort_keys_kernelIhLj256ELj4EN10test_utils4lessELj10EEvPKT_PS2_T2_
                                        ; -- End function
	.section	.AMDGPU.csdata,"",@progbits
; Kernel info:
; codeLenInByte = 6056
; NumSgprs: 42
; NumVgprs: 67
; NumAgprs: 0
; TotalNumVgprs: 67
; ScratchSize: 0
; MemoryBound: 0
; FloatMode: 240
; IeeeMode: 1
; LDSByteSize: 1025 bytes/workgroup (compile time only)
; SGPRBlocks: 5
; VGPRBlocks: 8
; NumSGPRsForWavesPerEU: 42
; NumVGPRsForWavesPerEU: 67
; AccumOffset: 68
; Occupancy: 7
; WaveLimiterHint : 1
; COMPUTE_PGM_RSRC2:SCRATCH_EN: 0
; COMPUTE_PGM_RSRC2:USER_SGPR: 2
; COMPUTE_PGM_RSRC2:TRAP_HANDLER: 0
; COMPUTE_PGM_RSRC2:TGID_X_EN: 1
; COMPUTE_PGM_RSRC2:TGID_Y_EN: 0
; COMPUTE_PGM_RSRC2:TGID_Z_EN: 0
; COMPUTE_PGM_RSRC2:TIDIG_COMP_CNT: 0
; COMPUTE_PGM_RSRC3_GFX90A:ACCUM_OFFSET: 16
; COMPUTE_PGM_RSRC3_GFX90A:TG_SPLIT: 0
	.section	.text._Z17sort_pairs_kernelIhLj256ELj4EN10test_utils4lessELj10EEvPKT_PS2_T2_,"axG",@progbits,_Z17sort_pairs_kernelIhLj256ELj4EN10test_utils4lessELj10EEvPKT_PS2_T2_,comdat
	.protected	_Z17sort_pairs_kernelIhLj256ELj4EN10test_utils4lessELj10EEvPKT_PS2_T2_ ; -- Begin function _Z17sort_pairs_kernelIhLj256ELj4EN10test_utils4lessELj10EEvPKT_PS2_T2_
	.globl	_Z17sort_pairs_kernelIhLj256ELj4EN10test_utils4lessELj10EEvPKT_PS2_T2_
	.p2align	8
	.type	_Z17sort_pairs_kernelIhLj256ELj4EN10test_utils4lessELj10EEvPKT_PS2_T2_,@function
_Z17sort_pairs_kernelIhLj256ELj4EN10test_utils4lessELj10EEvPKT_PS2_T2_: ; @_Z17sort_pairs_kernelIhLj256ELj4EN10test_utils4lessELj10EEvPKT_PS2_T2_
; %bb.0:
	s_load_dwordx4 s[36:39], s[0:1], 0x0
	s_lshl_b32 s33, s2, 10
	v_lshlrev_b32_e32 v2, 2, v0
	v_and_b32_e32 v3, 0x3f8, v2
	v_and_b32_e32 v5, 0x3f0, v2
	s_waitcnt lgkmcnt(0)
	s_add_u32 s0, s36, s33
	s_addc_u32 s1, s37, 0
	global_load_ubyte v42, v0, s[0:1] offset:256
	global_load_ubyte v43, v0, s[0:1] offset:768
	global_load_ubyte v44, v0, s[0:1]
	global_load_ubyte v45, v0, s[0:1] offset:512
	v_or_b32_e32 v15, 4, v3
	v_add_u32_e32 v16, 8, v3
	v_and_b32_e32 v4, 4, v2
	v_and_b32_e32 v7, 0x3e0, v2
	v_or_b32_e32 v17, 8, v5
	v_add_u32_e32 v18, 16, v5
	v_sub_u32_e32 v37, v16, v15
	v_and_b32_e32 v6, 12, v2
	v_and_b32_e32 v9, 0x3c0, v2
	v_or_b32_e32 v19, 16, v7
	v_add_u32_e32 v20, 32, v7
	v_sub_u32_e32 v38, v18, v17
	v_sub_u32_e32 v46, v4, v37
	v_cmp_ge_i32_e32 vcc, v4, v37
	v_and_b32_e32 v8, 28, v2
	v_and_b32_e32 v11, 0x380, v2
	v_or_b32_e32 v21, 32, v9
	v_add_u32_e32 v22, 64, v9
	v_sub_u32_e32 v39, v20, v19
	v_sub_u32_e32 v47, v6, v38
	v_cndmask_b32_e32 v37, 0, v46, vcc
	v_cmp_ge_i32_e32 vcc, v6, v38
	v_and_b32_e32 v10, 60, v2
	v_or_b32_e32 v23, 64, v11
	v_add_u32_e32 v24, 0x80, v11
	v_sub_u32_e32 v40, v22, v21
	v_sub_u32_e32 v48, v8, v39
	v_cndmask_b32_e32 v38, 0, v47, vcc
	v_cmp_ge_i32_e32 vcc, v8, v39
	s_movk_i32 s8, 0x100
	v_and_b32_e32 v12, 0x7c, v2
	v_and_b32_e32 v13, 0x300, v2
	v_sub_u32_e32 v41, v24, v23
	v_sub_u32_e32 v49, v10, v40
	v_cndmask_b32_e32 v39, 0, v48, vcc
	v_cmp_ge_i32_e32 vcc, v10, v40
	v_or_b32_e32 v25, 0x80, v13
	v_add_u32_e32 v26, 0x100, v13
	v_sub_u32_e32 v50, v12, v41
	v_cndmask_b32_e32 v40, 0, v49, vcc
	v_cmp_ge_i32_e32 vcc, v12, v41
	v_and_b32_e32 v14, 0xfc, v2
	v_sub_u32_e32 v32, v15, v3
	v_cndmask_b32_e32 v41, 0, v50, vcc
	v_sub_u32_e32 v33, v17, v5
	v_sub_u32_e32 v34, v19, v7
	;; [unrolled: 1-line block ×4, first 2 shown]
	v_min_i32_e32 v32, v4, v32
	v_min_i32_e32 v33, v6, v33
	;; [unrolled: 1-line block ×6, first 2 shown]
	s_mov_b32 s36, 0
	v_mov_b32_e32 v1, 0
	s_mov_b32 s37, 0xffff
	v_add_u32_e32 v27, v15, v4
	v_add_u32_e32 v28, v17, v6
	;; [unrolled: 1-line block ×5, first 2 shown]
	v_cmp_lt_i32_e32 vcc, v37, v32
	v_cmp_lt_i32_e64 s[0:1], v38, v33
	v_cmp_lt_i32_e64 s[2:3], v39, v34
	;; [unrolled: 1-line block ×4, first 2 shown]
	v_add_u32_e32 v55, 0x200, v2
	s_mov_b32 s40, 0x7060405
	s_mov_b32 s41, 0xc0c0001
	s_movk_i32 s42, 0xff00
	s_mov_b32 s43, 0xffff0000
	s_mov_b32 s44, 0x7050604
	s_movk_i32 s45, 0x400
	s_waitcnt vmcnt(3)
	v_lshlrev_b16_e32 v42, 8, v42
	s_waitcnt vmcnt(2)
	v_lshlrev_b16_e32 v43, 8, v43
	s_waitcnt vmcnt(1)
	v_add_u16_e32 v46, 1, v44
	s_waitcnt vmcnt(0)
	v_add_u16_e32 v47, 1, v45
	v_or_b32_e32 v44, v44, v42
	v_or_b32_sdwa v45, v45, v43 dst_sel:WORD_1 dst_unused:UNUSED_PAD src0_sel:DWORD src1_sel:DWORD
	v_or_b32_sdwa v42, v42, v46 dst_sel:DWORD dst_unused:UNUSED_PAD src0_sel:DWORD src1_sel:BYTE_0
	v_or_b32_sdwa v43, v43, v47 dst_sel:DWORD dst_unused:UNUSED_PAD src0_sel:DWORD src1_sel:BYTE_0
	v_and_b32_e32 v46, 0x200, v2
	v_add_u16_e32 v42, 0x100, v42
	v_add_u16_sdwa v43, v43, s8 dst_sel:WORD_1 dst_unused:UNUSED_PAD src0_sel:DWORD src1_sel:DWORD
	v_or_b32_e32 v48, 0x100, v46
	v_add_u32_e32 v49, 0x200, v46
	v_or_b32_e32 v56, v42, v43
	v_sub_u32_e32 v42, v26, v25
	v_and_b32_e32 v47, 0x1fc, v2
	v_sub_u32_e32 v50, v49, v48
	v_or_b32_sdwa v57, v44, v45 dst_sel:DWORD dst_unused:UNUSED_PAD src0_sel:WORD_0 src1_sel:DWORD
	v_sub_u32_e32 v43, v25, v13
	v_sub_u32_e32 v44, v14, v42
	v_cmp_ge_i32_e64 s[8:9], v14, v42
	v_mov_b32_e32 v45, 0x200
	v_sub_u32_e32 v51, v48, v46
	v_sub_u32_e32 v52, v47, v50
	v_cmp_ge_i32_e64 s[10:11], v47, v50
	v_cndmask_b32_e64 v42, 0, v44, s[8:9]
	v_min_i32_e32 v43, v14, v43
	v_cndmask_b32_e64 v50, 0, v52, s[10:11]
	v_min_i32_e32 v51, v47, v51
	v_sub_u32_e64 v53, v2, v45 clamp
	v_cmp_lt_i32_e64 s[8:9], v42, v43
	v_add_u32_e32 v44, v25, v14
	v_cmp_lt_i32_e64 s[10:11], v50, v51
	v_add_u32_e32 v52, v48, v47
	v_cmp_lt_i32_e64 s[12:13], v53, v54
	s_branch .LBB107_2
.LBB107_1:                              ;   in Loop: Header=BB107_2 Depth=1
	s_or_b64 exec, exec, s[20:21]
	v_cndmask_b32_e64 v62, v62, v63, s[14:15]
	v_cndmask_b32_e64 v63, v65, v64, s[16:17]
	;; [unrolled: 1-line block ×4, first 2 shown]
	v_cmp_ge_i32_e64 s[16:17], v71, v45
	s_waitcnt lgkmcnt(0)
	v_cmp_lt_u16_sdwa s[18:19], v75, v72 src0_sel:BYTE_0 src1_sel:BYTE_0
	v_cndmask_b32_e64 v61, v60, v61, s[14:15]
	v_cmp_gt_i32_e64 s[14:15], s45, v70
	s_or_b64 s[16:17], s[16:17], s[18:19]
	s_and_b64 s[14:15], s[14:15], s[16:17]
	v_cndmask_b32_e64 v67, v71, v70, s[14:15]
	s_barrier
	ds_write_b8 v2, v57
	ds_write_b8 v2, v58 offset:1
	ds_write_b8 v2, v59 offset:2
	;; [unrolled: 1-line block ×3, first 2 shown]
	s_waitcnt lgkmcnt(0)
	s_barrier
	ds_read_u8 v58, v73
	ds_read_u8 v59, v67
	;; [unrolled: 1-line block ×4, first 2 shown]
	v_cndmask_b32_e64 v60, v72, v75, s[14:15]
	v_lshlrev_b16_e32 v66, 8, v63
	v_lshlrev_b16_e32 v57, 8, v60
	v_or_b32_sdwa v56, v62, v66 dst_sel:DWORD dst_unused:UNUSED_PAD src0_sel:BYTE_0 src1_sel:DWORD
	v_or_b32_sdwa v57, v64, v57 dst_sel:WORD_1 dst_unused:UNUSED_PAD src0_sel:BYTE_0 src1_sel:DWORD
	s_waitcnt lgkmcnt(2)
	v_lshlrev_b16_e32 v66, 8, v59
	v_or_b32_sdwa v57, v56, v57 dst_sel:DWORD dst_unused:UNUSED_PAD src0_sel:WORD_0 src1_sel:DWORD
	s_waitcnt lgkmcnt(0)
	v_lshlrev_b16_e32 v56, 8, v65
	v_or_b32_e32 v56, v61, v56
	v_or_b32_sdwa v66, v58, v66 dst_sel:WORD_1 dst_unused:UNUSED_PAD src0_sel:DWORD src1_sel:DWORD
	s_add_i32 s36, s36, 1
	s_cmp_eq_u32 s36, 10
	v_or_b32_sdwa v56, v56, v66 dst_sel:DWORD dst_unused:UNUSED_PAD src0_sel:WORD_0 src1_sel:DWORD
	s_cbranch_scc1 .LBB107_130
.LBB107_2:                              ; =>This Loop Header: Depth=1
                                        ;     Child Loop BB107_4 Depth 2
                                        ;     Child Loop BB107_20 Depth 2
	;; [unrolled: 1-line block ×8, first 2 shown]
	v_lshrrev_b32_e32 v59, 8, v57
	v_perm_b32 v58, v57, v57, s40
	v_cmp_lt_u16_sdwa s[14:15], v59, v57 src0_sel:BYTE_0 src1_sel:BYTE_0
	s_barrier
	s_nop 0
	v_cndmask_b32_e64 v57, v57, v58, s[14:15]
	v_lshrrev_b32_e32 v58, 16, v57
	v_perm_b32 v59, 0, v58, s41
	v_lshlrev_b32_e32 v59, 16, v59
	v_and_or_b32 v59, v57, s37, v59
	v_cmp_lt_u16_sdwa s[16:17], v57, v58 src0_sel:BYTE_3 src1_sel:BYTE_0
	s_nop 1
	v_cndmask_b32_e64 v59, v57, v59, s[16:17]
	v_min_u16_sdwa v57, v57, v58 dst_sel:DWORD dst_unused:UNUSED_PAD src0_sel:BYTE_3 src1_sel:BYTE_0
	v_and_b32_sdwa v60, v59, s42 dst_sel:DWORD dst_unused:UNUSED_PAD src0_sel:WORD_1 src1_sel:DWORD
	v_lshlrev_b16_e32 v61, 8, v57
	v_or_b32_sdwa v60, v59, v60 dst_sel:WORD_1 dst_unused:UNUSED_PAD src0_sel:BYTE_1 src1_sel:DWORD
	v_lshrrev_b32_e32 v58, 8, v59
	v_or_b32_sdwa v61, v59, v61 dst_sel:DWORD dst_unused:UNUSED_PAD src0_sel:BYTE_0 src1_sel:DWORD
	v_or_b32_sdwa v60, v61, v60 dst_sel:DWORD dst_unused:UNUSED_PAD src0_sel:WORD_0 src1_sel:DWORD
	v_cmp_lt_u16_sdwa s[18:19], v57, v58 src0_sel:DWORD src1_sel:BYTE_0
	v_min_u16_sdwa v57, v57, v58 dst_sel:DWORD dst_unused:UNUSED_PAD src0_sel:DWORD src1_sel:BYTE_0
	s_nop 0
	v_cndmask_b32_e64 v59, v59, v60, s[18:19]
	v_lshlrev_b16_e32 v60, 8, v59
	v_or_b32_e32 v58, v57, v60
	v_and_b32_e32 v58, 0xffff, v58
	v_and_or_b32 v58, v59, s43, v58
	v_cmp_lt_u16_sdwa s[20:21], v57, v59 src0_sel:DWORD src1_sel:BYTE_0
	s_nop 1
	v_cndmask_b32_e64 v57, v59, v58, s[20:21]
	v_lshrrev_b32_e32 v58, 16, v57
	v_perm_b32 v59, 0, v58, s41
	v_lshlrev_b32_e32 v59, 16, v59
	v_and_or_b32 v59, v57, s37, v59
	v_cmp_lt_u16_sdwa s[22:23], v57, v58 src0_sel:BYTE_3 src1_sel:BYTE_0
	s_nop 1
	v_cndmask_b32_e64 v59, v57, v59, s[22:23]
	v_min_u16_sdwa v57, v57, v58 dst_sel:DWORD dst_unused:UNUSED_PAD src0_sel:BYTE_3 src1_sel:BYTE_0
	v_and_b32_sdwa v60, v59, s42 dst_sel:DWORD dst_unused:UNUSED_PAD src0_sel:WORD_1 src1_sel:DWORD
	v_lshlrev_b16_e32 v61, 8, v57
	v_or_b32_sdwa v60, v59, v60 dst_sel:WORD_1 dst_unused:UNUSED_PAD src0_sel:BYTE_1 src1_sel:DWORD
	v_lshrrev_b32_e32 v58, 8, v59
	v_or_b32_sdwa v61, v59, v61 dst_sel:DWORD dst_unused:UNUSED_PAD src0_sel:BYTE_0 src1_sel:DWORD
	v_or_b32_sdwa v60, v61, v60 dst_sel:DWORD dst_unused:UNUSED_PAD src0_sel:WORD_0 src1_sel:DWORD
	v_cmp_lt_u16_sdwa s[24:25], v57, v58 src0_sel:DWORD src1_sel:BYTE_0
	v_mov_b32_e32 v58, v37
	s_nop 0
	v_cndmask_b32_e64 v57, v59, v60, s[24:25]
	ds_write_b32 v2, v57
	s_waitcnt lgkmcnt(0)
	s_barrier
	s_and_saveexec_b64 s[28:29], vcc
	s_cbranch_execz .LBB107_6
; %bb.3:                                ;   in Loop: Header=BB107_2 Depth=1
	s_mov_b64 s[30:31], 0
	v_mov_b32_e32 v58, v37
	v_mov_b32_e32 v57, v32
.LBB107_4:                              ;   Parent Loop BB107_2 Depth=1
                                        ; =>  This Inner Loop Header: Depth=2
	v_sub_u32_e32 v59, v57, v58
	v_lshrrev_b32_e32 v60, 31, v59
	v_add_u32_e32 v59, v59, v60
	v_ashrrev_i32_e32 v59, 1, v59
	v_add_u32_e32 v59, v59, v58
	v_not_b32_e32 v61, v59
	v_add_u32_e32 v60, v3, v59
	v_add3_u32 v61, v4, v61, v15
	ds_read_u8 v60, v60
	ds_read_u8 v61, v61
	v_add_u32_e32 v62, 1, v59
	s_waitcnt lgkmcnt(0)
	v_cmp_lt_u16_e64 s[26:27], v61, v60
	s_nop 1
	v_cndmask_b32_e64 v57, v57, v59, s[26:27]
	v_cndmask_b32_e64 v58, v62, v58, s[26:27]
	v_cmp_ge_i32_e64 s[26:27], v58, v57
	s_or_b64 s[30:31], s[26:27], s[30:31]
	s_andn2_b64 exec, exec, s[30:31]
	s_cbranch_execnz .LBB107_4
; %bb.5:                                ;   in Loop: Header=BB107_2 Depth=1
	s_or_b64 exec, exec, s[30:31]
.LBB107_6:                              ;   in Loop: Header=BB107_2 Depth=1
	s_or_b64 exec, exec, s[28:29]
	v_add_u32_e32 v57, v58, v3
	v_sub_u32_e32 v58, v27, v58
	ds_read_u8 v59, v57
	ds_read_u8 v60, v58
	v_cmp_le_i32_e64 s[28:29], v15, v57
	v_cmp_gt_i32_e64 s[26:27], v16, v58
                                        ; implicit-def: $vgpr61
                                        ; implicit-def: $vgpr62
	s_waitcnt lgkmcnt(0)
	v_cmp_lt_u16_sdwa s[30:31], v60, v59 src0_sel:BYTE_0 src1_sel:BYTE_0
	s_or_b64 s[28:29], s[28:29], s[30:31]
	s_and_b64 s[26:27], s[26:27], s[28:29]
	s_xor_b64 s[28:29], s[26:27], -1
	s_and_saveexec_b64 s[30:31], s[28:29]
	s_xor_b64 s[28:29], exec, s[30:31]
	s_cbranch_execz .LBB107_8
; %bb.7:                                ;   in Loop: Header=BB107_2 Depth=1
	ds_read_u8 v62, v57 offset:1
	v_mov_b32_e32 v61, v60
.LBB107_8:                              ;   in Loop: Header=BB107_2 Depth=1
	s_andn2_saveexec_b64 s[28:29], s[28:29]
	s_cbranch_execz .LBB107_10
; %bb.9:                                ;   in Loop: Header=BB107_2 Depth=1
	ds_read_u8 v61, v58 offset:1
	s_waitcnt lgkmcnt(1)
	v_mov_b32_e32 v62, v59
.LBB107_10:                             ;   in Loop: Header=BB107_2 Depth=1
	s_or_b64 exec, exec, s[28:29]
	v_add_u32_e32 v64, 1, v57
	v_add_u32_e32 v63, 1, v58
	v_cndmask_b32_e64 v64, v64, v57, s[26:27]
	v_cndmask_b32_e64 v63, v58, v63, s[26:27]
	v_cmp_ge_i32_e64 s[30:31], v64, v15
	s_waitcnt lgkmcnt(0)
	v_cmp_lt_u16_sdwa s[34:35], v61, v62 src0_sel:BYTE_0 src1_sel:BYTE_0
	v_cmp_lt_i32_e64 s[28:29], v63, v16
	s_or_b64 s[30:31], s[30:31], s[34:35]
	s_and_b64 s[28:29], s[28:29], s[30:31]
	s_xor_b64 s[30:31], s[28:29], -1
                                        ; implicit-def: $vgpr65
	s_and_saveexec_b64 s[34:35], s[30:31]
	s_xor_b64 s[30:31], exec, s[34:35]
	s_cbranch_execz .LBB107_12
; %bb.11:                               ;   in Loop: Header=BB107_2 Depth=1
	ds_read_u8 v65, v64 offset:1
.LBB107_12:                             ;   in Loop: Header=BB107_2 Depth=1
	s_or_saveexec_b64 s[30:31], s[30:31]
	v_mov_b32_e32 v67, v61
	s_xor_b64 exec, exec, s[30:31]
	s_cbranch_execz .LBB107_14
; %bb.13:                               ;   in Loop: Header=BB107_2 Depth=1
	ds_read_u8 v67, v63 offset:1
	s_waitcnt lgkmcnt(1)
	v_mov_b32_e32 v65, v62
.LBB107_14:                             ;   in Loop: Header=BB107_2 Depth=1
	s_or_b64 exec, exec, s[30:31]
	v_add_u32_e32 v69, 1, v64
	v_add_u32_e32 v66, 1, v63
	v_cndmask_b32_e64 v70, v69, v64, s[28:29]
	v_cndmask_b32_e64 v68, v63, v66, s[28:29]
	v_cmp_ge_i32_e64 s[34:35], v70, v15
	s_waitcnt lgkmcnt(0)
	v_cmp_lt_u16_sdwa s[46:47], v67, v65 src0_sel:BYTE_0 src1_sel:BYTE_0
	v_cmp_lt_i32_e64 s[30:31], v68, v16
	s_or_b64 s[34:35], s[34:35], s[46:47]
	s_and_b64 s[30:31], s[30:31], s[34:35]
	s_xor_b64 s[34:35], s[30:31], -1
                                        ; implicit-def: $vgpr66
	s_and_saveexec_b64 s[46:47], s[34:35]
	s_xor_b64 s[34:35], exec, s[46:47]
	s_cbranch_execz .LBB107_16
; %bb.15:                               ;   in Loop: Header=BB107_2 Depth=1
	ds_read_u8 v66, v70 offset:1
.LBB107_16:                             ;   in Loop: Header=BB107_2 Depth=1
	s_or_saveexec_b64 s[34:35], s[34:35]
	v_mov_b32_e32 v69, v67
	s_xor_b64 exec, exec, s[34:35]
	s_cbranch_execz .LBB107_18
; %bb.17:                               ;   in Loop: Header=BB107_2 Depth=1
	ds_read_u8 v69, v68 offset:1
	s_waitcnt lgkmcnt(1)
	v_mov_b32_e32 v66, v65
.LBB107_18:                             ;   in Loop: Header=BB107_2 Depth=1
	s_or_b64 exec, exec, s[34:35]
	v_perm_b32 v71, v56, v56, s40
	v_cndmask_b32_e64 v56, v56, v71, s[14:15]
	v_cndmask_b32_e64 v57, v57, v58, s[26:27]
	v_lshrrev_b32_e32 v58, 16, v56
	v_perm_b32 v58, 0, v58, s41
	v_lshlrev_b32_e32 v58, 16, v58
	v_and_or_b32 v58, v56, s37, v58
	v_cndmask_b32_e64 v56, v56, v58, s[16:17]
	v_perm_b32 v58, v56, v56, s44
	v_cndmask_b32_e64 v56, v56, v58, s[18:19]
	v_perm_b32 v58, 0, v56, s41
	v_and_or_b32 v58, v56, s43, v58
	v_cndmask_b32_e64 v56, v56, v58, s[20:21]
	v_lshrrev_b32_e32 v58, 16, v56
	v_add_u32_e32 v72, 1, v70
	v_perm_b32 v58, 0, v58, s41
	v_cndmask_b32_e64 v65, v65, v67, s[30:31]
	v_add_u32_e32 v67, 1, v68
	v_cndmask_b32_e64 v72, v72, v70, s[30:31]
	v_lshlrev_b32_e32 v58, 16, v58
	v_cndmask_b32_e64 v67, v68, v67, s[30:31]
	v_and_or_b32 v58, v56, s37, v58
	v_cmp_ge_i32_e64 s[16:17], v72, v15
	s_waitcnt lgkmcnt(0)
	v_cmp_lt_u16_sdwa s[18:19], v69, v66 src0_sel:BYTE_0 src1_sel:BYTE_0
	v_cndmask_b32_e64 v56, v56, v58, s[22:23]
	v_cmp_lt_i32_e64 s[14:15], v67, v16
	s_or_b64 s[16:17], s[16:17], s[18:19]
	v_perm_b32 v58, v56, v56, s44
	s_and_b64 s[14:15], s[14:15], s[16:17]
	v_cndmask_b32_e64 v56, v56, v58, s[24:25]
	v_cndmask_b32_e64 v58, v72, v67, s[14:15]
	;; [unrolled: 1-line block ×6, first 2 shown]
	s_barrier
	ds_write_b32 v2, v56
	s_waitcnt lgkmcnt(0)
	s_barrier
	ds_read_u8 v56, v58
	ds_read_u8 v57, v57
	;; [unrolled: 1-line block ×4, first 2 shown]
	v_cndmask_b32_e64 v63, v66, v69, s[14:15]
	s_waitcnt lgkmcnt(0)
	s_barrier
	ds_write_b8 v2, v60
	ds_write_b8 v2, v61 offset:1
	ds_write_b8 v2, v65 offset:2
	;; [unrolled: 1-line block ×3, first 2 shown]
	v_mov_b32_e32 v61, v38
	s_waitcnt lgkmcnt(0)
	s_barrier
	s_and_saveexec_b64 s[16:17], s[0:1]
	s_cbranch_execz .LBB107_22
; %bb.19:                               ;   in Loop: Header=BB107_2 Depth=1
	s_mov_b64 s[18:19], 0
	v_mov_b32_e32 v61, v38
	v_mov_b32_e32 v60, v33
.LBB107_20:                             ;   Parent Loop BB107_2 Depth=1
                                        ; =>  This Inner Loop Header: Depth=2
	v_sub_u32_e32 v62, v60, v61
	v_lshrrev_b32_e32 v63, 31, v62
	v_add_u32_e32 v62, v62, v63
	v_ashrrev_i32_e32 v62, 1, v62
	v_add_u32_e32 v62, v62, v61
	v_not_b32_e32 v64, v62
	v_add_u32_e32 v63, v5, v62
	v_add3_u32 v64, v6, v64, v17
	ds_read_u8 v63, v63
	ds_read_u8 v64, v64
	v_add_u32_e32 v65, 1, v62
	s_waitcnt lgkmcnt(0)
	v_cmp_lt_u16_e64 s[14:15], v64, v63
	s_nop 1
	v_cndmask_b32_e64 v60, v60, v62, s[14:15]
	v_cndmask_b32_e64 v61, v65, v61, s[14:15]
	v_cmp_ge_i32_e64 s[14:15], v61, v60
	s_or_b64 s[18:19], s[14:15], s[18:19]
	s_andn2_b64 exec, exec, s[18:19]
	s_cbranch_execnz .LBB107_20
; %bb.21:                               ;   in Loop: Header=BB107_2 Depth=1
	s_or_b64 exec, exec, s[18:19]
.LBB107_22:                             ;   in Loop: Header=BB107_2 Depth=1
	s_or_b64 exec, exec, s[16:17]
	v_add_u32_e32 v60, v61, v5
	v_sub_u32_e32 v61, v28, v61
	ds_read_u8 v62, v60
	ds_read_u8 v63, v61
	v_cmp_le_i32_e64 s[16:17], v17, v60
	v_cmp_gt_i32_e64 s[14:15], v18, v61
                                        ; implicit-def: $vgpr64
                                        ; implicit-def: $vgpr65
	s_waitcnt lgkmcnt(0)
	v_cmp_lt_u16_sdwa s[18:19], v63, v62 src0_sel:BYTE_0 src1_sel:BYTE_0
	s_or_b64 s[16:17], s[16:17], s[18:19]
	s_and_b64 s[14:15], s[14:15], s[16:17]
	s_xor_b64 s[16:17], s[14:15], -1
	s_and_saveexec_b64 s[18:19], s[16:17]
	s_xor_b64 s[16:17], exec, s[18:19]
	s_cbranch_execz .LBB107_24
; %bb.23:                               ;   in Loop: Header=BB107_2 Depth=1
	ds_read_u8 v65, v60 offset:1
	v_mov_b32_e32 v64, v63
.LBB107_24:                             ;   in Loop: Header=BB107_2 Depth=1
	s_andn2_saveexec_b64 s[16:17], s[16:17]
	s_cbranch_execz .LBB107_26
; %bb.25:                               ;   in Loop: Header=BB107_2 Depth=1
	ds_read_u8 v64, v61 offset:1
	s_waitcnt lgkmcnt(1)
	v_mov_b32_e32 v65, v62
.LBB107_26:                             ;   in Loop: Header=BB107_2 Depth=1
	s_or_b64 exec, exec, s[16:17]
	v_add_u32_e32 v67, 1, v60
	v_add_u32_e32 v66, 1, v61
	v_cndmask_b32_e64 v67, v67, v60, s[14:15]
	v_cndmask_b32_e64 v66, v61, v66, s[14:15]
	v_cmp_ge_i32_e64 s[18:19], v67, v17
	s_waitcnt lgkmcnt(0)
	v_cmp_lt_u16_sdwa s[20:21], v64, v65 src0_sel:BYTE_0 src1_sel:BYTE_0
	v_cmp_lt_i32_e64 s[16:17], v66, v18
	s_or_b64 s[18:19], s[18:19], s[20:21]
	s_and_b64 s[16:17], s[16:17], s[18:19]
	s_xor_b64 s[18:19], s[16:17], -1
                                        ; implicit-def: $vgpr68
	s_and_saveexec_b64 s[20:21], s[18:19]
	s_xor_b64 s[18:19], exec, s[20:21]
	s_cbranch_execz .LBB107_28
; %bb.27:                               ;   in Loop: Header=BB107_2 Depth=1
	ds_read_u8 v68, v67 offset:1
.LBB107_28:                             ;   in Loop: Header=BB107_2 Depth=1
	s_or_saveexec_b64 s[18:19], s[18:19]
	v_mov_b32_e32 v69, v64
	s_xor_b64 exec, exec, s[18:19]
	s_cbranch_execz .LBB107_30
; %bb.29:                               ;   in Loop: Header=BB107_2 Depth=1
	ds_read_u8 v69, v66 offset:1
	s_waitcnt lgkmcnt(1)
	v_mov_b32_e32 v68, v65
.LBB107_30:                             ;   in Loop: Header=BB107_2 Depth=1
	s_or_b64 exec, exec, s[18:19]
	v_add_u32_e32 v71, 1, v67
	v_add_u32_e32 v70, 1, v66
	v_cndmask_b32_e64 v71, v71, v67, s[16:17]
	v_cndmask_b32_e64 v70, v66, v70, s[16:17]
	v_cmp_ge_i32_e64 s[20:21], v71, v17
	s_waitcnt lgkmcnt(0)
	v_cmp_lt_u16_sdwa s[22:23], v69, v68 src0_sel:BYTE_0 src1_sel:BYTE_0
	v_cmp_lt_i32_e64 s[18:19], v70, v18
	s_or_b64 s[20:21], s[20:21], s[22:23]
	s_and_b64 s[18:19], s[18:19], s[20:21]
	s_xor_b64 s[20:21], s[18:19], -1
                                        ; implicit-def: $vgpr72
	s_and_saveexec_b64 s[22:23], s[20:21]
	s_xor_b64 s[20:21], exec, s[22:23]
	s_cbranch_execz .LBB107_32
; %bb.31:                               ;   in Loop: Header=BB107_2 Depth=1
	ds_read_u8 v72, v71 offset:1
.LBB107_32:                             ;   in Loop: Header=BB107_2 Depth=1
	s_or_saveexec_b64 s[20:21], s[20:21]
	v_mov_b32_e32 v73, v69
	s_xor_b64 exec, exec, s[20:21]
	s_cbranch_execz .LBB107_34
; %bb.33:                               ;   in Loop: Header=BB107_2 Depth=1
	ds_read_u8 v73, v70 offset:1
	s_waitcnt lgkmcnt(1)
	v_mov_b32_e32 v72, v68
.LBB107_34:                             ;   in Loop: Header=BB107_2 Depth=1
	s_or_b64 exec, exec, s[20:21]
	v_add_u32_e32 v74, 1, v71
	v_cndmask_b32_e64 v68, v68, v69, s[18:19]
	v_add_u32_e32 v69, 1, v70
	v_cndmask_b32_e64 v74, v74, v71, s[18:19]
	v_cndmask_b32_e64 v69, v70, v69, s[18:19]
	;; [unrolled: 1-line block ×5, first 2 shown]
	v_cmp_ge_i32_e64 s[16:17], v74, v17
	s_waitcnt lgkmcnt(0)
	v_cmp_lt_u16_sdwa s[18:19], v73, v72 src0_sel:BYTE_0 src1_sel:BYTE_0
	v_cndmask_b32_e64 v62, v62, v63, s[14:15]
	v_cndmask_b32_e64 v60, v60, v61, s[14:15]
	v_cmp_lt_i32_e64 s[14:15], v69, v18
	s_or_b64 s[16:17], s[16:17], s[18:19]
	s_and_b64 s[14:15], s[14:15], s[16:17]
	v_cndmask_b32_e64 v63, v74, v69, s[14:15]
	s_barrier
	ds_write_b8 v2, v57
	ds_write_b8 v2, v58 offset:1
	ds_write_b8 v2, v59 offset:2
	;; [unrolled: 1-line block ×3, first 2 shown]
	s_waitcnt lgkmcnt(0)
	s_barrier
	ds_read_u8 v56, v63
	ds_read_u8 v57, v60
	;; [unrolled: 1-line block ×4, first 2 shown]
	v_cndmask_b32_e64 v61, v72, v73, s[14:15]
	s_waitcnt lgkmcnt(0)
	s_barrier
	ds_write_b8 v2, v62
	ds_write_b8 v2, v64 offset:1
	ds_write_b8 v2, v68 offset:2
	;; [unrolled: 1-line block ×3, first 2 shown]
	v_mov_b32_e32 v61, v39
	s_waitcnt lgkmcnt(0)
	s_barrier
	s_and_saveexec_b64 s[16:17], s[2:3]
	s_cbranch_execz .LBB107_38
; %bb.35:                               ;   in Loop: Header=BB107_2 Depth=1
	s_mov_b64 s[18:19], 0
	v_mov_b32_e32 v61, v39
	v_mov_b32_e32 v60, v34
.LBB107_36:                             ;   Parent Loop BB107_2 Depth=1
                                        ; =>  This Inner Loop Header: Depth=2
	v_sub_u32_e32 v62, v60, v61
	v_lshrrev_b32_e32 v63, 31, v62
	v_add_u32_e32 v62, v62, v63
	v_ashrrev_i32_e32 v62, 1, v62
	v_add_u32_e32 v62, v62, v61
	v_not_b32_e32 v64, v62
	v_add_u32_e32 v63, v7, v62
	v_add3_u32 v64, v8, v64, v19
	ds_read_u8 v63, v63
	ds_read_u8 v64, v64
	v_add_u32_e32 v65, 1, v62
	s_waitcnt lgkmcnt(0)
	v_cmp_lt_u16_e64 s[14:15], v64, v63
	s_nop 1
	v_cndmask_b32_e64 v60, v60, v62, s[14:15]
	v_cndmask_b32_e64 v61, v65, v61, s[14:15]
	v_cmp_ge_i32_e64 s[14:15], v61, v60
	s_or_b64 s[18:19], s[14:15], s[18:19]
	s_andn2_b64 exec, exec, s[18:19]
	s_cbranch_execnz .LBB107_36
; %bb.37:                               ;   in Loop: Header=BB107_2 Depth=1
	s_or_b64 exec, exec, s[18:19]
.LBB107_38:                             ;   in Loop: Header=BB107_2 Depth=1
	s_or_b64 exec, exec, s[16:17]
	v_add_u32_e32 v60, v61, v7
	v_sub_u32_e32 v61, v29, v61
	ds_read_u8 v62, v60
	ds_read_u8 v63, v61
	v_cmp_le_i32_e64 s[16:17], v19, v60
	v_cmp_gt_i32_e64 s[14:15], v20, v61
                                        ; implicit-def: $vgpr64
                                        ; implicit-def: $vgpr65
	s_waitcnt lgkmcnt(0)
	v_cmp_lt_u16_sdwa s[18:19], v63, v62 src0_sel:BYTE_0 src1_sel:BYTE_0
	s_or_b64 s[16:17], s[16:17], s[18:19]
	s_and_b64 s[14:15], s[14:15], s[16:17]
	s_xor_b64 s[16:17], s[14:15], -1
	s_and_saveexec_b64 s[18:19], s[16:17]
	s_xor_b64 s[16:17], exec, s[18:19]
	s_cbranch_execz .LBB107_40
; %bb.39:                               ;   in Loop: Header=BB107_2 Depth=1
	ds_read_u8 v65, v60 offset:1
	v_mov_b32_e32 v64, v63
.LBB107_40:                             ;   in Loop: Header=BB107_2 Depth=1
	s_andn2_saveexec_b64 s[16:17], s[16:17]
	s_cbranch_execz .LBB107_42
; %bb.41:                               ;   in Loop: Header=BB107_2 Depth=1
	ds_read_u8 v64, v61 offset:1
	s_waitcnt lgkmcnt(1)
	v_mov_b32_e32 v65, v62
.LBB107_42:                             ;   in Loop: Header=BB107_2 Depth=1
	s_or_b64 exec, exec, s[16:17]
	v_add_u32_e32 v67, 1, v60
	v_add_u32_e32 v66, 1, v61
	v_cndmask_b32_e64 v67, v67, v60, s[14:15]
	v_cndmask_b32_e64 v66, v61, v66, s[14:15]
	v_cmp_ge_i32_e64 s[18:19], v67, v19
	s_waitcnt lgkmcnt(0)
	v_cmp_lt_u16_sdwa s[20:21], v64, v65 src0_sel:BYTE_0 src1_sel:BYTE_0
	v_cmp_lt_i32_e64 s[16:17], v66, v20
	s_or_b64 s[18:19], s[18:19], s[20:21]
	s_and_b64 s[16:17], s[16:17], s[18:19]
	s_xor_b64 s[18:19], s[16:17], -1
                                        ; implicit-def: $vgpr68
	s_and_saveexec_b64 s[20:21], s[18:19]
	s_xor_b64 s[18:19], exec, s[20:21]
	s_cbranch_execz .LBB107_44
; %bb.43:                               ;   in Loop: Header=BB107_2 Depth=1
	ds_read_u8 v68, v67 offset:1
.LBB107_44:                             ;   in Loop: Header=BB107_2 Depth=1
	s_or_saveexec_b64 s[18:19], s[18:19]
	v_mov_b32_e32 v69, v64
	s_xor_b64 exec, exec, s[18:19]
	s_cbranch_execz .LBB107_46
; %bb.45:                               ;   in Loop: Header=BB107_2 Depth=1
	ds_read_u8 v69, v66 offset:1
	s_waitcnt lgkmcnt(1)
	v_mov_b32_e32 v68, v65
.LBB107_46:                             ;   in Loop: Header=BB107_2 Depth=1
	s_or_b64 exec, exec, s[18:19]
	v_add_u32_e32 v71, 1, v67
	v_add_u32_e32 v70, 1, v66
	v_cndmask_b32_e64 v71, v71, v67, s[16:17]
	v_cndmask_b32_e64 v70, v66, v70, s[16:17]
	v_cmp_ge_i32_e64 s[20:21], v71, v19
	s_waitcnt lgkmcnt(0)
	v_cmp_lt_u16_sdwa s[22:23], v69, v68 src0_sel:BYTE_0 src1_sel:BYTE_0
	v_cmp_lt_i32_e64 s[18:19], v70, v20
	s_or_b64 s[20:21], s[20:21], s[22:23]
	s_and_b64 s[18:19], s[18:19], s[20:21]
	s_xor_b64 s[20:21], s[18:19], -1
                                        ; implicit-def: $vgpr72
	s_and_saveexec_b64 s[22:23], s[20:21]
	s_xor_b64 s[20:21], exec, s[22:23]
	s_cbranch_execz .LBB107_48
; %bb.47:                               ;   in Loop: Header=BB107_2 Depth=1
	ds_read_u8 v72, v71 offset:1
.LBB107_48:                             ;   in Loop: Header=BB107_2 Depth=1
	s_or_saveexec_b64 s[20:21], s[20:21]
	v_mov_b32_e32 v73, v69
	s_xor_b64 exec, exec, s[20:21]
	s_cbranch_execz .LBB107_50
; %bb.49:                               ;   in Loop: Header=BB107_2 Depth=1
	ds_read_u8 v73, v70 offset:1
	s_waitcnt lgkmcnt(1)
	v_mov_b32_e32 v72, v68
.LBB107_50:                             ;   in Loop: Header=BB107_2 Depth=1
	s_or_b64 exec, exec, s[20:21]
	v_add_u32_e32 v74, 1, v71
	v_cndmask_b32_e64 v68, v68, v69, s[18:19]
	v_add_u32_e32 v69, 1, v70
	v_cndmask_b32_e64 v74, v74, v71, s[18:19]
	v_cndmask_b32_e64 v69, v70, v69, s[18:19]
	;; [unrolled: 1-line block ×5, first 2 shown]
	v_cmp_ge_i32_e64 s[16:17], v74, v19
	s_waitcnt lgkmcnt(0)
	v_cmp_lt_u16_sdwa s[18:19], v73, v72 src0_sel:BYTE_0 src1_sel:BYTE_0
	v_cndmask_b32_e64 v62, v62, v63, s[14:15]
	v_cndmask_b32_e64 v60, v60, v61, s[14:15]
	v_cmp_lt_i32_e64 s[14:15], v69, v20
	s_or_b64 s[16:17], s[16:17], s[18:19]
	s_and_b64 s[14:15], s[14:15], s[16:17]
	v_cndmask_b32_e64 v63, v74, v69, s[14:15]
	s_barrier
	ds_write_b8 v2, v57
	ds_write_b8 v2, v58 offset:1
	ds_write_b8 v2, v59 offset:2
	;; [unrolled: 1-line block ×3, first 2 shown]
	s_waitcnt lgkmcnt(0)
	s_barrier
	ds_read_u8 v56, v63
	ds_read_u8 v57, v60
	;; [unrolled: 1-line block ×4, first 2 shown]
	v_cndmask_b32_e64 v61, v72, v73, s[14:15]
	s_waitcnt lgkmcnt(0)
	s_barrier
	ds_write_b8 v2, v62
	ds_write_b8 v2, v64 offset:1
	ds_write_b8 v2, v68 offset:2
	;; [unrolled: 1-line block ×3, first 2 shown]
	v_mov_b32_e32 v61, v40
	s_waitcnt lgkmcnt(0)
	s_barrier
	s_and_saveexec_b64 s[16:17], s[4:5]
	s_cbranch_execz .LBB107_54
; %bb.51:                               ;   in Loop: Header=BB107_2 Depth=1
	s_mov_b64 s[18:19], 0
	v_mov_b32_e32 v61, v40
	v_mov_b32_e32 v60, v35
.LBB107_52:                             ;   Parent Loop BB107_2 Depth=1
                                        ; =>  This Inner Loop Header: Depth=2
	v_sub_u32_e32 v62, v60, v61
	v_lshrrev_b32_e32 v63, 31, v62
	v_add_u32_e32 v62, v62, v63
	v_ashrrev_i32_e32 v62, 1, v62
	v_add_u32_e32 v62, v62, v61
	v_not_b32_e32 v64, v62
	v_add_u32_e32 v63, v9, v62
	v_add3_u32 v64, v10, v64, v21
	ds_read_u8 v63, v63
	ds_read_u8 v64, v64
	v_add_u32_e32 v65, 1, v62
	s_waitcnt lgkmcnt(0)
	v_cmp_lt_u16_e64 s[14:15], v64, v63
	s_nop 1
	v_cndmask_b32_e64 v60, v60, v62, s[14:15]
	v_cndmask_b32_e64 v61, v65, v61, s[14:15]
	v_cmp_ge_i32_e64 s[14:15], v61, v60
	s_or_b64 s[18:19], s[14:15], s[18:19]
	s_andn2_b64 exec, exec, s[18:19]
	s_cbranch_execnz .LBB107_52
; %bb.53:                               ;   in Loop: Header=BB107_2 Depth=1
	s_or_b64 exec, exec, s[18:19]
.LBB107_54:                             ;   in Loop: Header=BB107_2 Depth=1
	s_or_b64 exec, exec, s[16:17]
	v_add_u32_e32 v60, v61, v9
	v_sub_u32_e32 v61, v30, v61
	ds_read_u8 v62, v60
	ds_read_u8 v63, v61
	v_cmp_le_i32_e64 s[16:17], v21, v60
	v_cmp_gt_i32_e64 s[14:15], v22, v61
                                        ; implicit-def: $vgpr64
                                        ; implicit-def: $vgpr65
	s_waitcnt lgkmcnt(0)
	v_cmp_lt_u16_sdwa s[18:19], v63, v62 src0_sel:BYTE_0 src1_sel:BYTE_0
	s_or_b64 s[16:17], s[16:17], s[18:19]
	s_and_b64 s[14:15], s[14:15], s[16:17]
	s_xor_b64 s[16:17], s[14:15], -1
	s_and_saveexec_b64 s[18:19], s[16:17]
	s_xor_b64 s[16:17], exec, s[18:19]
	s_cbranch_execz .LBB107_56
; %bb.55:                               ;   in Loop: Header=BB107_2 Depth=1
	ds_read_u8 v65, v60 offset:1
	v_mov_b32_e32 v64, v63
.LBB107_56:                             ;   in Loop: Header=BB107_2 Depth=1
	s_andn2_saveexec_b64 s[16:17], s[16:17]
	s_cbranch_execz .LBB107_58
; %bb.57:                               ;   in Loop: Header=BB107_2 Depth=1
	ds_read_u8 v64, v61 offset:1
	s_waitcnt lgkmcnt(1)
	v_mov_b32_e32 v65, v62
.LBB107_58:                             ;   in Loop: Header=BB107_2 Depth=1
	s_or_b64 exec, exec, s[16:17]
	v_add_u32_e32 v67, 1, v60
	v_add_u32_e32 v66, 1, v61
	v_cndmask_b32_e64 v67, v67, v60, s[14:15]
	v_cndmask_b32_e64 v66, v61, v66, s[14:15]
	v_cmp_ge_i32_e64 s[18:19], v67, v21
	s_waitcnt lgkmcnt(0)
	v_cmp_lt_u16_sdwa s[20:21], v64, v65 src0_sel:BYTE_0 src1_sel:BYTE_0
	v_cmp_lt_i32_e64 s[16:17], v66, v22
	s_or_b64 s[18:19], s[18:19], s[20:21]
	s_and_b64 s[16:17], s[16:17], s[18:19]
	s_xor_b64 s[18:19], s[16:17], -1
                                        ; implicit-def: $vgpr68
	s_and_saveexec_b64 s[20:21], s[18:19]
	s_xor_b64 s[18:19], exec, s[20:21]
	s_cbranch_execz .LBB107_60
; %bb.59:                               ;   in Loop: Header=BB107_2 Depth=1
	ds_read_u8 v68, v67 offset:1
.LBB107_60:                             ;   in Loop: Header=BB107_2 Depth=1
	s_or_saveexec_b64 s[18:19], s[18:19]
	v_mov_b32_e32 v69, v64
	s_xor_b64 exec, exec, s[18:19]
	s_cbranch_execz .LBB107_62
; %bb.61:                               ;   in Loop: Header=BB107_2 Depth=1
	ds_read_u8 v69, v66 offset:1
	s_waitcnt lgkmcnt(1)
	v_mov_b32_e32 v68, v65
.LBB107_62:                             ;   in Loop: Header=BB107_2 Depth=1
	s_or_b64 exec, exec, s[18:19]
	v_add_u32_e32 v71, 1, v67
	v_add_u32_e32 v70, 1, v66
	v_cndmask_b32_e64 v71, v71, v67, s[16:17]
	v_cndmask_b32_e64 v70, v66, v70, s[16:17]
	v_cmp_ge_i32_e64 s[20:21], v71, v21
	s_waitcnt lgkmcnt(0)
	v_cmp_lt_u16_sdwa s[22:23], v69, v68 src0_sel:BYTE_0 src1_sel:BYTE_0
	v_cmp_lt_i32_e64 s[18:19], v70, v22
	s_or_b64 s[20:21], s[20:21], s[22:23]
	s_and_b64 s[18:19], s[18:19], s[20:21]
	s_xor_b64 s[20:21], s[18:19], -1
                                        ; implicit-def: $vgpr72
	s_and_saveexec_b64 s[22:23], s[20:21]
	s_xor_b64 s[20:21], exec, s[22:23]
	s_cbranch_execz .LBB107_64
; %bb.63:                               ;   in Loop: Header=BB107_2 Depth=1
	ds_read_u8 v72, v71 offset:1
.LBB107_64:                             ;   in Loop: Header=BB107_2 Depth=1
	s_or_saveexec_b64 s[20:21], s[20:21]
	v_mov_b32_e32 v73, v69
	s_xor_b64 exec, exec, s[20:21]
	s_cbranch_execz .LBB107_66
; %bb.65:                               ;   in Loop: Header=BB107_2 Depth=1
	ds_read_u8 v73, v70 offset:1
	s_waitcnt lgkmcnt(1)
	v_mov_b32_e32 v72, v68
.LBB107_66:                             ;   in Loop: Header=BB107_2 Depth=1
	s_or_b64 exec, exec, s[20:21]
	v_add_u32_e32 v74, 1, v71
	v_cndmask_b32_e64 v68, v68, v69, s[18:19]
	v_add_u32_e32 v69, 1, v70
	v_cndmask_b32_e64 v74, v74, v71, s[18:19]
	v_cndmask_b32_e64 v69, v70, v69, s[18:19]
	;; [unrolled: 1-line block ×5, first 2 shown]
	v_cmp_ge_i32_e64 s[16:17], v74, v21
	s_waitcnt lgkmcnt(0)
	v_cmp_lt_u16_sdwa s[18:19], v73, v72 src0_sel:BYTE_0 src1_sel:BYTE_0
	v_cndmask_b32_e64 v62, v62, v63, s[14:15]
	v_cndmask_b32_e64 v60, v60, v61, s[14:15]
	v_cmp_lt_i32_e64 s[14:15], v69, v22
	s_or_b64 s[16:17], s[16:17], s[18:19]
	s_and_b64 s[14:15], s[14:15], s[16:17]
	v_cndmask_b32_e64 v63, v74, v69, s[14:15]
	s_barrier
	ds_write_b8 v2, v57
	ds_write_b8 v2, v58 offset:1
	ds_write_b8 v2, v59 offset:2
	;; [unrolled: 1-line block ×3, first 2 shown]
	s_waitcnt lgkmcnt(0)
	s_barrier
	ds_read_u8 v56, v63
	ds_read_u8 v57, v60
	;; [unrolled: 1-line block ×4, first 2 shown]
	v_cndmask_b32_e64 v61, v72, v73, s[14:15]
	s_waitcnt lgkmcnt(0)
	s_barrier
	ds_write_b8 v2, v62
	ds_write_b8 v2, v64 offset:1
	ds_write_b8 v2, v68 offset:2
	;; [unrolled: 1-line block ×3, first 2 shown]
	v_mov_b32_e32 v61, v41
	s_waitcnt lgkmcnt(0)
	s_barrier
	s_and_saveexec_b64 s[16:17], s[6:7]
	s_cbranch_execz .LBB107_70
; %bb.67:                               ;   in Loop: Header=BB107_2 Depth=1
	s_mov_b64 s[18:19], 0
	v_mov_b32_e32 v61, v41
	v_mov_b32_e32 v60, v36
.LBB107_68:                             ;   Parent Loop BB107_2 Depth=1
                                        ; =>  This Inner Loop Header: Depth=2
	v_sub_u32_e32 v62, v60, v61
	v_lshrrev_b32_e32 v63, 31, v62
	v_add_u32_e32 v62, v62, v63
	v_ashrrev_i32_e32 v62, 1, v62
	v_add_u32_e32 v62, v62, v61
	v_not_b32_e32 v64, v62
	v_add_u32_e32 v63, v11, v62
	v_add3_u32 v64, v12, v64, v23
	ds_read_u8 v63, v63
	ds_read_u8 v64, v64
	v_add_u32_e32 v65, 1, v62
	s_waitcnt lgkmcnt(0)
	v_cmp_lt_u16_e64 s[14:15], v64, v63
	s_nop 1
	v_cndmask_b32_e64 v60, v60, v62, s[14:15]
	v_cndmask_b32_e64 v61, v65, v61, s[14:15]
	v_cmp_ge_i32_e64 s[14:15], v61, v60
	s_or_b64 s[18:19], s[14:15], s[18:19]
	s_andn2_b64 exec, exec, s[18:19]
	s_cbranch_execnz .LBB107_68
; %bb.69:                               ;   in Loop: Header=BB107_2 Depth=1
	s_or_b64 exec, exec, s[18:19]
.LBB107_70:                             ;   in Loop: Header=BB107_2 Depth=1
	s_or_b64 exec, exec, s[16:17]
	v_add_u32_e32 v60, v61, v11
	v_sub_u32_e32 v61, v31, v61
	ds_read_u8 v62, v60
	ds_read_u8 v63, v61
	v_cmp_le_i32_e64 s[16:17], v23, v60
	v_cmp_gt_i32_e64 s[14:15], v24, v61
                                        ; implicit-def: $vgpr64
                                        ; implicit-def: $vgpr65
	s_waitcnt lgkmcnt(0)
	v_cmp_lt_u16_sdwa s[18:19], v63, v62 src0_sel:BYTE_0 src1_sel:BYTE_0
	s_or_b64 s[16:17], s[16:17], s[18:19]
	s_and_b64 s[14:15], s[14:15], s[16:17]
	s_xor_b64 s[16:17], s[14:15], -1
	s_and_saveexec_b64 s[18:19], s[16:17]
	s_xor_b64 s[16:17], exec, s[18:19]
	s_cbranch_execz .LBB107_72
; %bb.71:                               ;   in Loop: Header=BB107_2 Depth=1
	ds_read_u8 v65, v60 offset:1
	v_mov_b32_e32 v64, v63
.LBB107_72:                             ;   in Loop: Header=BB107_2 Depth=1
	s_andn2_saveexec_b64 s[16:17], s[16:17]
	s_cbranch_execz .LBB107_74
; %bb.73:                               ;   in Loop: Header=BB107_2 Depth=1
	ds_read_u8 v64, v61 offset:1
	s_waitcnt lgkmcnt(1)
	v_mov_b32_e32 v65, v62
.LBB107_74:                             ;   in Loop: Header=BB107_2 Depth=1
	s_or_b64 exec, exec, s[16:17]
	v_add_u32_e32 v67, 1, v60
	v_add_u32_e32 v66, 1, v61
	v_cndmask_b32_e64 v67, v67, v60, s[14:15]
	v_cndmask_b32_e64 v66, v61, v66, s[14:15]
	v_cmp_ge_i32_e64 s[18:19], v67, v23
	s_waitcnt lgkmcnt(0)
	v_cmp_lt_u16_sdwa s[20:21], v64, v65 src0_sel:BYTE_0 src1_sel:BYTE_0
	v_cmp_lt_i32_e64 s[16:17], v66, v24
	s_or_b64 s[18:19], s[18:19], s[20:21]
	s_and_b64 s[16:17], s[16:17], s[18:19]
	s_xor_b64 s[18:19], s[16:17], -1
                                        ; implicit-def: $vgpr68
	s_and_saveexec_b64 s[20:21], s[18:19]
	s_xor_b64 s[18:19], exec, s[20:21]
	s_cbranch_execz .LBB107_76
; %bb.75:                               ;   in Loop: Header=BB107_2 Depth=1
	ds_read_u8 v68, v67 offset:1
.LBB107_76:                             ;   in Loop: Header=BB107_2 Depth=1
	s_or_saveexec_b64 s[18:19], s[18:19]
	v_mov_b32_e32 v69, v64
	s_xor_b64 exec, exec, s[18:19]
	s_cbranch_execz .LBB107_78
; %bb.77:                               ;   in Loop: Header=BB107_2 Depth=1
	ds_read_u8 v69, v66 offset:1
	s_waitcnt lgkmcnt(1)
	v_mov_b32_e32 v68, v65
.LBB107_78:                             ;   in Loop: Header=BB107_2 Depth=1
	s_or_b64 exec, exec, s[18:19]
	v_add_u32_e32 v71, 1, v67
	v_add_u32_e32 v70, 1, v66
	v_cndmask_b32_e64 v71, v71, v67, s[16:17]
	v_cndmask_b32_e64 v70, v66, v70, s[16:17]
	v_cmp_ge_i32_e64 s[20:21], v71, v23
	s_waitcnt lgkmcnt(0)
	v_cmp_lt_u16_sdwa s[22:23], v69, v68 src0_sel:BYTE_0 src1_sel:BYTE_0
	v_cmp_lt_i32_e64 s[18:19], v70, v24
	s_or_b64 s[20:21], s[20:21], s[22:23]
	s_and_b64 s[18:19], s[18:19], s[20:21]
	s_xor_b64 s[20:21], s[18:19], -1
                                        ; implicit-def: $vgpr72
	s_and_saveexec_b64 s[22:23], s[20:21]
	s_xor_b64 s[20:21], exec, s[22:23]
	s_cbranch_execz .LBB107_80
; %bb.79:                               ;   in Loop: Header=BB107_2 Depth=1
	ds_read_u8 v72, v71 offset:1
.LBB107_80:                             ;   in Loop: Header=BB107_2 Depth=1
	s_or_saveexec_b64 s[20:21], s[20:21]
	v_mov_b32_e32 v73, v69
	s_xor_b64 exec, exec, s[20:21]
	s_cbranch_execz .LBB107_82
; %bb.81:                               ;   in Loop: Header=BB107_2 Depth=1
	ds_read_u8 v73, v70 offset:1
	s_waitcnt lgkmcnt(1)
	v_mov_b32_e32 v72, v68
.LBB107_82:                             ;   in Loop: Header=BB107_2 Depth=1
	s_or_b64 exec, exec, s[20:21]
	v_add_u32_e32 v74, 1, v71
	v_cndmask_b32_e64 v68, v68, v69, s[18:19]
	v_add_u32_e32 v69, 1, v70
	v_cndmask_b32_e64 v74, v74, v71, s[18:19]
	v_cndmask_b32_e64 v69, v70, v69, s[18:19]
	;; [unrolled: 1-line block ×5, first 2 shown]
	v_cmp_ge_i32_e64 s[16:17], v74, v23
	s_waitcnt lgkmcnt(0)
	v_cmp_lt_u16_sdwa s[18:19], v73, v72 src0_sel:BYTE_0 src1_sel:BYTE_0
	v_cndmask_b32_e64 v62, v62, v63, s[14:15]
	v_cndmask_b32_e64 v60, v60, v61, s[14:15]
	v_cmp_lt_i32_e64 s[14:15], v69, v24
	s_or_b64 s[16:17], s[16:17], s[18:19]
	s_and_b64 s[14:15], s[14:15], s[16:17]
	v_cndmask_b32_e64 v63, v74, v69, s[14:15]
	s_barrier
	ds_write_b8 v2, v57
	ds_write_b8 v2, v58 offset:1
	ds_write_b8 v2, v59 offset:2
	;; [unrolled: 1-line block ×3, first 2 shown]
	s_waitcnt lgkmcnt(0)
	s_barrier
	ds_read_u8 v56, v63
	ds_read_u8 v57, v60
	;; [unrolled: 1-line block ×4, first 2 shown]
	v_cndmask_b32_e64 v61, v72, v73, s[14:15]
	s_waitcnt lgkmcnt(0)
	s_barrier
	ds_write_b8 v2, v62
	ds_write_b8 v2, v64 offset:1
	ds_write_b8 v2, v68 offset:2
	;; [unrolled: 1-line block ×3, first 2 shown]
	v_mov_b32_e32 v61, v42
	s_waitcnt lgkmcnt(0)
	s_barrier
	s_and_saveexec_b64 s[16:17], s[8:9]
	s_cbranch_execz .LBB107_86
; %bb.83:                               ;   in Loop: Header=BB107_2 Depth=1
	s_mov_b64 s[18:19], 0
	v_mov_b32_e32 v61, v42
	v_mov_b32_e32 v60, v43
.LBB107_84:                             ;   Parent Loop BB107_2 Depth=1
                                        ; =>  This Inner Loop Header: Depth=2
	v_sub_u32_e32 v62, v60, v61
	v_lshrrev_b32_e32 v63, 31, v62
	v_add_u32_e32 v62, v62, v63
	v_ashrrev_i32_e32 v62, 1, v62
	v_add_u32_e32 v62, v62, v61
	v_not_b32_e32 v64, v62
	v_add_u32_e32 v63, v13, v62
	v_add3_u32 v64, v14, v64, v25
	ds_read_u8 v63, v63
	ds_read_u8 v64, v64
	v_add_u32_e32 v65, 1, v62
	s_waitcnt lgkmcnt(0)
	v_cmp_lt_u16_e64 s[14:15], v64, v63
	s_nop 1
	v_cndmask_b32_e64 v60, v60, v62, s[14:15]
	v_cndmask_b32_e64 v61, v65, v61, s[14:15]
	v_cmp_ge_i32_e64 s[14:15], v61, v60
	s_or_b64 s[18:19], s[14:15], s[18:19]
	s_andn2_b64 exec, exec, s[18:19]
	s_cbranch_execnz .LBB107_84
; %bb.85:                               ;   in Loop: Header=BB107_2 Depth=1
	s_or_b64 exec, exec, s[18:19]
.LBB107_86:                             ;   in Loop: Header=BB107_2 Depth=1
	s_or_b64 exec, exec, s[16:17]
	v_add_u32_e32 v60, v61, v13
	v_sub_u32_e32 v61, v44, v61
	ds_read_u8 v62, v60
	ds_read_u8 v63, v61
	v_cmp_le_i32_e64 s[16:17], v25, v60
	v_cmp_gt_i32_e64 s[14:15], v26, v61
                                        ; implicit-def: $vgpr64
                                        ; implicit-def: $vgpr65
	s_waitcnt lgkmcnt(0)
	v_cmp_lt_u16_sdwa s[18:19], v63, v62 src0_sel:BYTE_0 src1_sel:BYTE_0
	s_or_b64 s[16:17], s[16:17], s[18:19]
	s_and_b64 s[14:15], s[14:15], s[16:17]
	s_xor_b64 s[16:17], s[14:15], -1
	s_and_saveexec_b64 s[18:19], s[16:17]
	s_xor_b64 s[16:17], exec, s[18:19]
	s_cbranch_execz .LBB107_88
; %bb.87:                               ;   in Loop: Header=BB107_2 Depth=1
	ds_read_u8 v65, v60 offset:1
	v_mov_b32_e32 v64, v63
.LBB107_88:                             ;   in Loop: Header=BB107_2 Depth=1
	s_andn2_saveexec_b64 s[16:17], s[16:17]
	s_cbranch_execz .LBB107_90
; %bb.89:                               ;   in Loop: Header=BB107_2 Depth=1
	ds_read_u8 v64, v61 offset:1
	s_waitcnt lgkmcnt(1)
	v_mov_b32_e32 v65, v62
.LBB107_90:                             ;   in Loop: Header=BB107_2 Depth=1
	s_or_b64 exec, exec, s[16:17]
	v_add_u32_e32 v67, 1, v60
	v_add_u32_e32 v66, 1, v61
	v_cndmask_b32_e64 v67, v67, v60, s[14:15]
	v_cndmask_b32_e64 v66, v61, v66, s[14:15]
	v_cmp_ge_i32_e64 s[18:19], v67, v25
	s_waitcnt lgkmcnt(0)
	v_cmp_lt_u16_sdwa s[20:21], v64, v65 src0_sel:BYTE_0 src1_sel:BYTE_0
	v_cmp_lt_i32_e64 s[16:17], v66, v26
	s_or_b64 s[18:19], s[18:19], s[20:21]
	s_and_b64 s[16:17], s[16:17], s[18:19]
	s_xor_b64 s[18:19], s[16:17], -1
                                        ; implicit-def: $vgpr68
	s_and_saveexec_b64 s[20:21], s[18:19]
	s_xor_b64 s[18:19], exec, s[20:21]
	s_cbranch_execz .LBB107_92
; %bb.91:                               ;   in Loop: Header=BB107_2 Depth=1
	ds_read_u8 v68, v67 offset:1
.LBB107_92:                             ;   in Loop: Header=BB107_2 Depth=1
	s_or_saveexec_b64 s[18:19], s[18:19]
	v_mov_b32_e32 v69, v64
	s_xor_b64 exec, exec, s[18:19]
	s_cbranch_execz .LBB107_94
; %bb.93:                               ;   in Loop: Header=BB107_2 Depth=1
	ds_read_u8 v69, v66 offset:1
	s_waitcnt lgkmcnt(1)
	v_mov_b32_e32 v68, v65
.LBB107_94:                             ;   in Loop: Header=BB107_2 Depth=1
	s_or_b64 exec, exec, s[18:19]
	v_add_u32_e32 v71, 1, v67
	v_add_u32_e32 v70, 1, v66
	v_cndmask_b32_e64 v71, v71, v67, s[16:17]
	v_cndmask_b32_e64 v70, v66, v70, s[16:17]
	v_cmp_ge_i32_e64 s[20:21], v71, v25
	s_waitcnt lgkmcnt(0)
	v_cmp_lt_u16_sdwa s[22:23], v69, v68 src0_sel:BYTE_0 src1_sel:BYTE_0
	v_cmp_lt_i32_e64 s[18:19], v70, v26
	s_or_b64 s[20:21], s[20:21], s[22:23]
	s_and_b64 s[18:19], s[18:19], s[20:21]
	s_xor_b64 s[20:21], s[18:19], -1
                                        ; implicit-def: $vgpr72
	s_and_saveexec_b64 s[22:23], s[20:21]
	s_xor_b64 s[20:21], exec, s[22:23]
	s_cbranch_execz .LBB107_96
; %bb.95:                               ;   in Loop: Header=BB107_2 Depth=1
	ds_read_u8 v72, v71 offset:1
.LBB107_96:                             ;   in Loop: Header=BB107_2 Depth=1
	s_or_saveexec_b64 s[20:21], s[20:21]
	v_mov_b32_e32 v73, v69
	s_xor_b64 exec, exec, s[20:21]
	s_cbranch_execz .LBB107_98
; %bb.97:                               ;   in Loop: Header=BB107_2 Depth=1
	ds_read_u8 v73, v70 offset:1
	s_waitcnt lgkmcnt(1)
	v_mov_b32_e32 v72, v68
.LBB107_98:                             ;   in Loop: Header=BB107_2 Depth=1
	s_or_b64 exec, exec, s[20:21]
	v_add_u32_e32 v74, 1, v71
	v_cndmask_b32_e64 v68, v68, v69, s[18:19]
	v_add_u32_e32 v69, 1, v70
	v_cndmask_b32_e64 v74, v74, v71, s[18:19]
	v_cndmask_b32_e64 v69, v70, v69, s[18:19]
	v_cndmask_b32_e64 v70, v71, v70, s[18:19]
	v_cndmask_b32_e64 v64, v65, v64, s[16:17]
	v_cndmask_b32_e64 v65, v67, v66, s[16:17]
	v_cmp_ge_i32_e64 s[16:17], v74, v25
	s_waitcnt lgkmcnt(0)
	v_cmp_lt_u16_sdwa s[18:19], v73, v72 src0_sel:BYTE_0 src1_sel:BYTE_0
	v_cndmask_b32_e64 v62, v62, v63, s[14:15]
	v_cndmask_b32_e64 v60, v60, v61, s[14:15]
	v_cmp_lt_i32_e64 s[14:15], v69, v26
	s_or_b64 s[16:17], s[16:17], s[18:19]
	s_and_b64 s[14:15], s[14:15], s[16:17]
	v_cndmask_b32_e64 v63, v74, v69, s[14:15]
	s_barrier
	ds_write_b8 v2, v57
	ds_write_b8 v2, v58 offset:1
	ds_write_b8 v2, v59 offset:2
	;; [unrolled: 1-line block ×3, first 2 shown]
	s_waitcnt lgkmcnt(0)
	s_barrier
	ds_read_u8 v56, v63
	ds_read_u8 v57, v60
	;; [unrolled: 1-line block ×4, first 2 shown]
	v_cndmask_b32_e64 v61, v72, v73, s[14:15]
	s_waitcnt lgkmcnt(0)
	s_barrier
	ds_write_b8 v2, v62
	ds_write_b8 v2, v64 offset:1
	ds_write_b8 v2, v68 offset:2
	;; [unrolled: 1-line block ×3, first 2 shown]
	v_mov_b32_e32 v61, v50
	s_waitcnt lgkmcnt(0)
	s_barrier
	s_and_saveexec_b64 s[16:17], s[10:11]
	s_cbranch_execz .LBB107_102
; %bb.99:                               ;   in Loop: Header=BB107_2 Depth=1
	s_mov_b64 s[18:19], 0
	v_mov_b32_e32 v61, v50
	v_mov_b32_e32 v60, v51
.LBB107_100:                            ;   Parent Loop BB107_2 Depth=1
                                        ; =>  This Inner Loop Header: Depth=2
	v_sub_u32_e32 v62, v60, v61
	v_lshrrev_b32_e32 v63, 31, v62
	v_add_u32_e32 v62, v62, v63
	v_ashrrev_i32_e32 v62, 1, v62
	v_add_u32_e32 v62, v62, v61
	v_not_b32_e32 v64, v62
	v_add_u32_e32 v63, v46, v62
	v_add3_u32 v64, v47, v64, v48
	ds_read_u8 v63, v63
	ds_read_u8 v64, v64
	v_add_u32_e32 v65, 1, v62
	s_waitcnt lgkmcnt(0)
	v_cmp_lt_u16_e64 s[14:15], v64, v63
	s_nop 1
	v_cndmask_b32_e64 v60, v60, v62, s[14:15]
	v_cndmask_b32_e64 v61, v65, v61, s[14:15]
	v_cmp_ge_i32_e64 s[14:15], v61, v60
	s_or_b64 s[18:19], s[14:15], s[18:19]
	s_andn2_b64 exec, exec, s[18:19]
	s_cbranch_execnz .LBB107_100
; %bb.101:                              ;   in Loop: Header=BB107_2 Depth=1
	s_or_b64 exec, exec, s[18:19]
.LBB107_102:                            ;   in Loop: Header=BB107_2 Depth=1
	s_or_b64 exec, exec, s[16:17]
	v_add_u32_e32 v60, v61, v46
	v_sub_u32_e32 v61, v52, v61
	ds_read_u8 v62, v60
	ds_read_u8 v63, v61
	v_cmp_le_i32_e64 s[16:17], v48, v60
	v_cmp_gt_i32_e64 s[14:15], v49, v61
                                        ; implicit-def: $vgpr64
                                        ; implicit-def: $vgpr65
	s_waitcnt lgkmcnt(0)
	v_cmp_lt_u16_sdwa s[18:19], v63, v62 src0_sel:BYTE_0 src1_sel:BYTE_0
	s_or_b64 s[16:17], s[16:17], s[18:19]
	s_and_b64 s[14:15], s[14:15], s[16:17]
	s_xor_b64 s[16:17], s[14:15], -1
	s_and_saveexec_b64 s[18:19], s[16:17]
	s_xor_b64 s[16:17], exec, s[18:19]
	s_cbranch_execz .LBB107_104
; %bb.103:                              ;   in Loop: Header=BB107_2 Depth=1
	ds_read_u8 v65, v60 offset:1
	v_mov_b32_e32 v64, v63
.LBB107_104:                            ;   in Loop: Header=BB107_2 Depth=1
	s_andn2_saveexec_b64 s[16:17], s[16:17]
	s_cbranch_execz .LBB107_106
; %bb.105:                              ;   in Loop: Header=BB107_2 Depth=1
	ds_read_u8 v64, v61 offset:1
	s_waitcnt lgkmcnt(1)
	v_mov_b32_e32 v65, v62
.LBB107_106:                            ;   in Loop: Header=BB107_2 Depth=1
	s_or_b64 exec, exec, s[16:17]
	v_add_u32_e32 v67, 1, v60
	v_add_u32_e32 v66, 1, v61
	v_cndmask_b32_e64 v67, v67, v60, s[14:15]
	v_cndmask_b32_e64 v66, v61, v66, s[14:15]
	v_cmp_ge_i32_e64 s[18:19], v67, v48
	s_waitcnt lgkmcnt(0)
	v_cmp_lt_u16_sdwa s[20:21], v64, v65 src0_sel:BYTE_0 src1_sel:BYTE_0
	v_cmp_lt_i32_e64 s[16:17], v66, v49
	s_or_b64 s[18:19], s[18:19], s[20:21]
	s_and_b64 s[16:17], s[16:17], s[18:19]
	s_xor_b64 s[18:19], s[16:17], -1
                                        ; implicit-def: $vgpr68
	s_and_saveexec_b64 s[20:21], s[18:19]
	s_xor_b64 s[18:19], exec, s[20:21]
	s_cbranch_execz .LBB107_108
; %bb.107:                              ;   in Loop: Header=BB107_2 Depth=1
	ds_read_u8 v68, v67 offset:1
.LBB107_108:                            ;   in Loop: Header=BB107_2 Depth=1
	s_or_saveexec_b64 s[18:19], s[18:19]
	v_mov_b32_e32 v69, v64
	s_xor_b64 exec, exec, s[18:19]
	s_cbranch_execz .LBB107_110
; %bb.109:                              ;   in Loop: Header=BB107_2 Depth=1
	ds_read_u8 v69, v66 offset:1
	s_waitcnt lgkmcnt(1)
	v_mov_b32_e32 v68, v65
.LBB107_110:                            ;   in Loop: Header=BB107_2 Depth=1
	s_or_b64 exec, exec, s[18:19]
	v_add_u32_e32 v71, 1, v67
	v_add_u32_e32 v70, 1, v66
	v_cndmask_b32_e64 v71, v71, v67, s[16:17]
	v_cndmask_b32_e64 v70, v66, v70, s[16:17]
	v_cmp_ge_i32_e64 s[20:21], v71, v48
	s_waitcnt lgkmcnt(0)
	v_cmp_lt_u16_sdwa s[22:23], v69, v68 src0_sel:BYTE_0 src1_sel:BYTE_0
	v_cmp_lt_i32_e64 s[18:19], v70, v49
	s_or_b64 s[20:21], s[20:21], s[22:23]
	s_and_b64 s[18:19], s[18:19], s[20:21]
	s_xor_b64 s[20:21], s[18:19], -1
                                        ; implicit-def: $vgpr72
	s_and_saveexec_b64 s[22:23], s[20:21]
	s_xor_b64 s[20:21], exec, s[22:23]
	s_cbranch_execz .LBB107_112
; %bb.111:                              ;   in Loop: Header=BB107_2 Depth=1
	ds_read_u8 v72, v71 offset:1
.LBB107_112:                            ;   in Loop: Header=BB107_2 Depth=1
	s_or_saveexec_b64 s[20:21], s[20:21]
	v_mov_b32_e32 v73, v69
	s_xor_b64 exec, exec, s[20:21]
	s_cbranch_execz .LBB107_114
; %bb.113:                              ;   in Loop: Header=BB107_2 Depth=1
	ds_read_u8 v73, v70 offset:1
	s_waitcnt lgkmcnt(1)
	v_mov_b32_e32 v72, v68
.LBB107_114:                            ;   in Loop: Header=BB107_2 Depth=1
	s_or_b64 exec, exec, s[20:21]
	v_add_u32_e32 v74, 1, v71
	v_cndmask_b32_e64 v68, v68, v69, s[18:19]
	v_add_u32_e32 v69, 1, v70
	v_cndmask_b32_e64 v74, v74, v71, s[18:19]
	v_cndmask_b32_e64 v69, v70, v69, s[18:19]
	;; [unrolled: 1-line block ×5, first 2 shown]
	v_cmp_ge_i32_e64 s[16:17], v74, v48
	s_waitcnt lgkmcnt(0)
	v_cmp_lt_u16_sdwa s[18:19], v73, v72 src0_sel:BYTE_0 src1_sel:BYTE_0
	v_cndmask_b32_e64 v62, v62, v63, s[14:15]
	v_cndmask_b32_e64 v60, v60, v61, s[14:15]
	v_cmp_lt_i32_e64 s[14:15], v69, v49
	s_or_b64 s[16:17], s[16:17], s[18:19]
	s_and_b64 s[14:15], s[14:15], s[16:17]
	v_cndmask_b32_e64 v63, v74, v69, s[14:15]
	s_barrier
	ds_write_b8 v2, v57
	ds_write_b8 v2, v58 offset:1
	ds_write_b8 v2, v59 offset:2
	;; [unrolled: 1-line block ×3, first 2 shown]
	s_waitcnt lgkmcnt(0)
	s_barrier
	ds_read_u8 v56, v63
	ds_read_u8 v57, v60
	;; [unrolled: 1-line block ×4, first 2 shown]
	v_mov_b32_e32 v60, v53
	v_cndmask_b32_e64 v61, v72, v73, s[14:15]
	s_waitcnt lgkmcnt(0)
	s_barrier
	ds_write_b8 v2, v62
	ds_write_b8 v2, v64 offset:1
	ds_write_b8 v2, v68 offset:2
	;; [unrolled: 1-line block ×3, first 2 shown]
	s_waitcnt lgkmcnt(0)
	s_barrier
	s_and_saveexec_b64 s[16:17], s[12:13]
	s_cbranch_execz .LBB107_118
; %bb.115:                              ;   in Loop: Header=BB107_2 Depth=1
	s_mov_b64 s[18:19], 0
	v_mov_b32_e32 v60, v53
	v_mov_b32_e32 v61, v54
.LBB107_116:                            ;   Parent Loop BB107_2 Depth=1
                                        ; =>  This Inner Loop Header: Depth=2
	v_sub_u32_e32 v62, v61, v60
	v_lshrrev_b32_e32 v63, 31, v62
	v_add_u32_e32 v62, v62, v63
	v_ashrrev_i32_e32 v62, 1, v62
	v_add_u32_e32 v62, v62, v60
	v_not_b32_e32 v63, v62
	v_add3_u32 v63, v2, v63, v45
	ds_read_u8 v64, v62
	ds_read_u8 v63, v63
	v_add_u32_e32 v65, 1, v62
	s_waitcnt lgkmcnt(0)
	v_cmp_lt_u16_e64 s[14:15], v63, v64
	s_nop 1
	v_cndmask_b32_e64 v61, v61, v62, s[14:15]
	v_cndmask_b32_e64 v60, v65, v60, s[14:15]
	v_cmp_ge_i32_e64 s[14:15], v60, v61
	s_or_b64 s[18:19], s[14:15], s[18:19]
	s_andn2_b64 exec, exec, s[18:19]
	s_cbranch_execnz .LBB107_116
; %bb.117:                              ;   in Loop: Header=BB107_2 Depth=1
	s_or_b64 exec, exec, s[18:19]
.LBB107_118:                            ;   in Loop: Header=BB107_2 Depth=1
	s_or_b64 exec, exec, s[16:17]
	v_sub_u32_e32 v61, v55, v60
	ds_read_u8 v62, v60
	ds_read_u8 v63, v61
	v_cmp_le_i32_e64 s[16:17], v45, v60
	v_cmp_gt_i32_e64 s[14:15], s45, v61
                                        ; implicit-def: $vgpr64
                                        ; implicit-def: $vgpr65
	s_waitcnt lgkmcnt(0)
	v_cmp_lt_u16_sdwa s[18:19], v63, v62 src0_sel:BYTE_0 src1_sel:BYTE_0
	s_or_b64 s[16:17], s[16:17], s[18:19]
	s_and_b64 s[14:15], s[14:15], s[16:17]
	s_xor_b64 s[16:17], s[14:15], -1
	s_and_saveexec_b64 s[18:19], s[16:17]
	s_xor_b64 s[16:17], exec, s[18:19]
	s_cbranch_execz .LBB107_120
; %bb.119:                              ;   in Loop: Header=BB107_2 Depth=1
	ds_read_u8 v65, v60 offset:1
	v_mov_b32_e32 v64, v63
.LBB107_120:                            ;   in Loop: Header=BB107_2 Depth=1
	s_andn2_saveexec_b64 s[16:17], s[16:17]
	s_cbranch_execz .LBB107_122
; %bb.121:                              ;   in Loop: Header=BB107_2 Depth=1
	ds_read_u8 v64, v61 offset:1
	s_waitcnt lgkmcnt(1)
	v_mov_b32_e32 v65, v62
.LBB107_122:                            ;   in Loop: Header=BB107_2 Depth=1
	s_or_b64 exec, exec, s[16:17]
	v_add_u32_e32 v67, 1, v60
	v_add_u32_e32 v66, 1, v61
	v_cndmask_b32_e64 v67, v67, v60, s[14:15]
	v_cndmask_b32_e64 v66, v61, v66, s[14:15]
	v_cmp_ge_i32_e64 s[18:19], v67, v45
	s_waitcnt lgkmcnt(0)
	v_cmp_lt_u16_sdwa s[20:21], v64, v65 src0_sel:BYTE_0 src1_sel:BYTE_0
	v_cmp_gt_i32_e64 s[16:17], s45, v66
	s_or_b64 s[18:19], s[18:19], s[20:21]
	s_and_b64 s[16:17], s[16:17], s[18:19]
	s_xor_b64 s[18:19], s[16:17], -1
                                        ; implicit-def: $vgpr68
	s_and_saveexec_b64 s[20:21], s[18:19]
	s_xor_b64 s[18:19], exec, s[20:21]
	s_cbranch_execz .LBB107_124
; %bb.123:                              ;   in Loop: Header=BB107_2 Depth=1
	ds_read_u8 v68, v67 offset:1
.LBB107_124:                            ;   in Loop: Header=BB107_2 Depth=1
	s_or_saveexec_b64 s[18:19], s[18:19]
	v_mov_b32_e32 v69, v64
	s_xor_b64 exec, exec, s[18:19]
	s_cbranch_execz .LBB107_126
; %bb.125:                              ;   in Loop: Header=BB107_2 Depth=1
	ds_read_u8 v69, v66 offset:1
	s_waitcnt lgkmcnt(1)
	v_mov_b32_e32 v68, v65
.LBB107_126:                            ;   in Loop: Header=BB107_2 Depth=1
	s_or_b64 exec, exec, s[18:19]
	v_add_u32_e32 v71, 1, v67
	v_add_u32_e32 v70, 1, v66
	v_cndmask_b32_e64 v74, v71, v67, s[16:17]
	v_cndmask_b32_e64 v70, v66, v70, s[16:17]
	v_cmp_ge_i32_e64 s[20:21], v74, v45
	s_waitcnt lgkmcnt(0)
	v_cmp_lt_u16_sdwa s[22:23], v69, v68 src0_sel:BYTE_0 src1_sel:BYTE_0
	v_cmp_gt_i32_e64 s[18:19], s45, v70
	s_or_b64 s[20:21], s[20:21], s[22:23]
	s_and_b64 s[18:19], s[18:19], s[20:21]
	s_xor_b64 s[20:21], s[18:19], -1
                                        ; implicit-def: $vgpr72
                                        ; implicit-def: $vgpr71
	s_and_saveexec_b64 s[22:23], s[20:21]
	s_xor_b64 s[20:21], exec, s[22:23]
	s_cbranch_execz .LBB107_128
; %bb.127:                              ;   in Loop: Header=BB107_2 Depth=1
	ds_read_u8 v72, v74 offset:1
	v_add_u32_e32 v71, 1, v74
.LBB107_128:                            ;   in Loop: Header=BB107_2 Depth=1
	s_or_saveexec_b64 s[20:21], s[20:21]
	v_mov_b32_e32 v73, v74
	v_mov_b32_e32 v75, v69
	s_xor_b64 exec, exec, s[20:21]
	s_cbranch_execz .LBB107_1
; %bb.129:                              ;   in Loop: Header=BB107_2 Depth=1
	ds_read_u8 v75, v70 offset:1
	s_waitcnt lgkmcnt(1)
	v_add_u32_e32 v72, 1, v70
	v_mov_b32_e32 v73, v70
	v_mov_b32_e32 v71, v74
	;; [unrolled: 1-line block ×4, first 2 shown]
	s_branch .LBB107_1
.LBB107_130:
	s_add_u32 s0, s38, s33
	s_addc_u32 s1, s39, 0
	v_add_u16_e32 v2, v62, v61
	v_lshl_add_u64 v[0:1], s[0:1], 0, v[0:1]
	v_add_u16_e32 v3, v63, v65
	v_add_u16_e32 v4, v64, v58
	;; [unrolled: 1-line block ×3, first 2 shown]
	global_store_byte v[0:1], v2, off
	global_store_byte v[0:1], v3, off offset:256
	global_store_byte v[0:1], v4, off offset:512
	;; [unrolled: 1-line block ×3, first 2 shown]
	s_endpgm
	.section	.rodata,"a",@progbits
	.p2align	6, 0x0
	.amdhsa_kernel _Z17sort_pairs_kernelIhLj256ELj4EN10test_utils4lessELj10EEvPKT_PS2_T2_
		.amdhsa_group_segment_fixed_size 1025
		.amdhsa_private_segment_fixed_size 0
		.amdhsa_kernarg_size 20
		.amdhsa_user_sgpr_count 2
		.amdhsa_user_sgpr_dispatch_ptr 0
		.amdhsa_user_sgpr_queue_ptr 0
		.amdhsa_user_sgpr_kernarg_segment_ptr 1
		.amdhsa_user_sgpr_dispatch_id 0
		.amdhsa_user_sgpr_kernarg_preload_length 0
		.amdhsa_user_sgpr_kernarg_preload_offset 0
		.amdhsa_user_sgpr_private_segment_size 0
		.amdhsa_uses_dynamic_stack 0
		.amdhsa_enable_private_segment 0
		.amdhsa_system_sgpr_workgroup_id_x 1
		.amdhsa_system_sgpr_workgroup_id_y 0
		.amdhsa_system_sgpr_workgroup_id_z 0
		.amdhsa_system_sgpr_workgroup_info 0
		.amdhsa_system_vgpr_workitem_id 0
		.amdhsa_next_free_vgpr 76
		.amdhsa_next_free_sgpr 48
		.amdhsa_accum_offset 76
		.amdhsa_reserve_vcc 1
		.amdhsa_float_round_mode_32 0
		.amdhsa_float_round_mode_16_64 0
		.amdhsa_float_denorm_mode_32 3
		.amdhsa_float_denorm_mode_16_64 3
		.amdhsa_dx10_clamp 1
		.amdhsa_ieee_mode 1
		.amdhsa_fp16_overflow 0
		.amdhsa_tg_split 0
		.amdhsa_exception_fp_ieee_invalid_op 0
		.amdhsa_exception_fp_denorm_src 0
		.amdhsa_exception_fp_ieee_div_zero 0
		.amdhsa_exception_fp_ieee_overflow 0
		.amdhsa_exception_fp_ieee_underflow 0
		.amdhsa_exception_fp_ieee_inexact 0
		.amdhsa_exception_int_div_zero 0
	.end_amdhsa_kernel
	.section	.text._Z17sort_pairs_kernelIhLj256ELj4EN10test_utils4lessELj10EEvPKT_PS2_T2_,"axG",@progbits,_Z17sort_pairs_kernelIhLj256ELj4EN10test_utils4lessELj10EEvPKT_PS2_T2_,comdat
.Lfunc_end107:
	.size	_Z17sort_pairs_kernelIhLj256ELj4EN10test_utils4lessELj10EEvPKT_PS2_T2_, .Lfunc_end107-_Z17sort_pairs_kernelIhLj256ELj4EN10test_utils4lessELj10EEvPKT_PS2_T2_
                                        ; -- End function
	.section	.AMDGPU.csdata,"",@progbits
; Kernel info:
; codeLenInByte = 7168
; NumSgprs: 54
; NumVgprs: 76
; NumAgprs: 0
; TotalNumVgprs: 76
; ScratchSize: 0
; MemoryBound: 0
; FloatMode: 240
; IeeeMode: 1
; LDSByteSize: 1025 bytes/workgroup (compile time only)
; SGPRBlocks: 6
; VGPRBlocks: 9
; NumSGPRsForWavesPerEU: 54
; NumVGPRsForWavesPerEU: 76
; AccumOffset: 76
; Occupancy: 6
; WaveLimiterHint : 1
; COMPUTE_PGM_RSRC2:SCRATCH_EN: 0
; COMPUTE_PGM_RSRC2:USER_SGPR: 2
; COMPUTE_PGM_RSRC2:TRAP_HANDLER: 0
; COMPUTE_PGM_RSRC2:TGID_X_EN: 1
; COMPUTE_PGM_RSRC2:TGID_Y_EN: 0
; COMPUTE_PGM_RSRC2:TGID_Z_EN: 0
; COMPUTE_PGM_RSRC2:TIDIG_COMP_CNT: 0
; COMPUTE_PGM_RSRC3_GFX90A:ACCUM_OFFSET: 18
; COMPUTE_PGM_RSRC3_GFX90A:TG_SPLIT: 0
	.section	.text._Z16sort_keys_kernelIhLj256ELj8EN10test_utils4lessELj10EEvPKT_PS2_T2_,"axG",@progbits,_Z16sort_keys_kernelIhLj256ELj8EN10test_utils4lessELj10EEvPKT_PS2_T2_,comdat
	.protected	_Z16sort_keys_kernelIhLj256ELj8EN10test_utils4lessELj10EEvPKT_PS2_T2_ ; -- Begin function _Z16sort_keys_kernelIhLj256ELj8EN10test_utils4lessELj10EEvPKT_PS2_T2_
	.globl	_Z16sort_keys_kernelIhLj256ELj8EN10test_utils4lessELj10EEvPKT_PS2_T2_
	.p2align	8
	.type	_Z16sort_keys_kernelIhLj256ELj8EN10test_utils4lessELj10EEvPKT_PS2_T2_,@function
_Z16sort_keys_kernelIhLj256ELj8EN10test_utils4lessELj10EEvPKT_PS2_T2_: ; @_Z16sort_keys_kernelIhLj256ELj8EN10test_utils4lessELj10EEvPKT_PS2_T2_
; %bb.0:
	s_load_dwordx4 s[28:31], s[0:1], 0x0
	s_lshl_b32 s33, s2, 11
	v_lshlrev_b32_e32 v2, 3, v0
	v_and_b32_e32 v46, 0x400, v2
	v_or_b32_e32 v48, 0x200, v46
	s_waitcnt lgkmcnt(0)
	s_add_u32 s0, s28, s33
	s_addc_u32 s1, s29, 0
	global_load_ubyte v52, v0, s[0:1]
	global_load_ubyte v53, v0, s[0:1] offset:256
	global_load_ubyte v54, v0, s[0:1] offset:512
	;; [unrolled: 1-line block ×7, first 2 shown]
	v_add_u32_e32 v49, 0x400, v46
	v_and_b32_e32 v3, 0x7f0, v2
	v_and_b32_e32 v10, 0x7e0, v2
	;; [unrolled: 1-line block ×7, first 2 shown]
	v_sub_u32_e32 v50, v49, v48
	v_or_b32_e32 v5, 8, v3
	v_add_u32_e32 v6, 16, v3
	v_or_b32_e32 v12, 16, v10
	v_add_u32_e32 v13, 32, v10
	v_or_b32_e32 v19, 32, v17
	v_add_u32_e32 v20, 64, v17
	v_or_b32_e32 v26, 64, v24
	v_add_u32_e32 v27, 0x80, v24
	v_or_b32_e32 v33, 0x80, v31
	v_add_u32_e32 v34, 0x100, v31
	v_or_b32_e32 v40, 0x100, v38
	v_add_u32_e32 v41, 0x200, v38
	v_sub_u32_e32 v51, v47, v50
	v_sub_u32_e32 v56, v48, v46
	v_cmp_ge_i32_e64 s[10:11], v47, v50
	v_and_b32_e32 v4, 8, v2
	v_sub_u32_e32 v7, v6, v5
	v_and_b32_e32 v11, 24, v2
	v_sub_u32_e32 v14, v13, v12
	;; [unrolled: 2-line block ×6, first 2 shown]
	v_cndmask_b32_e64 v50, 0, v51, s[10:11]
	v_min_i32_e32 v51, v47, v56
	v_sub_u32_e32 v8, v5, v3
	v_sub_u32_e32 v9, v4, v7
	v_cmp_ge_i32_e32 vcc, v4, v7
	v_sub_u32_e32 v15, v12, v10
	v_sub_u32_e32 v16, v11, v14
	v_cmp_ge_i32_e64 s[0:1], v11, v14
	v_sub_u32_e32 v22, v19, v17
	v_sub_u32_e32 v23, v18, v21
	v_cmp_ge_i32_e64 s[2:3], v18, v21
	;; [unrolled: 3-line block ×5, first 2 shown]
	v_mov_b32_e32 v45, 0x400
	v_cndmask_b32_e32 v7, 0, v9, vcc
	v_min_i32_e32 v8, v4, v8
	v_cndmask_b32_e64 v14, 0, v16, s[0:1]
	v_min_i32_e32 v15, v11, v15
	v_cndmask_b32_e64 v21, 0, v23, s[2:3]
	;; [unrolled: 2-line block ×5, first 2 shown]
	v_min_i32_e32 v43, v39, v43
	s_mov_b32 s34, 0
	v_mov_b32_e32 v1, 0
	v_cmp_lt_i32_e32 vcc, v7, v8
	v_add_u32_e32 v9, v5, v4
	s_waitcnt vmcnt(6)
	v_lshlrev_b16_e32 v53, 8, v53
	v_or_b32_e32 v56, v52, v53
	s_waitcnt vmcnt(4)
	v_lshlrev_b16_e32 v53, 8, v55
	v_or_b32_sdwa v54, v54, v53 dst_sel:WORD_1 dst_unused:UNUSED_PAD src0_sel:DWORD src1_sel:DWORD
	s_waitcnt vmcnt(2)
	v_lshlrev_b16_e32 v55, 8, v58
	v_sub_u32_e64 v53, v2, v45 clamp
	s_waitcnt vmcnt(0)
	v_lshlrev_b16_e32 v58, 8, v60
	v_or_b32_sdwa v56, v56, v54 dst_sel:DWORD dst_unused:UNUSED_PAD src0_sel:WORD_0 src1_sel:DWORD
	v_min_i32_e32 v54, 0x400, v2
	v_or_b32_e32 v57, v57, v55
	v_or_b32_sdwa v58, v59, v58 dst_sel:WORD_1 dst_unused:UNUSED_PAD src0_sel:DWORD src1_sel:DWORD
	v_cmp_lt_i32_e64 s[0:1], v14, v15
	v_add_u32_e32 v16, v12, v11
	v_cmp_lt_i32_e64 s[2:3], v21, v22
	v_add_u32_e32 v23, v19, v18
	;; [unrolled: 2-line block ×7, first 2 shown]
	s_mov_b32 s35, 0xffff
	v_or_b32_sdwa v57, v57, v58 dst_sel:DWORD dst_unused:UNUSED_PAD src0_sel:WORD_0 src1_sel:DWORD
	s_mov_b32 s36, 0x7060405
	s_movk_i32 s37, 0xff
	s_mov_b32 s38, 0xc0c0001
	s_mov_b32 s39, 0x6070504
	s_movk_i32 s40, 0xff00
	s_mov_b32 s41, 0xffff0000
	s_movk_i32 s42, 0x800
	s_branch .LBB108_2
.LBB108_1:                              ;   in Loop: Header=BB108_2 Depth=1
	s_or_b64 exec, exec, s[28:29]
	v_cndmask_b32_e64 v58, v59, v58, s[16:17]
	v_cndmask_b32_e64 v59, v60, v61, s[18:19]
	v_cmp_ge_i32_e64 s[16:17], v72, v45
	s_waitcnt lgkmcnt(0)
	v_cmp_lt_u16_sdwa s[18:19], v74, v71 src0_sel:BYTE_0 src1_sel:BYTE_0
	v_cndmask_b32_e64 v73, v56, v57, s[14:15]
	v_cndmask_b32_e64 v60, v62, v63, s[20:21]
	v_cmp_gt_i32_e64 s[14:15], s42, v70
	s_or_b64 s[16:17], s[16:17], s[18:19]
	s_and_b64 s[14:15], s[14:15], s[16:17]
	v_lshlrev_b16_e32 v56, 8, v58
	v_lshlrev_b16_e32 v57, 8, v60
	v_cndmask_b32_e64 v61, v64, v65, s[22:23]
	v_cndmask_b32_e64 v62, v66, v67, s[24:25]
	;; [unrolled: 1-line block ×3, first 2 shown]
	v_or_b32_sdwa v56, v73, v56 dst_sel:DWORD dst_unused:UNUSED_PAD src0_sel:BYTE_0 src1_sel:DWORD
	v_or_b32_sdwa v57, v59, v57 dst_sel:WORD_1 dst_unused:UNUSED_PAD src0_sel:BYTE_0 src1_sel:DWORD
	v_cndmask_b32_e64 v63, v68, v69, s[26:27]
	v_or_b32_sdwa v56, v56, v57 dst_sel:DWORD dst_unused:UNUSED_PAD src0_sel:WORD_0 src1_sel:DWORD
	v_lshlrev_b16_e32 v57, 8, v62
	v_lshlrev_b16_e32 v65, 8, v64
	s_add_i32 s34, s34, 1
	v_or_b32_sdwa v57, v61, v57 dst_sel:DWORD dst_unused:UNUSED_PAD src0_sel:BYTE_0 src1_sel:DWORD
	v_or_b32_sdwa v65, v63, v65 dst_sel:WORD_1 dst_unused:UNUSED_PAD src0_sel:BYTE_0 src1_sel:DWORD
	s_cmp_eq_u32 s34, 10
	v_or_b32_sdwa v57, v57, v65 dst_sel:DWORD dst_unused:UNUSED_PAD src0_sel:WORD_0 src1_sel:DWORD
	s_cbranch_scc1 .LBB108_258
.LBB108_2:                              ; =>This Loop Header: Depth=1
                                        ;     Child Loop BB108_4 Depth 2
                                        ;     Child Loop BB108_36 Depth 2
	;; [unrolled: 1-line block ×8, first 2 shown]
	v_lshrrev_b32_e32 v59, 8, v56
	v_perm_b32 v58, v56, v56, s36
	v_cmp_lt_u16_sdwa s[14:15], v59, v56 src0_sel:BYTE_0 src1_sel:BYTE_0
	v_min_u16_sdwa v62, v59, v56 dst_sel:DWORD dst_unused:UNUSED_PAD src0_sel:BYTE_0 src1_sel:BYTE_0
	s_nop 0
	v_cndmask_b32_e64 v58, v56, v58, s[14:15]
	v_lshrrev_b32_e32 v60, 16, v58
	v_perm_b32 v61, 0, v60, s38
	v_max_u16_sdwa v56, v59, v56 dst_sel:DWORD dst_unused:UNUSED_PAD src0_sel:BYTE_0 src1_sel:BYTE_0
	v_lshlrev_b32_e32 v59, 16, v61
	v_and_or_b32 v59, v58, s35, v59
	v_cmp_lt_u16_sdwa s[14:15], v58, v60 src0_sel:BYTE_3 src1_sel:BYTE_0
	v_max_u16_sdwa v63, v58, v60 dst_sel:DWORD dst_unused:UNUSED_PAD src0_sel:BYTE_3 src1_sel:BYTE_0
	v_perm_b32 v61, v57, v57, s36
	v_cndmask_b32_e64 v59, v58, v59, s[14:15]
	v_min_u16_sdwa v58, v58, v60 dst_sel:DWORD dst_unused:UNUSED_PAD src0_sel:BYTE_3 src1_sel:BYTE_0
	v_lshrrev_b32_e32 v60, 8, v57
	v_cmp_lt_u16_sdwa s[14:15], v60, v57 src0_sel:BYTE_0 src1_sel:BYTE_0
	v_max_u16_sdwa v64, v60, v57 dst_sel:DWORD dst_unused:UNUSED_PAD src0_sel:BYTE_0 src1_sel:BYTE_0
	v_and_b32_sdwa v66, v59, s40 dst_sel:DWORD dst_unused:UNUSED_PAD src0_sel:WORD_1 src1_sel:DWORD
	v_cndmask_b32_e64 v61, v57, v61, s[14:15]
	v_min_u16_sdwa v57, v60, v57 dst_sel:DWORD dst_unused:UNUSED_PAD src0_sel:BYTE_0 src1_sel:BYTE_0
	v_and_b32_sdwa v60, v61, s37 dst_sel:DWORD dst_unused:UNUSED_PAD src0_sel:WORD_1 src1_sel:DWORD
	v_perm_b32 v65, v61, v61, s39
	v_cmp_lt_u16_sdwa s[14:15], v61, v60 src0_sel:BYTE_3 src1_sel:DWORD
	v_max_u16_sdwa v67, v61, v60 dst_sel:DWORD dst_unused:UNUSED_PAD src0_sel:BYTE_3 src1_sel:DWORD
	v_min_u16_sdwa v60, v61, v60 dst_sel:DWORD dst_unused:UNUSED_PAD src0_sel:BYTE_3 src1_sel:DWORD
	v_cndmask_b32_e64 v65, v61, v65, s[14:15]
	v_lshlrev_b16_e32 v61, 8, v58
	v_or_b32_sdwa v66, v56, v66 dst_sel:WORD_1 dst_unused:UNUSED_PAD src0_sel:DWORD src1_sel:DWORD
	v_or_b32_sdwa v61, v59, v61 dst_sel:DWORD dst_unused:UNUSED_PAD src0_sel:BYTE_0 src1_sel:DWORD
	v_or_b32_sdwa v61, v61, v66 dst_sel:DWORD dst_unused:UNUSED_PAD src0_sel:WORD_0 src1_sel:DWORD
	v_cmp_lt_u16_e64 s[14:15], v58, v56
	v_and_b32_e32 v66, 0xffffff00, v65
	v_or_b32_e32 v66, v63, v66
	v_cndmask_b32_e64 v59, v59, v61, s[14:15]
	v_and_b32_sdwa v61, v59, s37 dst_sel:DWORD dst_unused:UNUSED_PAD src0_sel:WORD_1 src1_sel:DWORD
	v_lshlrev_b16_e32 v69, 8, v57
	v_and_b32_e32 v66, 0xffff, v66
	v_or_b32_sdwa v61, v61, v69 dst_sel:WORD_1 dst_unused:UNUSED_PAD src0_sel:DWORD src1_sel:DWORD
	v_and_or_b32 v66, v65, s41, v66
	v_and_or_b32 v61, v59, s35, v61
	v_cmp_lt_u16_e64 s[14:15], v57, v63
	v_max_u16_e32 v68, v58, v56
	v_min_u16_e32 v56, v58, v56
	v_cndmask_b32_e64 v59, v59, v61, s[14:15]
	v_cndmask_b32_e64 v61, v65, v66, s[14:15]
	v_and_b32_sdwa v65, v61, s40 dst_sel:DWORD dst_unused:UNUSED_PAD src0_sel:WORD_1 src1_sel:DWORD
	v_max_u16_e32 v66, v57, v63
	v_min_u16_e32 v57, v57, v63
	v_lshlrev_b16_e32 v63, 8, v60
	v_or_b32_sdwa v65, v64, v65 dst_sel:WORD_1 dst_unused:UNUSED_PAD src0_sel:DWORD src1_sel:DWORD
	v_or_b32_sdwa v63, v61, v63 dst_sel:DWORD dst_unused:UNUSED_PAD src0_sel:BYTE_0 src1_sel:DWORD
	v_or_b32_sdwa v63, v63, v65 dst_sel:DWORD dst_unused:UNUSED_PAD src0_sel:WORD_0 src1_sel:DWORD
	v_lshlrev_b16_e32 v65, 8, v62
	v_or_b32_e32 v65, v56, v65
	v_and_b32_e32 v65, 0xffff, v65
	v_cmp_lt_u16_e64 s[14:15], v60, v64
	v_and_or_b32 v65, v59, s41, v65
	s_barrier
	v_cndmask_b32_e64 v61, v61, v63, s[14:15]
	v_cmp_lt_u16_e64 s[14:15], v58, v62
	v_max_u16_e32 v63, v60, v64
	v_min_u16_e32 v60, v60, v64
	v_cndmask_b32_e64 v58, v59, v65, s[14:15]
	v_cndmask_b32_e64 v59, v62, v56, s[14:15]
	;; [unrolled: 1-line block ×3, first 2 shown]
	v_lshlrev_b16_e32 v62, 8, v68
	v_or_b32_sdwa v62, v57, v62 dst_sel:WORD_1 dst_unused:UNUSED_PAD src0_sel:DWORD src1_sel:DWORD
	v_cmp_lt_u16_e64 s[14:15], v57, v68
	v_and_or_b32 v62, v58, s35, v62
	v_max_u16_e32 v65, v57, v68
	v_cndmask_b32_e64 v58, v58, v62, s[14:15]
	v_lshlrev_b16_e32 v62, 8, v66
	v_or_b32_e32 v62, v60, v62
	v_and_b32_e32 v62, 0xffff, v62
	v_and_or_b32 v62, v61, s41, v62
	v_cmp_lt_u16_e64 s[14:15], v60, v66
	v_min_u16_e32 v57, v57, v68
	v_and_b32_sdwa v68, v58, s40 dst_sel:DWORD dst_unused:UNUSED_PAD src0_sel:WORD_1 src1_sel:DWORD
	v_cndmask_b32_e64 v61, v61, v62, s[14:15]
	v_max_u16_e32 v62, v60, v66
	v_min_u16_e32 v60, v60, v66
	v_lshlrev_b16_e32 v66, 8, v63
	v_or_b32_sdwa v66, v67, v66 dst_sel:WORD_1 dst_unused:UNUSED_PAD src0_sel:DWORD src1_sel:DWORD
	v_cmp_gt_u16_e64 s[14:15], v64, v67
	v_and_or_b32 v66, v61, s35, v66
	v_or_b32_sdwa v68, v56, v68 dst_sel:WORD_1 dst_unused:UNUSED_PAD src0_sel:DWORD src1_sel:DWORD
	v_cndmask_b32_e64 v61, v61, v66, s[14:15]
	v_lshlrev_b16_e32 v66, 8, v57
	v_or_b32_sdwa v66, v58, v66 dst_sel:DWORD dst_unused:UNUSED_PAD src0_sel:BYTE_0 src1_sel:DWORD
	v_cndmask_b32_e64 v64, v67, v63, s[14:15]
	v_cndmask_b32_e64 v63, v63, v67, s[14:15]
	v_or_b32_sdwa v66, v66, v68 dst_sel:DWORD dst_unused:UNUSED_PAD src0_sel:WORD_0 src1_sel:DWORD
	v_cmp_lt_u16_e64 s[14:15], v57, v56
	v_and_b32_e32 v67, 0xffffff00, v61
	v_or_b32_e32 v67, v65, v67
	v_cndmask_b32_e64 v58, v58, v66, s[14:15]
	v_and_b32_sdwa v66, v58, s37 dst_sel:DWORD dst_unused:UNUSED_PAD src0_sel:WORD_1 src1_sel:DWORD
	v_max_u16_e32 v68, v57, v56
	v_min_u16_e32 v56, v57, v56
	v_lshlrev_b16_e32 v57, 8, v60
	v_and_b32_e32 v67, 0xffff, v67
	v_or_b32_sdwa v57, v66, v57 dst_sel:WORD_1 dst_unused:UNUSED_PAD src0_sel:DWORD src1_sel:DWORD
	v_and_or_b32 v67, v61, s41, v67
	v_and_or_b32 v57, v58, s35, v57
	v_cmp_lt_u16_e64 s[14:15], v60, v65
	v_max_u16_e32 v66, v60, v65
	v_min_u16_e32 v60, v60, v65
	v_cndmask_b32_e64 v57, v58, v57, s[14:15]
	v_cndmask_b32_e64 v58, v61, v67, s[14:15]
	v_and_b32_sdwa v61, v58, s40 dst_sel:DWORD dst_unused:UNUSED_PAD src0_sel:WORD_1 src1_sel:DWORD
	v_lshlrev_b16_e32 v65, 8, v63
	v_or_b32_sdwa v61, v62, v61 dst_sel:WORD_1 dst_unused:UNUSED_PAD src0_sel:DWORD src1_sel:DWORD
	v_or_b32_sdwa v65, v58, v65 dst_sel:DWORD dst_unused:UNUSED_PAD src0_sel:BYTE_0 src1_sel:DWORD
	v_or_b32_sdwa v61, v65, v61 dst_sel:DWORD dst_unused:UNUSED_PAD src0_sel:WORD_0 src1_sel:DWORD
	v_lshlrev_b16_e32 v65, 8, v59
	v_or_b32_e32 v65, v56, v65
	v_and_b32_e32 v65, 0xffff, v65
	v_cmp_lt_u16_e64 s[14:15], v63, v62
	v_and_or_b32 v65, v57, s41, v65
	s_nop 0
	v_cndmask_b32_e64 v58, v58, v61, s[14:15]
	v_max_u16_e32 v61, v63, v62
	v_min_u16_e32 v62, v63, v62
	v_cmp_lt_u16_e64 s[14:15], v56, v59
	v_min_u16_e32 v63, v56, v59
	v_max_u16_e32 v56, v56, v59
	v_lshlrev_b16_e32 v59, 8, v68
	v_cndmask_b32_e64 v57, v57, v65, s[14:15]
	v_or_b32_sdwa v59, v60, v59 dst_sel:WORD_1 dst_unused:UNUSED_PAD src0_sel:DWORD src1_sel:DWORD
	v_cmp_lt_u16_e64 s[14:15], v60, v68
	v_and_or_b32 v59, v57, s35, v59
	v_max_u16_e32 v65, v60, v68
	v_cndmask_b32_e64 v57, v57, v59, s[14:15]
	v_lshlrev_b16_e32 v59, 8, v66
	v_or_b32_e32 v59, v62, v59
	v_and_b32_e32 v59, 0xffff, v59
	v_and_or_b32 v59, v58, s41, v59
	v_cmp_lt_u16_e64 s[14:15], v62, v66
	v_min_u16_e32 v60, v60, v68
	v_and_b32_sdwa v67, v57, s40 dst_sel:DWORD dst_unused:UNUSED_PAD src0_sel:WORD_1 src1_sel:DWORD
	v_cndmask_b32_e64 v58, v58, v59, s[14:15]
	v_max_u16_e32 v59, v62, v66
	v_min_u16_e32 v62, v62, v66
	v_lshlrev_b16_e32 v66, 8, v61
	v_or_b32_sdwa v66, v64, v66 dst_sel:WORD_1 dst_unused:UNUSED_PAD src0_sel:DWORD src1_sel:DWORD
	v_cmp_lt_u16_e64 s[14:15], v64, v61
	v_and_or_b32 v66, v58, s35, v66
	v_or_b32_sdwa v67, v56, v67 dst_sel:WORD_1 dst_unused:UNUSED_PAD src0_sel:DWORD src1_sel:DWORD
	v_cndmask_b32_e64 v58, v58, v66, s[14:15]
	v_max_u16_e32 v66, v64, v61
	v_min_u16_e32 v61, v64, v61
	v_lshlrev_b16_e32 v64, 8, v60
	v_or_b32_sdwa v64, v57, v64 dst_sel:DWORD dst_unused:UNUSED_PAD src0_sel:BYTE_0 src1_sel:DWORD
	v_or_b32_sdwa v64, v64, v67 dst_sel:DWORD dst_unused:UNUSED_PAD src0_sel:WORD_0 src1_sel:DWORD
	v_cmp_lt_u16_e64 s[14:15], v60, v56
	v_and_b32_e32 v67, 0xffffff00, v58
	v_or_b32_e32 v67, v65, v67
	v_cndmask_b32_e64 v57, v57, v64, s[14:15]
	v_and_b32_sdwa v64, v57, s37 dst_sel:DWORD dst_unused:UNUSED_PAD src0_sel:WORD_1 src1_sel:DWORD
	v_and_b32_e32 v67, 0xffff, v67
	v_lshlrev_b16_e32 v69, 8, v62
	v_and_or_b32 v67, v58, s41, v67
	v_or_b32_sdwa v64, v64, v69 dst_sel:WORD_1 dst_unused:UNUSED_PAD src0_sel:DWORD src1_sel:DWORD
	v_cmp_lt_u16_e64 s[14:15], v62, v65
	v_and_or_b32 v64, v57, s35, v64
	v_max_u16_e32 v68, v60, v56
	v_cndmask_b32_e64 v58, v58, v67, s[14:15]
	v_cndmask_b32_e64 v57, v57, v64, s[14:15]
	v_and_b32_sdwa v64, v58, s40 dst_sel:DWORD dst_unused:UNUSED_PAD src0_sel:WORD_1 src1_sel:DWORD
	v_max_u16_e32 v67, v62, v65
	v_min_u16_e32 v62, v62, v65
	v_lshlrev_b16_e32 v65, 8, v61
	v_or_b32_sdwa v64, v59, v64 dst_sel:WORD_1 dst_unused:UNUSED_PAD src0_sel:DWORD src1_sel:DWORD
	v_or_b32_sdwa v65, v58, v65 dst_sel:DWORD dst_unused:UNUSED_PAD src0_sel:BYTE_0 src1_sel:DWORD
	v_min_u16_e32 v56, v60, v56
	v_or_b32_sdwa v64, v65, v64 dst_sel:DWORD dst_unused:UNUSED_PAD src0_sel:WORD_0 src1_sel:DWORD
	v_lshlrev_b16_e32 v65, 8, v63
	v_or_b32_e32 v65, v56, v65
	v_and_b32_e32 v65, 0xffff, v65
	v_cmp_lt_u16_e64 s[14:15], v61, v59
	v_and_or_b32 v65, v57, s41, v65
	s_nop 0
	v_cndmask_b32_e64 v58, v58, v64, s[14:15]
	v_cmp_lt_u16_e64 s[14:15], v60, v63
	v_lshlrev_b16_e32 v60, 8, v68
	v_or_b32_sdwa v60, v62, v60 dst_sel:WORD_1 dst_unused:UNUSED_PAD src0_sel:DWORD src1_sel:DWORD
	v_cndmask_b32_e64 v57, v57, v65, s[14:15]
	v_cndmask_b32_e64 v56, v56, v63, s[14:15]
	v_and_or_b32 v60, v57, s35, v60
	v_cmp_lt_u16_e64 s[14:15], v62, v68
	v_max_u16_e32 v64, v61, v59
	v_min_u16_e32 v61, v61, v59
	v_cndmask_b32_e64 v57, v57, v60, s[14:15]
	v_lshlrev_b16_e32 v60, 8, v67
	v_or_b32_e32 v60, v61, v60
	v_and_b32_e32 v60, 0xffff, v60
	v_and_or_b32 v60, v58, s41, v60
	v_cmp_lt_u16_e64 s[14:15], v61, v67
	v_max_u16_e32 v63, v62, v68
	v_min_u16_e32 v62, v62, v68
	v_cndmask_b32_e64 v58, v58, v60, s[14:15]
	v_lshlrev_b16_e32 v65, 8, v64
	v_cmp_gt_u16_e64 s[14:15], v59, v66
	v_max_u16_e32 v60, v61, v67
	v_min_u16_e32 v61, v61, v67
	v_or_b32_sdwa v65, v66, v65 dst_sel:WORD_1 dst_unused:UNUSED_PAD src0_sel:DWORD src1_sel:DWORD
	v_and_b32_sdwa v67, v57, s40 dst_sel:DWORD dst_unused:UNUSED_PAD src0_sel:WORD_1 src1_sel:DWORD
	v_cndmask_b32_e64 v59, v64, v66, s[14:15]
	v_lshlrev_b16_e32 v64, 8, v62
	v_and_or_b32 v65, v58, s35, v65
	v_or_b32_sdwa v67, v56, v67 dst_sel:WORD_1 dst_unused:UNUSED_PAD src0_sel:DWORD src1_sel:DWORD
	v_or_b32_sdwa v64, v57, v64 dst_sel:DWORD dst_unused:UNUSED_PAD src0_sel:BYTE_0 src1_sel:DWORD
	v_cndmask_b32_e64 v58, v58, v65, s[14:15]
	v_or_b32_sdwa v64, v64, v67 dst_sel:DWORD dst_unused:UNUSED_PAD src0_sel:WORD_0 src1_sel:DWORD
	v_cmp_lt_u16_e64 s[14:15], v62, v56
	v_and_b32_e32 v62, 0xffffff00, v58
	v_or_b32_e32 v62, v63, v62
	v_cndmask_b32_e64 v56, v57, v64, s[14:15]
	v_and_b32_sdwa v57, v56, s37 dst_sel:DWORD dst_unused:UNUSED_PAD src0_sel:WORD_1 src1_sel:DWORD
	v_lshlrev_b16_e32 v64, 8, v61
	v_and_b32_e32 v62, 0xffff, v62
	v_or_b32_sdwa v57, v57, v64 dst_sel:WORD_1 dst_unused:UNUSED_PAD src0_sel:DWORD src1_sel:DWORD
	v_and_or_b32 v62, v58, s41, v62
	v_and_or_b32 v57, v56, s35, v57
	v_cmp_lt_u16_e64 s[14:15], v61, v63
	v_lshlrev_b16_e32 v61, 8, v59
	s_nop 0
	v_cndmask_b32_e64 v56, v56, v57, s[14:15]
	v_cndmask_b32_e64 v57, v58, v62, s[14:15]
	v_and_b32_sdwa v58, v57, s40 dst_sel:DWORD dst_unused:UNUSED_PAD src0_sel:WORD_1 src1_sel:DWORD
	v_or_b32_sdwa v58, v60, v58 dst_sel:WORD_1 dst_unused:UNUSED_PAD src0_sel:DWORD src1_sel:DWORD
	v_or_b32_sdwa v61, v57, v61 dst_sel:DWORD dst_unused:UNUSED_PAD src0_sel:BYTE_0 src1_sel:DWORD
	v_or_b32_sdwa v58, v61, v58 dst_sel:DWORD dst_unused:UNUSED_PAD src0_sel:WORD_0 src1_sel:DWORD
	v_cmp_lt_u16_e64 s[14:15], v59, v60
	s_nop 1
	v_cndmask_b32_e64 v57, v57, v58, s[14:15]
	ds_write_b64 v2, v[56:57]
	v_mov_b32_e32 v56, v7
	s_waitcnt lgkmcnt(0)
	s_barrier
	s_and_saveexec_b64 s[16:17], vcc
	s_cbranch_execz .LBB108_6
; %bb.3:                                ;   in Loop: Header=BB108_2 Depth=1
	s_mov_b64 s[18:19], 0
	v_mov_b32_e32 v56, v7
	v_mov_b32_e32 v57, v8
.LBB108_4:                              ;   Parent Loop BB108_2 Depth=1
                                        ; =>  This Inner Loop Header: Depth=2
	v_sub_u32_e32 v58, v57, v56
	v_lshrrev_b32_e32 v59, 31, v58
	v_add_u32_e32 v58, v58, v59
	v_ashrrev_i32_e32 v58, 1, v58
	v_add_u32_e32 v58, v58, v56
	v_not_b32_e32 v60, v58
	v_add_u32_e32 v59, v3, v58
	v_add3_u32 v60, v4, v60, v5
	ds_read_u8 v59, v59
	ds_read_u8 v60, v60
	v_add_u32_e32 v61, 1, v58
	s_waitcnt lgkmcnt(0)
	v_cmp_lt_u16_e64 s[14:15], v60, v59
	s_nop 1
	v_cndmask_b32_e64 v57, v57, v58, s[14:15]
	v_cndmask_b32_e64 v56, v61, v56, s[14:15]
	v_cmp_ge_i32_e64 s[14:15], v56, v57
	s_or_b64 s[18:19], s[14:15], s[18:19]
	s_andn2_b64 exec, exec, s[18:19]
	s_cbranch_execnz .LBB108_4
; %bb.5:                                ;   in Loop: Header=BB108_2 Depth=1
	s_or_b64 exec, exec, s[18:19]
.LBB108_6:                              ;   in Loop: Header=BB108_2 Depth=1
	s_or_b64 exec, exec, s[16:17]
	v_add_u32_e32 v60, v56, v3
	v_sub_u32_e32 v61, v9, v56
	ds_read_u8 v56, v60
	ds_read_u8 v57, v61
	v_cmp_le_i32_e64 s[16:17], v5, v60
	v_cmp_gt_i32_e64 s[14:15], v6, v61
                                        ; implicit-def: $vgpr58
                                        ; implicit-def: $vgpr59
	s_waitcnt lgkmcnt(0)
	v_cmp_lt_u16_sdwa s[18:19], v57, v56 src0_sel:BYTE_0 src1_sel:BYTE_0
	s_or_b64 s[16:17], s[16:17], s[18:19]
	s_and_b64 s[14:15], s[14:15], s[16:17]
	s_xor_b64 s[16:17], s[14:15], -1
	s_and_saveexec_b64 s[18:19], s[16:17]
	s_xor_b64 s[16:17], exec, s[18:19]
	s_cbranch_execz .LBB108_8
; %bb.7:                                ;   in Loop: Header=BB108_2 Depth=1
	ds_read_u8 v59, v60 offset:1
	v_mov_b32_e32 v58, v57
.LBB108_8:                              ;   in Loop: Header=BB108_2 Depth=1
	s_andn2_saveexec_b64 s[16:17], s[16:17]
	s_cbranch_execz .LBB108_10
; %bb.9:                                ;   in Loop: Header=BB108_2 Depth=1
	ds_read_u8 v58, v61 offset:1
	s_waitcnt lgkmcnt(1)
	v_mov_b32_e32 v59, v56
.LBB108_10:                             ;   in Loop: Header=BB108_2 Depth=1
	s_or_b64 exec, exec, s[16:17]
	v_add_u32_e32 v63, 1, v60
	v_add_u32_e32 v62, 1, v61
	v_cndmask_b32_e64 v63, v63, v60, s[14:15]
	v_cndmask_b32_e64 v62, v61, v62, s[14:15]
	v_cmp_ge_i32_e64 s[18:19], v63, v5
	s_waitcnt lgkmcnt(0)
	v_cmp_lt_u16_sdwa s[20:21], v58, v59 src0_sel:BYTE_0 src1_sel:BYTE_0
	v_cmp_lt_i32_e64 s[16:17], v62, v6
	s_or_b64 s[18:19], s[18:19], s[20:21]
	s_and_b64 s[16:17], s[16:17], s[18:19]
	s_xor_b64 s[18:19], s[16:17], -1
                                        ; implicit-def: $vgpr60
	s_and_saveexec_b64 s[20:21], s[18:19]
	s_xor_b64 s[18:19], exec, s[20:21]
	s_cbranch_execz .LBB108_12
; %bb.11:                               ;   in Loop: Header=BB108_2 Depth=1
	ds_read_u8 v60, v63 offset:1
.LBB108_12:                             ;   in Loop: Header=BB108_2 Depth=1
	s_or_saveexec_b64 s[18:19], s[18:19]
	v_mov_b32_e32 v61, v58
	s_xor_b64 exec, exec, s[18:19]
	s_cbranch_execz .LBB108_14
; %bb.13:                               ;   in Loop: Header=BB108_2 Depth=1
	ds_read_u8 v61, v62 offset:1
	s_waitcnt lgkmcnt(1)
	v_mov_b32_e32 v60, v59
.LBB108_14:                             ;   in Loop: Header=BB108_2 Depth=1
	s_or_b64 exec, exec, s[18:19]
	v_add_u32_e32 v65, 1, v63
	v_add_u32_e32 v64, 1, v62
	v_cndmask_b32_e64 v65, v65, v63, s[16:17]
	v_cndmask_b32_e64 v64, v62, v64, s[16:17]
	v_cmp_ge_i32_e64 s[20:21], v65, v5
	s_waitcnt lgkmcnt(0)
	v_cmp_lt_u16_sdwa s[22:23], v61, v60 src0_sel:BYTE_0 src1_sel:BYTE_0
	v_cmp_lt_i32_e64 s[18:19], v64, v6
	s_or_b64 s[20:21], s[20:21], s[22:23]
	s_and_b64 s[18:19], s[18:19], s[20:21]
	s_xor_b64 s[20:21], s[18:19], -1
                                        ; implicit-def: $vgpr62
	s_and_saveexec_b64 s[22:23], s[20:21]
	s_xor_b64 s[20:21], exec, s[22:23]
	s_cbranch_execz .LBB108_16
; %bb.15:                               ;   in Loop: Header=BB108_2 Depth=1
	ds_read_u8 v62, v65 offset:1
.LBB108_16:                             ;   in Loop: Header=BB108_2 Depth=1
	s_or_saveexec_b64 s[20:21], s[20:21]
	v_mov_b32_e32 v63, v61
	s_xor_b64 exec, exec, s[20:21]
	s_cbranch_execz .LBB108_18
; %bb.17:                               ;   in Loop: Header=BB108_2 Depth=1
	ds_read_u8 v63, v64 offset:1
	s_waitcnt lgkmcnt(1)
	v_mov_b32_e32 v62, v60
.LBB108_18:                             ;   in Loop: Header=BB108_2 Depth=1
	s_or_b64 exec, exec, s[20:21]
	v_add_u32_e32 v67, 1, v65
	v_add_u32_e32 v66, 1, v64
	v_cndmask_b32_e64 v67, v67, v65, s[18:19]
	v_cndmask_b32_e64 v66, v64, v66, s[18:19]
	v_cmp_ge_i32_e64 s[22:23], v67, v5
	s_waitcnt lgkmcnt(0)
	v_cmp_lt_u16_sdwa s[24:25], v63, v62 src0_sel:BYTE_0 src1_sel:BYTE_0
	v_cmp_lt_i32_e64 s[20:21], v66, v6
	s_or_b64 s[22:23], s[22:23], s[24:25]
	s_and_b64 s[20:21], s[20:21], s[22:23]
	s_xor_b64 s[22:23], s[20:21], -1
                                        ; implicit-def: $vgpr64
	s_and_saveexec_b64 s[24:25], s[22:23]
	s_xor_b64 s[22:23], exec, s[24:25]
	s_cbranch_execz .LBB108_20
; %bb.19:                               ;   in Loop: Header=BB108_2 Depth=1
	ds_read_u8 v64, v67 offset:1
.LBB108_20:                             ;   in Loop: Header=BB108_2 Depth=1
	s_or_saveexec_b64 s[22:23], s[22:23]
	v_mov_b32_e32 v65, v63
	s_xor_b64 exec, exec, s[22:23]
	s_cbranch_execz .LBB108_22
; %bb.21:                               ;   in Loop: Header=BB108_2 Depth=1
	ds_read_u8 v65, v66 offset:1
	s_waitcnt lgkmcnt(1)
	v_mov_b32_e32 v64, v62
.LBB108_22:                             ;   in Loop: Header=BB108_2 Depth=1
	s_or_b64 exec, exec, s[22:23]
	v_add_u32_e32 v69, 1, v67
	v_add_u32_e32 v68, 1, v66
	v_cndmask_b32_e64 v69, v69, v67, s[20:21]
	v_cndmask_b32_e64 v68, v66, v68, s[20:21]
	v_cmp_ge_i32_e64 s[24:25], v69, v5
	s_waitcnt lgkmcnt(0)
	v_cmp_lt_u16_sdwa s[26:27], v65, v64 src0_sel:BYTE_0 src1_sel:BYTE_0
	v_cmp_lt_i32_e64 s[22:23], v68, v6
	s_or_b64 s[24:25], s[24:25], s[26:27]
	s_and_b64 s[22:23], s[22:23], s[24:25]
	s_xor_b64 s[24:25], s[22:23], -1
                                        ; implicit-def: $vgpr66
	s_and_saveexec_b64 s[26:27], s[24:25]
	s_xor_b64 s[24:25], exec, s[26:27]
	s_cbranch_execz .LBB108_24
; %bb.23:                               ;   in Loop: Header=BB108_2 Depth=1
	ds_read_u8 v66, v69 offset:1
.LBB108_24:                             ;   in Loop: Header=BB108_2 Depth=1
	s_or_saveexec_b64 s[24:25], s[24:25]
	v_mov_b32_e32 v67, v65
	s_xor_b64 exec, exec, s[24:25]
	s_cbranch_execz .LBB108_26
; %bb.25:                               ;   in Loop: Header=BB108_2 Depth=1
	ds_read_u8 v67, v68 offset:1
	s_waitcnt lgkmcnt(1)
	v_mov_b32_e32 v66, v64
.LBB108_26:                             ;   in Loop: Header=BB108_2 Depth=1
	s_or_b64 exec, exec, s[24:25]
	v_add_u32_e32 v71, 1, v69
	v_add_u32_e32 v70, 1, v68
	v_cndmask_b32_e64 v72, v71, v69, s[22:23]
	v_cndmask_b32_e64 v70, v68, v70, s[22:23]
	v_cmp_ge_i32_e64 s[26:27], v72, v5
	s_waitcnt lgkmcnt(0)
	v_cmp_lt_u16_sdwa s[28:29], v67, v66 src0_sel:BYTE_0 src1_sel:BYTE_0
	v_cmp_lt_i32_e64 s[24:25], v70, v6
	s_or_b64 s[26:27], s[26:27], s[28:29]
	s_and_b64 s[24:25], s[24:25], s[26:27]
	s_xor_b64 s[26:27], s[24:25], -1
                                        ; implicit-def: $vgpr68
	s_and_saveexec_b64 s[28:29], s[26:27]
	s_xor_b64 s[26:27], exec, s[28:29]
	s_cbranch_execz .LBB108_28
; %bb.27:                               ;   in Loop: Header=BB108_2 Depth=1
	ds_read_u8 v68, v72 offset:1
.LBB108_28:                             ;   in Loop: Header=BB108_2 Depth=1
	s_or_saveexec_b64 s[26:27], s[26:27]
	v_mov_b32_e32 v69, v67
	s_xor_b64 exec, exec, s[26:27]
	s_cbranch_execz .LBB108_30
; %bb.29:                               ;   in Loop: Header=BB108_2 Depth=1
	ds_read_u8 v69, v70 offset:1
	s_waitcnt lgkmcnt(1)
	v_mov_b32_e32 v68, v66
.LBB108_30:                             ;   in Loop: Header=BB108_2 Depth=1
	s_or_b64 exec, exec, s[26:27]
	v_add_u32_e32 v73, 1, v72
	v_add_u32_e32 v71, 1, v70
	v_cndmask_b32_e64 v72, v73, v72, s[24:25]
	v_cndmask_b32_e64 v71, v70, v71, s[24:25]
	v_cmp_ge_i32_e64 s[28:29], v72, v5
	s_waitcnt lgkmcnt(0)
	v_cmp_lt_u16_sdwa s[44:45], v69, v68 src0_sel:BYTE_0 src1_sel:BYTE_0
	v_cmp_lt_i32_e64 s[26:27], v71, v6
	s_or_b64 s[28:29], s[28:29], s[44:45]
	s_and_b64 s[26:27], s[26:27], s[28:29]
	s_xor_b64 s[28:29], s[26:27], -1
                                        ; implicit-def: $vgpr70
	s_and_saveexec_b64 s[44:45], s[28:29]
	s_xor_b64 s[28:29], exec, s[44:45]
	s_cbranch_execz .LBB108_32
; %bb.31:                               ;   in Loop: Header=BB108_2 Depth=1
	ds_read_u8 v70, v72 offset:1
.LBB108_32:                             ;   in Loop: Header=BB108_2 Depth=1
	s_or_saveexec_b64 s[28:29], s[28:29]
	v_mov_b32_e32 v73, v69
	s_xor_b64 exec, exec, s[28:29]
	s_cbranch_execz .LBB108_34
; %bb.33:                               ;   in Loop: Header=BB108_2 Depth=1
	ds_read_u8 v73, v71 offset:1
	s_waitcnt lgkmcnt(1)
	v_mov_b32_e32 v70, v68
.LBB108_34:                             ;   in Loop: Header=BB108_2 Depth=1
	s_or_b64 exec, exec, s[28:29]
	v_cndmask_b32_e64 v68, v68, v69, s[26:27]
	v_add_u32_e32 v69, 1, v71
	v_add_u32_e32 v74, 1, v72
	v_cndmask_b32_e64 v69, v71, v69, s[26:27]
	v_cndmask_b32_e64 v71, v74, v72, s[26:27]
	;; [unrolled: 1-line block ×4, first 2 shown]
	v_cmp_ge_i32_e64 s[16:17], v71, v5
	s_waitcnt lgkmcnt(0)
	v_cmp_lt_u16_sdwa s[18:19], v73, v70 src0_sel:BYTE_0 src1_sel:BYTE_0
	v_cndmask_b32_e64 v62, v62, v63, s[20:21]
	v_cndmask_b32_e64 v56, v56, v57, s[14:15]
	v_cmp_lt_i32_e64 s[14:15], v69, v6
	s_or_b64 s[16:17], s[16:17], s[18:19]
	v_lshlrev_b16_e32 v58, 8, v58
	s_and_b64 s[14:15], s[14:15], s[16:17]
	v_or_b32_sdwa v56, v56, v58 dst_sel:DWORD dst_unused:UNUSED_PAD src0_sel:BYTE_0 src1_sel:DWORD
	v_lshlrev_b16_e32 v58, 8, v62
	v_cndmask_b32_e64 v66, v66, v67, s[24:25]
	v_cndmask_b32_e64 v57, v70, v73, s[14:15]
	v_or_b32_sdwa v58, v60, v58 dst_sel:WORD_1 dst_unused:UNUSED_PAD src0_sel:BYTE_0 src1_sel:DWORD
	v_cndmask_b32_e64 v64, v64, v65, s[22:23]
	v_or_b32_sdwa v56, v56, v58 dst_sel:DWORD dst_unused:UNUSED_PAD src0_sel:WORD_0 src1_sel:DWORD
	v_lshlrev_b16_e32 v58, 8, v66
	v_lshlrev_b16_e32 v57, 8, v57
	v_or_b32_sdwa v58, v64, v58 dst_sel:DWORD dst_unused:UNUSED_PAD src0_sel:BYTE_0 src1_sel:DWORD
	v_or_b32_sdwa v57, v68, v57 dst_sel:WORD_1 dst_unused:UNUSED_PAD src0_sel:BYTE_0 src1_sel:DWORD
	s_nop 0
	v_or_b32_sdwa v57, v58, v57 dst_sel:DWORD dst_unused:UNUSED_PAD src0_sel:WORD_0 src1_sel:DWORD
	s_barrier
	ds_write_b64 v2, v[56:57]
	v_mov_b32_e32 v56, v14
	s_waitcnt lgkmcnt(0)
	s_barrier
	s_and_saveexec_b64 s[16:17], s[0:1]
	s_cbranch_execz .LBB108_38
; %bb.35:                               ;   in Loop: Header=BB108_2 Depth=1
	s_mov_b64 s[18:19], 0
	v_mov_b32_e32 v56, v14
	v_mov_b32_e32 v57, v15
.LBB108_36:                             ;   Parent Loop BB108_2 Depth=1
                                        ; =>  This Inner Loop Header: Depth=2
	v_sub_u32_e32 v58, v57, v56
	v_lshrrev_b32_e32 v59, 31, v58
	v_add_u32_e32 v58, v58, v59
	v_ashrrev_i32_e32 v58, 1, v58
	v_add_u32_e32 v58, v58, v56
	v_not_b32_e32 v60, v58
	v_add_u32_e32 v59, v10, v58
	v_add3_u32 v60, v11, v60, v12
	ds_read_u8 v59, v59
	ds_read_u8 v60, v60
	v_add_u32_e32 v61, 1, v58
	s_waitcnt lgkmcnt(0)
	v_cmp_lt_u16_e64 s[14:15], v60, v59
	s_nop 1
	v_cndmask_b32_e64 v57, v57, v58, s[14:15]
	v_cndmask_b32_e64 v56, v61, v56, s[14:15]
	v_cmp_ge_i32_e64 s[14:15], v56, v57
	s_or_b64 s[18:19], s[14:15], s[18:19]
	s_andn2_b64 exec, exec, s[18:19]
	s_cbranch_execnz .LBB108_36
; %bb.37:                               ;   in Loop: Header=BB108_2 Depth=1
	s_or_b64 exec, exec, s[18:19]
.LBB108_38:                             ;   in Loop: Header=BB108_2 Depth=1
	s_or_b64 exec, exec, s[16:17]
	v_add_u32_e32 v60, v56, v10
	v_sub_u32_e32 v61, v16, v56
	ds_read_u8 v56, v60
	ds_read_u8 v57, v61
	v_cmp_le_i32_e64 s[16:17], v12, v60
	v_cmp_gt_i32_e64 s[14:15], v13, v61
                                        ; implicit-def: $vgpr58
                                        ; implicit-def: $vgpr59
	s_waitcnt lgkmcnt(0)
	v_cmp_lt_u16_sdwa s[18:19], v57, v56 src0_sel:BYTE_0 src1_sel:BYTE_0
	s_or_b64 s[16:17], s[16:17], s[18:19]
	s_and_b64 s[14:15], s[14:15], s[16:17]
	s_xor_b64 s[16:17], s[14:15], -1
	s_and_saveexec_b64 s[18:19], s[16:17]
	s_xor_b64 s[16:17], exec, s[18:19]
	s_cbranch_execz .LBB108_40
; %bb.39:                               ;   in Loop: Header=BB108_2 Depth=1
	ds_read_u8 v59, v60 offset:1
	v_mov_b32_e32 v58, v57
.LBB108_40:                             ;   in Loop: Header=BB108_2 Depth=1
	s_andn2_saveexec_b64 s[16:17], s[16:17]
	s_cbranch_execz .LBB108_42
; %bb.41:                               ;   in Loop: Header=BB108_2 Depth=1
	ds_read_u8 v58, v61 offset:1
	s_waitcnt lgkmcnt(1)
	v_mov_b32_e32 v59, v56
.LBB108_42:                             ;   in Loop: Header=BB108_2 Depth=1
	s_or_b64 exec, exec, s[16:17]
	v_add_u32_e32 v63, 1, v60
	v_add_u32_e32 v62, 1, v61
	v_cndmask_b32_e64 v63, v63, v60, s[14:15]
	v_cndmask_b32_e64 v62, v61, v62, s[14:15]
	v_cmp_ge_i32_e64 s[18:19], v63, v12
	s_waitcnt lgkmcnt(0)
	v_cmp_lt_u16_sdwa s[20:21], v58, v59 src0_sel:BYTE_0 src1_sel:BYTE_0
	v_cmp_lt_i32_e64 s[16:17], v62, v13
	s_or_b64 s[18:19], s[18:19], s[20:21]
	s_and_b64 s[16:17], s[16:17], s[18:19]
	s_xor_b64 s[18:19], s[16:17], -1
                                        ; implicit-def: $vgpr60
	s_and_saveexec_b64 s[20:21], s[18:19]
	s_xor_b64 s[18:19], exec, s[20:21]
	s_cbranch_execz .LBB108_44
; %bb.43:                               ;   in Loop: Header=BB108_2 Depth=1
	ds_read_u8 v60, v63 offset:1
.LBB108_44:                             ;   in Loop: Header=BB108_2 Depth=1
	s_or_saveexec_b64 s[18:19], s[18:19]
	v_mov_b32_e32 v61, v58
	s_xor_b64 exec, exec, s[18:19]
	s_cbranch_execz .LBB108_46
; %bb.45:                               ;   in Loop: Header=BB108_2 Depth=1
	ds_read_u8 v61, v62 offset:1
	s_waitcnt lgkmcnt(1)
	v_mov_b32_e32 v60, v59
.LBB108_46:                             ;   in Loop: Header=BB108_2 Depth=1
	s_or_b64 exec, exec, s[18:19]
	v_add_u32_e32 v65, 1, v63
	v_add_u32_e32 v64, 1, v62
	v_cndmask_b32_e64 v65, v65, v63, s[16:17]
	v_cndmask_b32_e64 v64, v62, v64, s[16:17]
	v_cmp_ge_i32_e64 s[20:21], v65, v12
	s_waitcnt lgkmcnt(0)
	v_cmp_lt_u16_sdwa s[22:23], v61, v60 src0_sel:BYTE_0 src1_sel:BYTE_0
	v_cmp_lt_i32_e64 s[18:19], v64, v13
	s_or_b64 s[20:21], s[20:21], s[22:23]
	s_and_b64 s[18:19], s[18:19], s[20:21]
	s_xor_b64 s[20:21], s[18:19], -1
                                        ; implicit-def: $vgpr62
	s_and_saveexec_b64 s[22:23], s[20:21]
	s_xor_b64 s[20:21], exec, s[22:23]
	s_cbranch_execz .LBB108_48
; %bb.47:                               ;   in Loop: Header=BB108_2 Depth=1
	ds_read_u8 v62, v65 offset:1
.LBB108_48:                             ;   in Loop: Header=BB108_2 Depth=1
	s_or_saveexec_b64 s[20:21], s[20:21]
	v_mov_b32_e32 v63, v61
	s_xor_b64 exec, exec, s[20:21]
	s_cbranch_execz .LBB108_50
; %bb.49:                               ;   in Loop: Header=BB108_2 Depth=1
	ds_read_u8 v63, v64 offset:1
	s_waitcnt lgkmcnt(1)
	v_mov_b32_e32 v62, v60
.LBB108_50:                             ;   in Loop: Header=BB108_2 Depth=1
	s_or_b64 exec, exec, s[20:21]
	v_add_u32_e32 v67, 1, v65
	v_add_u32_e32 v66, 1, v64
	v_cndmask_b32_e64 v67, v67, v65, s[18:19]
	v_cndmask_b32_e64 v66, v64, v66, s[18:19]
	v_cmp_ge_i32_e64 s[22:23], v67, v12
	s_waitcnt lgkmcnt(0)
	v_cmp_lt_u16_sdwa s[24:25], v63, v62 src0_sel:BYTE_0 src1_sel:BYTE_0
	v_cmp_lt_i32_e64 s[20:21], v66, v13
	s_or_b64 s[22:23], s[22:23], s[24:25]
	s_and_b64 s[20:21], s[20:21], s[22:23]
	s_xor_b64 s[22:23], s[20:21], -1
                                        ; implicit-def: $vgpr64
	s_and_saveexec_b64 s[24:25], s[22:23]
	s_xor_b64 s[22:23], exec, s[24:25]
	s_cbranch_execz .LBB108_52
; %bb.51:                               ;   in Loop: Header=BB108_2 Depth=1
	ds_read_u8 v64, v67 offset:1
.LBB108_52:                             ;   in Loop: Header=BB108_2 Depth=1
	s_or_saveexec_b64 s[22:23], s[22:23]
	v_mov_b32_e32 v65, v63
	s_xor_b64 exec, exec, s[22:23]
	s_cbranch_execz .LBB108_54
; %bb.53:                               ;   in Loop: Header=BB108_2 Depth=1
	ds_read_u8 v65, v66 offset:1
	s_waitcnt lgkmcnt(1)
	v_mov_b32_e32 v64, v62
.LBB108_54:                             ;   in Loop: Header=BB108_2 Depth=1
	s_or_b64 exec, exec, s[22:23]
	v_add_u32_e32 v69, 1, v67
	v_add_u32_e32 v68, 1, v66
	v_cndmask_b32_e64 v69, v69, v67, s[20:21]
	v_cndmask_b32_e64 v68, v66, v68, s[20:21]
	v_cmp_ge_i32_e64 s[24:25], v69, v12
	s_waitcnt lgkmcnt(0)
	v_cmp_lt_u16_sdwa s[26:27], v65, v64 src0_sel:BYTE_0 src1_sel:BYTE_0
	v_cmp_lt_i32_e64 s[22:23], v68, v13
	s_or_b64 s[24:25], s[24:25], s[26:27]
	s_and_b64 s[22:23], s[22:23], s[24:25]
	s_xor_b64 s[24:25], s[22:23], -1
                                        ; implicit-def: $vgpr66
	s_and_saveexec_b64 s[26:27], s[24:25]
	s_xor_b64 s[24:25], exec, s[26:27]
	s_cbranch_execz .LBB108_56
; %bb.55:                               ;   in Loop: Header=BB108_2 Depth=1
	ds_read_u8 v66, v69 offset:1
.LBB108_56:                             ;   in Loop: Header=BB108_2 Depth=1
	s_or_saveexec_b64 s[24:25], s[24:25]
	v_mov_b32_e32 v67, v65
	s_xor_b64 exec, exec, s[24:25]
	s_cbranch_execz .LBB108_58
; %bb.57:                               ;   in Loop: Header=BB108_2 Depth=1
	ds_read_u8 v67, v68 offset:1
	s_waitcnt lgkmcnt(1)
	v_mov_b32_e32 v66, v64
.LBB108_58:                             ;   in Loop: Header=BB108_2 Depth=1
	s_or_b64 exec, exec, s[24:25]
	v_add_u32_e32 v71, 1, v69
	v_add_u32_e32 v70, 1, v68
	v_cndmask_b32_e64 v72, v71, v69, s[22:23]
	v_cndmask_b32_e64 v70, v68, v70, s[22:23]
	v_cmp_ge_i32_e64 s[26:27], v72, v12
	s_waitcnt lgkmcnt(0)
	v_cmp_lt_u16_sdwa s[28:29], v67, v66 src0_sel:BYTE_0 src1_sel:BYTE_0
	v_cmp_lt_i32_e64 s[24:25], v70, v13
	s_or_b64 s[26:27], s[26:27], s[28:29]
	s_and_b64 s[24:25], s[24:25], s[26:27]
	s_xor_b64 s[26:27], s[24:25], -1
                                        ; implicit-def: $vgpr68
	s_and_saveexec_b64 s[28:29], s[26:27]
	s_xor_b64 s[26:27], exec, s[28:29]
	s_cbranch_execz .LBB108_60
; %bb.59:                               ;   in Loop: Header=BB108_2 Depth=1
	ds_read_u8 v68, v72 offset:1
.LBB108_60:                             ;   in Loop: Header=BB108_2 Depth=1
	s_or_saveexec_b64 s[26:27], s[26:27]
	v_mov_b32_e32 v69, v67
	s_xor_b64 exec, exec, s[26:27]
	s_cbranch_execz .LBB108_62
; %bb.61:                               ;   in Loop: Header=BB108_2 Depth=1
	ds_read_u8 v69, v70 offset:1
	s_waitcnt lgkmcnt(1)
	v_mov_b32_e32 v68, v66
.LBB108_62:                             ;   in Loop: Header=BB108_2 Depth=1
	s_or_b64 exec, exec, s[26:27]
	v_add_u32_e32 v73, 1, v72
	v_add_u32_e32 v71, 1, v70
	v_cndmask_b32_e64 v72, v73, v72, s[24:25]
	v_cndmask_b32_e64 v71, v70, v71, s[24:25]
	v_cmp_ge_i32_e64 s[28:29], v72, v12
	s_waitcnt lgkmcnt(0)
	v_cmp_lt_u16_sdwa s[44:45], v69, v68 src0_sel:BYTE_0 src1_sel:BYTE_0
	v_cmp_lt_i32_e64 s[26:27], v71, v13
	s_or_b64 s[28:29], s[28:29], s[44:45]
	s_and_b64 s[26:27], s[26:27], s[28:29]
	s_xor_b64 s[28:29], s[26:27], -1
                                        ; implicit-def: $vgpr70
	s_and_saveexec_b64 s[44:45], s[28:29]
	s_xor_b64 s[28:29], exec, s[44:45]
	s_cbranch_execz .LBB108_64
; %bb.63:                               ;   in Loop: Header=BB108_2 Depth=1
	ds_read_u8 v70, v72 offset:1
.LBB108_64:                             ;   in Loop: Header=BB108_2 Depth=1
	s_or_saveexec_b64 s[28:29], s[28:29]
	v_mov_b32_e32 v73, v69
	s_xor_b64 exec, exec, s[28:29]
	s_cbranch_execz .LBB108_66
; %bb.65:                               ;   in Loop: Header=BB108_2 Depth=1
	ds_read_u8 v73, v71 offset:1
	s_waitcnt lgkmcnt(1)
	v_mov_b32_e32 v70, v68
.LBB108_66:                             ;   in Loop: Header=BB108_2 Depth=1
	s_or_b64 exec, exec, s[28:29]
	v_cndmask_b32_e64 v68, v68, v69, s[26:27]
	v_add_u32_e32 v69, 1, v71
	v_add_u32_e32 v74, 1, v72
	v_cndmask_b32_e64 v69, v71, v69, s[26:27]
	v_cndmask_b32_e64 v71, v74, v72, s[26:27]
	;; [unrolled: 1-line block ×4, first 2 shown]
	v_cmp_ge_i32_e64 s[16:17], v71, v12
	s_waitcnt lgkmcnt(0)
	v_cmp_lt_u16_sdwa s[18:19], v73, v70 src0_sel:BYTE_0 src1_sel:BYTE_0
	v_cndmask_b32_e64 v62, v62, v63, s[20:21]
	v_cndmask_b32_e64 v56, v56, v57, s[14:15]
	v_cmp_lt_i32_e64 s[14:15], v69, v13
	s_or_b64 s[16:17], s[16:17], s[18:19]
	v_lshlrev_b16_e32 v58, 8, v58
	s_and_b64 s[14:15], s[14:15], s[16:17]
	v_or_b32_sdwa v56, v56, v58 dst_sel:DWORD dst_unused:UNUSED_PAD src0_sel:BYTE_0 src1_sel:DWORD
	v_lshlrev_b16_e32 v58, 8, v62
	v_cndmask_b32_e64 v66, v66, v67, s[24:25]
	v_cndmask_b32_e64 v57, v70, v73, s[14:15]
	v_or_b32_sdwa v58, v60, v58 dst_sel:WORD_1 dst_unused:UNUSED_PAD src0_sel:BYTE_0 src1_sel:DWORD
	v_cndmask_b32_e64 v64, v64, v65, s[22:23]
	v_or_b32_sdwa v56, v56, v58 dst_sel:DWORD dst_unused:UNUSED_PAD src0_sel:WORD_0 src1_sel:DWORD
	v_lshlrev_b16_e32 v58, 8, v66
	v_lshlrev_b16_e32 v57, 8, v57
	v_or_b32_sdwa v58, v64, v58 dst_sel:DWORD dst_unused:UNUSED_PAD src0_sel:BYTE_0 src1_sel:DWORD
	v_or_b32_sdwa v57, v68, v57 dst_sel:WORD_1 dst_unused:UNUSED_PAD src0_sel:BYTE_0 src1_sel:DWORD
	s_nop 0
	v_or_b32_sdwa v57, v58, v57 dst_sel:DWORD dst_unused:UNUSED_PAD src0_sel:WORD_0 src1_sel:DWORD
	s_barrier
	ds_write_b64 v2, v[56:57]
	v_mov_b32_e32 v56, v21
	s_waitcnt lgkmcnt(0)
	s_barrier
	s_and_saveexec_b64 s[16:17], s[2:3]
	s_cbranch_execz .LBB108_70
; %bb.67:                               ;   in Loop: Header=BB108_2 Depth=1
	s_mov_b64 s[18:19], 0
	v_mov_b32_e32 v56, v21
	v_mov_b32_e32 v57, v22
.LBB108_68:                             ;   Parent Loop BB108_2 Depth=1
                                        ; =>  This Inner Loop Header: Depth=2
	v_sub_u32_e32 v58, v57, v56
	v_lshrrev_b32_e32 v59, 31, v58
	v_add_u32_e32 v58, v58, v59
	v_ashrrev_i32_e32 v58, 1, v58
	v_add_u32_e32 v58, v58, v56
	v_not_b32_e32 v60, v58
	v_add_u32_e32 v59, v17, v58
	v_add3_u32 v60, v18, v60, v19
	ds_read_u8 v59, v59
	ds_read_u8 v60, v60
	v_add_u32_e32 v61, 1, v58
	s_waitcnt lgkmcnt(0)
	v_cmp_lt_u16_e64 s[14:15], v60, v59
	s_nop 1
	v_cndmask_b32_e64 v57, v57, v58, s[14:15]
	v_cndmask_b32_e64 v56, v61, v56, s[14:15]
	v_cmp_ge_i32_e64 s[14:15], v56, v57
	s_or_b64 s[18:19], s[14:15], s[18:19]
	s_andn2_b64 exec, exec, s[18:19]
	s_cbranch_execnz .LBB108_68
; %bb.69:                               ;   in Loop: Header=BB108_2 Depth=1
	s_or_b64 exec, exec, s[18:19]
.LBB108_70:                             ;   in Loop: Header=BB108_2 Depth=1
	s_or_b64 exec, exec, s[16:17]
	v_add_u32_e32 v60, v56, v17
	v_sub_u32_e32 v61, v23, v56
	ds_read_u8 v56, v60
	ds_read_u8 v57, v61
	v_cmp_le_i32_e64 s[16:17], v19, v60
	v_cmp_gt_i32_e64 s[14:15], v20, v61
                                        ; implicit-def: $vgpr58
                                        ; implicit-def: $vgpr59
	s_waitcnt lgkmcnt(0)
	v_cmp_lt_u16_sdwa s[18:19], v57, v56 src0_sel:BYTE_0 src1_sel:BYTE_0
	s_or_b64 s[16:17], s[16:17], s[18:19]
	s_and_b64 s[14:15], s[14:15], s[16:17]
	s_xor_b64 s[16:17], s[14:15], -1
	s_and_saveexec_b64 s[18:19], s[16:17]
	s_xor_b64 s[16:17], exec, s[18:19]
	s_cbranch_execz .LBB108_72
; %bb.71:                               ;   in Loop: Header=BB108_2 Depth=1
	ds_read_u8 v59, v60 offset:1
	v_mov_b32_e32 v58, v57
.LBB108_72:                             ;   in Loop: Header=BB108_2 Depth=1
	s_andn2_saveexec_b64 s[16:17], s[16:17]
	s_cbranch_execz .LBB108_74
; %bb.73:                               ;   in Loop: Header=BB108_2 Depth=1
	ds_read_u8 v58, v61 offset:1
	s_waitcnt lgkmcnt(1)
	v_mov_b32_e32 v59, v56
.LBB108_74:                             ;   in Loop: Header=BB108_2 Depth=1
	s_or_b64 exec, exec, s[16:17]
	v_add_u32_e32 v63, 1, v60
	v_add_u32_e32 v62, 1, v61
	v_cndmask_b32_e64 v63, v63, v60, s[14:15]
	v_cndmask_b32_e64 v62, v61, v62, s[14:15]
	v_cmp_ge_i32_e64 s[18:19], v63, v19
	s_waitcnt lgkmcnt(0)
	v_cmp_lt_u16_sdwa s[20:21], v58, v59 src0_sel:BYTE_0 src1_sel:BYTE_0
	v_cmp_lt_i32_e64 s[16:17], v62, v20
	s_or_b64 s[18:19], s[18:19], s[20:21]
	s_and_b64 s[16:17], s[16:17], s[18:19]
	s_xor_b64 s[18:19], s[16:17], -1
                                        ; implicit-def: $vgpr60
	s_and_saveexec_b64 s[20:21], s[18:19]
	s_xor_b64 s[18:19], exec, s[20:21]
	s_cbranch_execz .LBB108_76
; %bb.75:                               ;   in Loop: Header=BB108_2 Depth=1
	ds_read_u8 v60, v63 offset:1
.LBB108_76:                             ;   in Loop: Header=BB108_2 Depth=1
	s_or_saveexec_b64 s[18:19], s[18:19]
	v_mov_b32_e32 v61, v58
	s_xor_b64 exec, exec, s[18:19]
	s_cbranch_execz .LBB108_78
; %bb.77:                               ;   in Loop: Header=BB108_2 Depth=1
	ds_read_u8 v61, v62 offset:1
	s_waitcnt lgkmcnt(1)
	v_mov_b32_e32 v60, v59
.LBB108_78:                             ;   in Loop: Header=BB108_2 Depth=1
	s_or_b64 exec, exec, s[18:19]
	v_add_u32_e32 v65, 1, v63
	v_add_u32_e32 v64, 1, v62
	v_cndmask_b32_e64 v65, v65, v63, s[16:17]
	v_cndmask_b32_e64 v64, v62, v64, s[16:17]
	v_cmp_ge_i32_e64 s[20:21], v65, v19
	s_waitcnt lgkmcnt(0)
	v_cmp_lt_u16_sdwa s[22:23], v61, v60 src0_sel:BYTE_0 src1_sel:BYTE_0
	v_cmp_lt_i32_e64 s[18:19], v64, v20
	s_or_b64 s[20:21], s[20:21], s[22:23]
	s_and_b64 s[18:19], s[18:19], s[20:21]
	s_xor_b64 s[20:21], s[18:19], -1
                                        ; implicit-def: $vgpr62
	s_and_saveexec_b64 s[22:23], s[20:21]
	s_xor_b64 s[20:21], exec, s[22:23]
	s_cbranch_execz .LBB108_80
; %bb.79:                               ;   in Loop: Header=BB108_2 Depth=1
	ds_read_u8 v62, v65 offset:1
.LBB108_80:                             ;   in Loop: Header=BB108_2 Depth=1
	s_or_saveexec_b64 s[20:21], s[20:21]
	v_mov_b32_e32 v63, v61
	s_xor_b64 exec, exec, s[20:21]
	s_cbranch_execz .LBB108_82
; %bb.81:                               ;   in Loop: Header=BB108_2 Depth=1
	ds_read_u8 v63, v64 offset:1
	s_waitcnt lgkmcnt(1)
	v_mov_b32_e32 v62, v60
.LBB108_82:                             ;   in Loop: Header=BB108_2 Depth=1
	s_or_b64 exec, exec, s[20:21]
	v_add_u32_e32 v67, 1, v65
	v_add_u32_e32 v66, 1, v64
	v_cndmask_b32_e64 v67, v67, v65, s[18:19]
	v_cndmask_b32_e64 v66, v64, v66, s[18:19]
	v_cmp_ge_i32_e64 s[22:23], v67, v19
	s_waitcnt lgkmcnt(0)
	v_cmp_lt_u16_sdwa s[24:25], v63, v62 src0_sel:BYTE_0 src1_sel:BYTE_0
	v_cmp_lt_i32_e64 s[20:21], v66, v20
	s_or_b64 s[22:23], s[22:23], s[24:25]
	s_and_b64 s[20:21], s[20:21], s[22:23]
	s_xor_b64 s[22:23], s[20:21], -1
                                        ; implicit-def: $vgpr64
	s_and_saveexec_b64 s[24:25], s[22:23]
	s_xor_b64 s[22:23], exec, s[24:25]
	s_cbranch_execz .LBB108_84
; %bb.83:                               ;   in Loop: Header=BB108_2 Depth=1
	ds_read_u8 v64, v67 offset:1
.LBB108_84:                             ;   in Loop: Header=BB108_2 Depth=1
	s_or_saveexec_b64 s[22:23], s[22:23]
	v_mov_b32_e32 v65, v63
	s_xor_b64 exec, exec, s[22:23]
	s_cbranch_execz .LBB108_86
; %bb.85:                               ;   in Loop: Header=BB108_2 Depth=1
	ds_read_u8 v65, v66 offset:1
	s_waitcnt lgkmcnt(1)
	v_mov_b32_e32 v64, v62
.LBB108_86:                             ;   in Loop: Header=BB108_2 Depth=1
	s_or_b64 exec, exec, s[22:23]
	v_add_u32_e32 v69, 1, v67
	v_add_u32_e32 v68, 1, v66
	v_cndmask_b32_e64 v69, v69, v67, s[20:21]
	v_cndmask_b32_e64 v68, v66, v68, s[20:21]
	v_cmp_ge_i32_e64 s[24:25], v69, v19
	s_waitcnt lgkmcnt(0)
	v_cmp_lt_u16_sdwa s[26:27], v65, v64 src0_sel:BYTE_0 src1_sel:BYTE_0
	v_cmp_lt_i32_e64 s[22:23], v68, v20
	s_or_b64 s[24:25], s[24:25], s[26:27]
	s_and_b64 s[22:23], s[22:23], s[24:25]
	s_xor_b64 s[24:25], s[22:23], -1
                                        ; implicit-def: $vgpr66
	s_and_saveexec_b64 s[26:27], s[24:25]
	s_xor_b64 s[24:25], exec, s[26:27]
	s_cbranch_execz .LBB108_88
; %bb.87:                               ;   in Loop: Header=BB108_2 Depth=1
	ds_read_u8 v66, v69 offset:1
.LBB108_88:                             ;   in Loop: Header=BB108_2 Depth=1
	s_or_saveexec_b64 s[24:25], s[24:25]
	v_mov_b32_e32 v67, v65
	s_xor_b64 exec, exec, s[24:25]
	s_cbranch_execz .LBB108_90
; %bb.89:                               ;   in Loop: Header=BB108_2 Depth=1
	ds_read_u8 v67, v68 offset:1
	s_waitcnt lgkmcnt(1)
	v_mov_b32_e32 v66, v64
.LBB108_90:                             ;   in Loop: Header=BB108_2 Depth=1
	s_or_b64 exec, exec, s[24:25]
	v_add_u32_e32 v71, 1, v69
	v_add_u32_e32 v70, 1, v68
	v_cndmask_b32_e64 v72, v71, v69, s[22:23]
	v_cndmask_b32_e64 v70, v68, v70, s[22:23]
	v_cmp_ge_i32_e64 s[26:27], v72, v19
	s_waitcnt lgkmcnt(0)
	v_cmp_lt_u16_sdwa s[28:29], v67, v66 src0_sel:BYTE_0 src1_sel:BYTE_0
	v_cmp_lt_i32_e64 s[24:25], v70, v20
	s_or_b64 s[26:27], s[26:27], s[28:29]
	s_and_b64 s[24:25], s[24:25], s[26:27]
	s_xor_b64 s[26:27], s[24:25], -1
                                        ; implicit-def: $vgpr68
	s_and_saveexec_b64 s[28:29], s[26:27]
	s_xor_b64 s[26:27], exec, s[28:29]
	s_cbranch_execz .LBB108_92
; %bb.91:                               ;   in Loop: Header=BB108_2 Depth=1
	ds_read_u8 v68, v72 offset:1
.LBB108_92:                             ;   in Loop: Header=BB108_2 Depth=1
	s_or_saveexec_b64 s[26:27], s[26:27]
	v_mov_b32_e32 v69, v67
	s_xor_b64 exec, exec, s[26:27]
	s_cbranch_execz .LBB108_94
; %bb.93:                               ;   in Loop: Header=BB108_2 Depth=1
	ds_read_u8 v69, v70 offset:1
	s_waitcnt lgkmcnt(1)
	v_mov_b32_e32 v68, v66
.LBB108_94:                             ;   in Loop: Header=BB108_2 Depth=1
	s_or_b64 exec, exec, s[26:27]
	v_add_u32_e32 v73, 1, v72
	v_add_u32_e32 v71, 1, v70
	v_cndmask_b32_e64 v72, v73, v72, s[24:25]
	v_cndmask_b32_e64 v71, v70, v71, s[24:25]
	v_cmp_ge_i32_e64 s[28:29], v72, v19
	s_waitcnt lgkmcnt(0)
	v_cmp_lt_u16_sdwa s[44:45], v69, v68 src0_sel:BYTE_0 src1_sel:BYTE_0
	v_cmp_lt_i32_e64 s[26:27], v71, v20
	s_or_b64 s[28:29], s[28:29], s[44:45]
	s_and_b64 s[26:27], s[26:27], s[28:29]
	s_xor_b64 s[28:29], s[26:27], -1
                                        ; implicit-def: $vgpr70
	s_and_saveexec_b64 s[44:45], s[28:29]
	s_xor_b64 s[28:29], exec, s[44:45]
	s_cbranch_execz .LBB108_96
; %bb.95:                               ;   in Loop: Header=BB108_2 Depth=1
	ds_read_u8 v70, v72 offset:1
.LBB108_96:                             ;   in Loop: Header=BB108_2 Depth=1
	s_or_saveexec_b64 s[28:29], s[28:29]
	v_mov_b32_e32 v73, v69
	s_xor_b64 exec, exec, s[28:29]
	s_cbranch_execz .LBB108_98
; %bb.97:                               ;   in Loop: Header=BB108_2 Depth=1
	ds_read_u8 v73, v71 offset:1
	s_waitcnt lgkmcnt(1)
	v_mov_b32_e32 v70, v68
.LBB108_98:                             ;   in Loop: Header=BB108_2 Depth=1
	s_or_b64 exec, exec, s[28:29]
	v_cndmask_b32_e64 v68, v68, v69, s[26:27]
	v_add_u32_e32 v69, 1, v71
	v_add_u32_e32 v74, 1, v72
	v_cndmask_b32_e64 v69, v71, v69, s[26:27]
	v_cndmask_b32_e64 v71, v74, v72, s[26:27]
	;; [unrolled: 1-line block ×4, first 2 shown]
	v_cmp_ge_i32_e64 s[16:17], v71, v19
	s_waitcnt lgkmcnt(0)
	v_cmp_lt_u16_sdwa s[18:19], v73, v70 src0_sel:BYTE_0 src1_sel:BYTE_0
	v_cndmask_b32_e64 v62, v62, v63, s[20:21]
	v_cndmask_b32_e64 v56, v56, v57, s[14:15]
	v_cmp_lt_i32_e64 s[14:15], v69, v20
	s_or_b64 s[16:17], s[16:17], s[18:19]
	v_lshlrev_b16_e32 v58, 8, v58
	s_and_b64 s[14:15], s[14:15], s[16:17]
	v_or_b32_sdwa v56, v56, v58 dst_sel:DWORD dst_unused:UNUSED_PAD src0_sel:BYTE_0 src1_sel:DWORD
	v_lshlrev_b16_e32 v58, 8, v62
	v_cndmask_b32_e64 v66, v66, v67, s[24:25]
	v_cndmask_b32_e64 v57, v70, v73, s[14:15]
	v_or_b32_sdwa v58, v60, v58 dst_sel:WORD_1 dst_unused:UNUSED_PAD src0_sel:BYTE_0 src1_sel:DWORD
	v_cndmask_b32_e64 v64, v64, v65, s[22:23]
	v_or_b32_sdwa v56, v56, v58 dst_sel:DWORD dst_unused:UNUSED_PAD src0_sel:WORD_0 src1_sel:DWORD
	v_lshlrev_b16_e32 v58, 8, v66
	v_lshlrev_b16_e32 v57, 8, v57
	v_or_b32_sdwa v58, v64, v58 dst_sel:DWORD dst_unused:UNUSED_PAD src0_sel:BYTE_0 src1_sel:DWORD
	v_or_b32_sdwa v57, v68, v57 dst_sel:WORD_1 dst_unused:UNUSED_PAD src0_sel:BYTE_0 src1_sel:DWORD
	s_nop 0
	v_or_b32_sdwa v57, v58, v57 dst_sel:DWORD dst_unused:UNUSED_PAD src0_sel:WORD_0 src1_sel:DWORD
	s_barrier
	ds_write_b64 v2, v[56:57]
	v_mov_b32_e32 v56, v28
	s_waitcnt lgkmcnt(0)
	s_barrier
	s_and_saveexec_b64 s[16:17], s[4:5]
	s_cbranch_execz .LBB108_102
; %bb.99:                               ;   in Loop: Header=BB108_2 Depth=1
	s_mov_b64 s[18:19], 0
	v_mov_b32_e32 v56, v28
	v_mov_b32_e32 v57, v29
.LBB108_100:                            ;   Parent Loop BB108_2 Depth=1
                                        ; =>  This Inner Loop Header: Depth=2
	v_sub_u32_e32 v58, v57, v56
	v_lshrrev_b32_e32 v59, 31, v58
	v_add_u32_e32 v58, v58, v59
	v_ashrrev_i32_e32 v58, 1, v58
	v_add_u32_e32 v58, v58, v56
	v_not_b32_e32 v60, v58
	v_add_u32_e32 v59, v24, v58
	v_add3_u32 v60, v25, v60, v26
	ds_read_u8 v59, v59
	ds_read_u8 v60, v60
	v_add_u32_e32 v61, 1, v58
	s_waitcnt lgkmcnt(0)
	v_cmp_lt_u16_e64 s[14:15], v60, v59
	s_nop 1
	v_cndmask_b32_e64 v57, v57, v58, s[14:15]
	v_cndmask_b32_e64 v56, v61, v56, s[14:15]
	v_cmp_ge_i32_e64 s[14:15], v56, v57
	s_or_b64 s[18:19], s[14:15], s[18:19]
	s_andn2_b64 exec, exec, s[18:19]
	s_cbranch_execnz .LBB108_100
; %bb.101:                              ;   in Loop: Header=BB108_2 Depth=1
	s_or_b64 exec, exec, s[18:19]
.LBB108_102:                            ;   in Loop: Header=BB108_2 Depth=1
	s_or_b64 exec, exec, s[16:17]
	v_add_u32_e32 v60, v56, v24
	v_sub_u32_e32 v61, v30, v56
	ds_read_u8 v56, v60
	ds_read_u8 v57, v61
	v_cmp_le_i32_e64 s[16:17], v26, v60
	v_cmp_gt_i32_e64 s[14:15], v27, v61
                                        ; implicit-def: $vgpr58
                                        ; implicit-def: $vgpr59
	s_waitcnt lgkmcnt(0)
	v_cmp_lt_u16_sdwa s[18:19], v57, v56 src0_sel:BYTE_0 src1_sel:BYTE_0
	s_or_b64 s[16:17], s[16:17], s[18:19]
	s_and_b64 s[14:15], s[14:15], s[16:17]
	s_xor_b64 s[16:17], s[14:15], -1
	s_and_saveexec_b64 s[18:19], s[16:17]
	s_xor_b64 s[16:17], exec, s[18:19]
	s_cbranch_execz .LBB108_104
; %bb.103:                              ;   in Loop: Header=BB108_2 Depth=1
	ds_read_u8 v59, v60 offset:1
	v_mov_b32_e32 v58, v57
.LBB108_104:                            ;   in Loop: Header=BB108_2 Depth=1
	s_andn2_saveexec_b64 s[16:17], s[16:17]
	s_cbranch_execz .LBB108_106
; %bb.105:                              ;   in Loop: Header=BB108_2 Depth=1
	ds_read_u8 v58, v61 offset:1
	s_waitcnt lgkmcnt(1)
	v_mov_b32_e32 v59, v56
.LBB108_106:                            ;   in Loop: Header=BB108_2 Depth=1
	s_or_b64 exec, exec, s[16:17]
	v_add_u32_e32 v63, 1, v60
	v_add_u32_e32 v62, 1, v61
	v_cndmask_b32_e64 v63, v63, v60, s[14:15]
	v_cndmask_b32_e64 v62, v61, v62, s[14:15]
	v_cmp_ge_i32_e64 s[18:19], v63, v26
	s_waitcnt lgkmcnt(0)
	v_cmp_lt_u16_sdwa s[20:21], v58, v59 src0_sel:BYTE_0 src1_sel:BYTE_0
	v_cmp_lt_i32_e64 s[16:17], v62, v27
	s_or_b64 s[18:19], s[18:19], s[20:21]
	s_and_b64 s[16:17], s[16:17], s[18:19]
	s_xor_b64 s[18:19], s[16:17], -1
                                        ; implicit-def: $vgpr60
	s_and_saveexec_b64 s[20:21], s[18:19]
	s_xor_b64 s[18:19], exec, s[20:21]
	s_cbranch_execz .LBB108_108
; %bb.107:                              ;   in Loop: Header=BB108_2 Depth=1
	ds_read_u8 v60, v63 offset:1
.LBB108_108:                            ;   in Loop: Header=BB108_2 Depth=1
	s_or_saveexec_b64 s[18:19], s[18:19]
	v_mov_b32_e32 v61, v58
	s_xor_b64 exec, exec, s[18:19]
	s_cbranch_execz .LBB108_110
; %bb.109:                              ;   in Loop: Header=BB108_2 Depth=1
	ds_read_u8 v61, v62 offset:1
	s_waitcnt lgkmcnt(1)
	v_mov_b32_e32 v60, v59
.LBB108_110:                            ;   in Loop: Header=BB108_2 Depth=1
	s_or_b64 exec, exec, s[18:19]
	v_add_u32_e32 v65, 1, v63
	v_add_u32_e32 v64, 1, v62
	v_cndmask_b32_e64 v65, v65, v63, s[16:17]
	v_cndmask_b32_e64 v64, v62, v64, s[16:17]
	v_cmp_ge_i32_e64 s[20:21], v65, v26
	s_waitcnt lgkmcnt(0)
	v_cmp_lt_u16_sdwa s[22:23], v61, v60 src0_sel:BYTE_0 src1_sel:BYTE_0
	v_cmp_lt_i32_e64 s[18:19], v64, v27
	s_or_b64 s[20:21], s[20:21], s[22:23]
	s_and_b64 s[18:19], s[18:19], s[20:21]
	s_xor_b64 s[20:21], s[18:19], -1
                                        ; implicit-def: $vgpr62
	s_and_saveexec_b64 s[22:23], s[20:21]
	s_xor_b64 s[20:21], exec, s[22:23]
	s_cbranch_execz .LBB108_112
; %bb.111:                              ;   in Loop: Header=BB108_2 Depth=1
	ds_read_u8 v62, v65 offset:1
.LBB108_112:                            ;   in Loop: Header=BB108_2 Depth=1
	s_or_saveexec_b64 s[20:21], s[20:21]
	v_mov_b32_e32 v63, v61
	s_xor_b64 exec, exec, s[20:21]
	s_cbranch_execz .LBB108_114
; %bb.113:                              ;   in Loop: Header=BB108_2 Depth=1
	ds_read_u8 v63, v64 offset:1
	s_waitcnt lgkmcnt(1)
	v_mov_b32_e32 v62, v60
.LBB108_114:                            ;   in Loop: Header=BB108_2 Depth=1
	s_or_b64 exec, exec, s[20:21]
	v_add_u32_e32 v67, 1, v65
	v_add_u32_e32 v66, 1, v64
	v_cndmask_b32_e64 v67, v67, v65, s[18:19]
	v_cndmask_b32_e64 v66, v64, v66, s[18:19]
	v_cmp_ge_i32_e64 s[22:23], v67, v26
	s_waitcnt lgkmcnt(0)
	v_cmp_lt_u16_sdwa s[24:25], v63, v62 src0_sel:BYTE_0 src1_sel:BYTE_0
	v_cmp_lt_i32_e64 s[20:21], v66, v27
	s_or_b64 s[22:23], s[22:23], s[24:25]
	s_and_b64 s[20:21], s[20:21], s[22:23]
	s_xor_b64 s[22:23], s[20:21], -1
                                        ; implicit-def: $vgpr64
	s_and_saveexec_b64 s[24:25], s[22:23]
	s_xor_b64 s[22:23], exec, s[24:25]
	s_cbranch_execz .LBB108_116
; %bb.115:                              ;   in Loop: Header=BB108_2 Depth=1
	ds_read_u8 v64, v67 offset:1
.LBB108_116:                            ;   in Loop: Header=BB108_2 Depth=1
	s_or_saveexec_b64 s[22:23], s[22:23]
	v_mov_b32_e32 v65, v63
	s_xor_b64 exec, exec, s[22:23]
	s_cbranch_execz .LBB108_118
; %bb.117:                              ;   in Loop: Header=BB108_2 Depth=1
	ds_read_u8 v65, v66 offset:1
	s_waitcnt lgkmcnt(1)
	v_mov_b32_e32 v64, v62
.LBB108_118:                            ;   in Loop: Header=BB108_2 Depth=1
	s_or_b64 exec, exec, s[22:23]
	v_add_u32_e32 v69, 1, v67
	v_add_u32_e32 v68, 1, v66
	v_cndmask_b32_e64 v69, v69, v67, s[20:21]
	v_cndmask_b32_e64 v68, v66, v68, s[20:21]
	v_cmp_ge_i32_e64 s[24:25], v69, v26
	s_waitcnt lgkmcnt(0)
	v_cmp_lt_u16_sdwa s[26:27], v65, v64 src0_sel:BYTE_0 src1_sel:BYTE_0
	v_cmp_lt_i32_e64 s[22:23], v68, v27
	s_or_b64 s[24:25], s[24:25], s[26:27]
	s_and_b64 s[22:23], s[22:23], s[24:25]
	s_xor_b64 s[24:25], s[22:23], -1
                                        ; implicit-def: $vgpr66
	s_and_saveexec_b64 s[26:27], s[24:25]
	s_xor_b64 s[24:25], exec, s[26:27]
	s_cbranch_execz .LBB108_120
; %bb.119:                              ;   in Loop: Header=BB108_2 Depth=1
	ds_read_u8 v66, v69 offset:1
.LBB108_120:                            ;   in Loop: Header=BB108_2 Depth=1
	s_or_saveexec_b64 s[24:25], s[24:25]
	v_mov_b32_e32 v67, v65
	s_xor_b64 exec, exec, s[24:25]
	s_cbranch_execz .LBB108_122
; %bb.121:                              ;   in Loop: Header=BB108_2 Depth=1
	ds_read_u8 v67, v68 offset:1
	s_waitcnt lgkmcnt(1)
	v_mov_b32_e32 v66, v64
.LBB108_122:                            ;   in Loop: Header=BB108_2 Depth=1
	s_or_b64 exec, exec, s[24:25]
	v_add_u32_e32 v71, 1, v69
	v_add_u32_e32 v70, 1, v68
	v_cndmask_b32_e64 v72, v71, v69, s[22:23]
	v_cndmask_b32_e64 v70, v68, v70, s[22:23]
	v_cmp_ge_i32_e64 s[26:27], v72, v26
	s_waitcnt lgkmcnt(0)
	v_cmp_lt_u16_sdwa s[28:29], v67, v66 src0_sel:BYTE_0 src1_sel:BYTE_0
	v_cmp_lt_i32_e64 s[24:25], v70, v27
	s_or_b64 s[26:27], s[26:27], s[28:29]
	s_and_b64 s[24:25], s[24:25], s[26:27]
	s_xor_b64 s[26:27], s[24:25], -1
                                        ; implicit-def: $vgpr68
	s_and_saveexec_b64 s[28:29], s[26:27]
	s_xor_b64 s[26:27], exec, s[28:29]
	s_cbranch_execz .LBB108_124
; %bb.123:                              ;   in Loop: Header=BB108_2 Depth=1
	ds_read_u8 v68, v72 offset:1
.LBB108_124:                            ;   in Loop: Header=BB108_2 Depth=1
	s_or_saveexec_b64 s[26:27], s[26:27]
	v_mov_b32_e32 v69, v67
	s_xor_b64 exec, exec, s[26:27]
	s_cbranch_execz .LBB108_126
; %bb.125:                              ;   in Loop: Header=BB108_2 Depth=1
	ds_read_u8 v69, v70 offset:1
	s_waitcnt lgkmcnt(1)
	v_mov_b32_e32 v68, v66
.LBB108_126:                            ;   in Loop: Header=BB108_2 Depth=1
	s_or_b64 exec, exec, s[26:27]
	v_add_u32_e32 v73, 1, v72
	v_add_u32_e32 v71, 1, v70
	v_cndmask_b32_e64 v72, v73, v72, s[24:25]
	v_cndmask_b32_e64 v71, v70, v71, s[24:25]
	v_cmp_ge_i32_e64 s[28:29], v72, v26
	s_waitcnt lgkmcnt(0)
	v_cmp_lt_u16_sdwa s[44:45], v69, v68 src0_sel:BYTE_0 src1_sel:BYTE_0
	v_cmp_lt_i32_e64 s[26:27], v71, v27
	s_or_b64 s[28:29], s[28:29], s[44:45]
	s_and_b64 s[26:27], s[26:27], s[28:29]
	s_xor_b64 s[28:29], s[26:27], -1
                                        ; implicit-def: $vgpr70
	s_and_saveexec_b64 s[44:45], s[28:29]
	s_xor_b64 s[28:29], exec, s[44:45]
	s_cbranch_execz .LBB108_128
; %bb.127:                              ;   in Loop: Header=BB108_2 Depth=1
	ds_read_u8 v70, v72 offset:1
.LBB108_128:                            ;   in Loop: Header=BB108_2 Depth=1
	s_or_saveexec_b64 s[28:29], s[28:29]
	v_mov_b32_e32 v73, v69
	s_xor_b64 exec, exec, s[28:29]
	s_cbranch_execz .LBB108_130
; %bb.129:                              ;   in Loop: Header=BB108_2 Depth=1
	ds_read_u8 v73, v71 offset:1
	s_waitcnt lgkmcnt(1)
	v_mov_b32_e32 v70, v68
.LBB108_130:                            ;   in Loop: Header=BB108_2 Depth=1
	s_or_b64 exec, exec, s[28:29]
	v_cndmask_b32_e64 v68, v68, v69, s[26:27]
	v_add_u32_e32 v69, 1, v71
	v_add_u32_e32 v74, 1, v72
	v_cndmask_b32_e64 v69, v71, v69, s[26:27]
	v_cndmask_b32_e64 v71, v74, v72, s[26:27]
	;; [unrolled: 1-line block ×4, first 2 shown]
	v_cmp_ge_i32_e64 s[16:17], v71, v26
	s_waitcnt lgkmcnt(0)
	v_cmp_lt_u16_sdwa s[18:19], v73, v70 src0_sel:BYTE_0 src1_sel:BYTE_0
	v_cndmask_b32_e64 v62, v62, v63, s[20:21]
	v_cndmask_b32_e64 v56, v56, v57, s[14:15]
	v_cmp_lt_i32_e64 s[14:15], v69, v27
	s_or_b64 s[16:17], s[16:17], s[18:19]
	v_lshlrev_b16_e32 v58, 8, v58
	s_and_b64 s[14:15], s[14:15], s[16:17]
	v_or_b32_sdwa v56, v56, v58 dst_sel:DWORD dst_unused:UNUSED_PAD src0_sel:BYTE_0 src1_sel:DWORD
	v_lshlrev_b16_e32 v58, 8, v62
	v_cndmask_b32_e64 v66, v66, v67, s[24:25]
	v_cndmask_b32_e64 v57, v70, v73, s[14:15]
	v_or_b32_sdwa v58, v60, v58 dst_sel:WORD_1 dst_unused:UNUSED_PAD src0_sel:BYTE_0 src1_sel:DWORD
	v_cndmask_b32_e64 v64, v64, v65, s[22:23]
	v_or_b32_sdwa v56, v56, v58 dst_sel:DWORD dst_unused:UNUSED_PAD src0_sel:WORD_0 src1_sel:DWORD
	v_lshlrev_b16_e32 v58, 8, v66
	v_lshlrev_b16_e32 v57, 8, v57
	v_or_b32_sdwa v58, v64, v58 dst_sel:DWORD dst_unused:UNUSED_PAD src0_sel:BYTE_0 src1_sel:DWORD
	v_or_b32_sdwa v57, v68, v57 dst_sel:WORD_1 dst_unused:UNUSED_PAD src0_sel:BYTE_0 src1_sel:DWORD
	s_nop 0
	v_or_b32_sdwa v57, v58, v57 dst_sel:DWORD dst_unused:UNUSED_PAD src0_sel:WORD_0 src1_sel:DWORD
	s_barrier
	ds_write_b64 v2, v[56:57]
	v_mov_b32_e32 v56, v35
	s_waitcnt lgkmcnt(0)
	s_barrier
	s_and_saveexec_b64 s[16:17], s[6:7]
	s_cbranch_execz .LBB108_134
; %bb.131:                              ;   in Loop: Header=BB108_2 Depth=1
	s_mov_b64 s[18:19], 0
	v_mov_b32_e32 v56, v35
	v_mov_b32_e32 v57, v36
.LBB108_132:                            ;   Parent Loop BB108_2 Depth=1
                                        ; =>  This Inner Loop Header: Depth=2
	v_sub_u32_e32 v58, v57, v56
	v_lshrrev_b32_e32 v59, 31, v58
	v_add_u32_e32 v58, v58, v59
	v_ashrrev_i32_e32 v58, 1, v58
	v_add_u32_e32 v58, v58, v56
	v_not_b32_e32 v60, v58
	v_add_u32_e32 v59, v31, v58
	v_add3_u32 v60, v32, v60, v33
	ds_read_u8 v59, v59
	ds_read_u8 v60, v60
	v_add_u32_e32 v61, 1, v58
	s_waitcnt lgkmcnt(0)
	v_cmp_lt_u16_e64 s[14:15], v60, v59
	s_nop 1
	v_cndmask_b32_e64 v57, v57, v58, s[14:15]
	v_cndmask_b32_e64 v56, v61, v56, s[14:15]
	v_cmp_ge_i32_e64 s[14:15], v56, v57
	s_or_b64 s[18:19], s[14:15], s[18:19]
	s_andn2_b64 exec, exec, s[18:19]
	s_cbranch_execnz .LBB108_132
; %bb.133:                              ;   in Loop: Header=BB108_2 Depth=1
	s_or_b64 exec, exec, s[18:19]
.LBB108_134:                            ;   in Loop: Header=BB108_2 Depth=1
	s_or_b64 exec, exec, s[16:17]
	v_add_u32_e32 v60, v56, v31
	v_sub_u32_e32 v61, v37, v56
	ds_read_u8 v56, v60
	ds_read_u8 v57, v61
	v_cmp_le_i32_e64 s[16:17], v33, v60
	v_cmp_gt_i32_e64 s[14:15], v34, v61
                                        ; implicit-def: $vgpr58
                                        ; implicit-def: $vgpr59
	s_waitcnt lgkmcnt(0)
	v_cmp_lt_u16_sdwa s[18:19], v57, v56 src0_sel:BYTE_0 src1_sel:BYTE_0
	s_or_b64 s[16:17], s[16:17], s[18:19]
	s_and_b64 s[14:15], s[14:15], s[16:17]
	s_xor_b64 s[16:17], s[14:15], -1
	s_and_saveexec_b64 s[18:19], s[16:17]
	s_xor_b64 s[16:17], exec, s[18:19]
	s_cbranch_execz .LBB108_136
; %bb.135:                              ;   in Loop: Header=BB108_2 Depth=1
	ds_read_u8 v59, v60 offset:1
	v_mov_b32_e32 v58, v57
.LBB108_136:                            ;   in Loop: Header=BB108_2 Depth=1
	s_andn2_saveexec_b64 s[16:17], s[16:17]
	s_cbranch_execz .LBB108_138
; %bb.137:                              ;   in Loop: Header=BB108_2 Depth=1
	ds_read_u8 v58, v61 offset:1
	s_waitcnt lgkmcnt(1)
	v_mov_b32_e32 v59, v56
.LBB108_138:                            ;   in Loop: Header=BB108_2 Depth=1
	s_or_b64 exec, exec, s[16:17]
	v_add_u32_e32 v63, 1, v60
	v_add_u32_e32 v62, 1, v61
	v_cndmask_b32_e64 v63, v63, v60, s[14:15]
	v_cndmask_b32_e64 v62, v61, v62, s[14:15]
	v_cmp_ge_i32_e64 s[18:19], v63, v33
	s_waitcnt lgkmcnt(0)
	v_cmp_lt_u16_sdwa s[20:21], v58, v59 src0_sel:BYTE_0 src1_sel:BYTE_0
	v_cmp_lt_i32_e64 s[16:17], v62, v34
	s_or_b64 s[18:19], s[18:19], s[20:21]
	s_and_b64 s[16:17], s[16:17], s[18:19]
	s_xor_b64 s[18:19], s[16:17], -1
                                        ; implicit-def: $vgpr60
	s_and_saveexec_b64 s[20:21], s[18:19]
	s_xor_b64 s[18:19], exec, s[20:21]
	s_cbranch_execz .LBB108_140
; %bb.139:                              ;   in Loop: Header=BB108_2 Depth=1
	ds_read_u8 v60, v63 offset:1
.LBB108_140:                            ;   in Loop: Header=BB108_2 Depth=1
	s_or_saveexec_b64 s[18:19], s[18:19]
	v_mov_b32_e32 v61, v58
	s_xor_b64 exec, exec, s[18:19]
	s_cbranch_execz .LBB108_142
; %bb.141:                              ;   in Loop: Header=BB108_2 Depth=1
	ds_read_u8 v61, v62 offset:1
	s_waitcnt lgkmcnt(1)
	v_mov_b32_e32 v60, v59
.LBB108_142:                            ;   in Loop: Header=BB108_2 Depth=1
	s_or_b64 exec, exec, s[18:19]
	v_add_u32_e32 v65, 1, v63
	v_add_u32_e32 v64, 1, v62
	v_cndmask_b32_e64 v65, v65, v63, s[16:17]
	v_cndmask_b32_e64 v64, v62, v64, s[16:17]
	v_cmp_ge_i32_e64 s[20:21], v65, v33
	s_waitcnt lgkmcnt(0)
	v_cmp_lt_u16_sdwa s[22:23], v61, v60 src0_sel:BYTE_0 src1_sel:BYTE_0
	v_cmp_lt_i32_e64 s[18:19], v64, v34
	s_or_b64 s[20:21], s[20:21], s[22:23]
	s_and_b64 s[18:19], s[18:19], s[20:21]
	s_xor_b64 s[20:21], s[18:19], -1
                                        ; implicit-def: $vgpr62
	s_and_saveexec_b64 s[22:23], s[20:21]
	s_xor_b64 s[20:21], exec, s[22:23]
	s_cbranch_execz .LBB108_144
; %bb.143:                              ;   in Loop: Header=BB108_2 Depth=1
	ds_read_u8 v62, v65 offset:1
.LBB108_144:                            ;   in Loop: Header=BB108_2 Depth=1
	s_or_saveexec_b64 s[20:21], s[20:21]
	v_mov_b32_e32 v63, v61
	s_xor_b64 exec, exec, s[20:21]
	s_cbranch_execz .LBB108_146
; %bb.145:                              ;   in Loop: Header=BB108_2 Depth=1
	ds_read_u8 v63, v64 offset:1
	s_waitcnt lgkmcnt(1)
	v_mov_b32_e32 v62, v60
.LBB108_146:                            ;   in Loop: Header=BB108_2 Depth=1
	s_or_b64 exec, exec, s[20:21]
	v_add_u32_e32 v67, 1, v65
	v_add_u32_e32 v66, 1, v64
	v_cndmask_b32_e64 v67, v67, v65, s[18:19]
	v_cndmask_b32_e64 v66, v64, v66, s[18:19]
	v_cmp_ge_i32_e64 s[22:23], v67, v33
	s_waitcnt lgkmcnt(0)
	v_cmp_lt_u16_sdwa s[24:25], v63, v62 src0_sel:BYTE_0 src1_sel:BYTE_0
	v_cmp_lt_i32_e64 s[20:21], v66, v34
	s_or_b64 s[22:23], s[22:23], s[24:25]
	s_and_b64 s[20:21], s[20:21], s[22:23]
	s_xor_b64 s[22:23], s[20:21], -1
                                        ; implicit-def: $vgpr64
	s_and_saveexec_b64 s[24:25], s[22:23]
	s_xor_b64 s[22:23], exec, s[24:25]
	s_cbranch_execz .LBB108_148
; %bb.147:                              ;   in Loop: Header=BB108_2 Depth=1
	ds_read_u8 v64, v67 offset:1
.LBB108_148:                            ;   in Loop: Header=BB108_2 Depth=1
	s_or_saveexec_b64 s[22:23], s[22:23]
	v_mov_b32_e32 v65, v63
	s_xor_b64 exec, exec, s[22:23]
	s_cbranch_execz .LBB108_150
; %bb.149:                              ;   in Loop: Header=BB108_2 Depth=1
	ds_read_u8 v65, v66 offset:1
	s_waitcnt lgkmcnt(1)
	v_mov_b32_e32 v64, v62
.LBB108_150:                            ;   in Loop: Header=BB108_2 Depth=1
	s_or_b64 exec, exec, s[22:23]
	v_add_u32_e32 v69, 1, v67
	v_add_u32_e32 v68, 1, v66
	v_cndmask_b32_e64 v69, v69, v67, s[20:21]
	v_cndmask_b32_e64 v68, v66, v68, s[20:21]
	v_cmp_ge_i32_e64 s[24:25], v69, v33
	s_waitcnt lgkmcnt(0)
	v_cmp_lt_u16_sdwa s[26:27], v65, v64 src0_sel:BYTE_0 src1_sel:BYTE_0
	v_cmp_lt_i32_e64 s[22:23], v68, v34
	s_or_b64 s[24:25], s[24:25], s[26:27]
	s_and_b64 s[22:23], s[22:23], s[24:25]
	s_xor_b64 s[24:25], s[22:23], -1
                                        ; implicit-def: $vgpr66
	s_and_saveexec_b64 s[26:27], s[24:25]
	s_xor_b64 s[24:25], exec, s[26:27]
	s_cbranch_execz .LBB108_152
; %bb.151:                              ;   in Loop: Header=BB108_2 Depth=1
	ds_read_u8 v66, v69 offset:1
.LBB108_152:                            ;   in Loop: Header=BB108_2 Depth=1
	s_or_saveexec_b64 s[24:25], s[24:25]
	v_mov_b32_e32 v67, v65
	s_xor_b64 exec, exec, s[24:25]
	s_cbranch_execz .LBB108_154
; %bb.153:                              ;   in Loop: Header=BB108_2 Depth=1
	ds_read_u8 v67, v68 offset:1
	s_waitcnt lgkmcnt(1)
	v_mov_b32_e32 v66, v64
.LBB108_154:                            ;   in Loop: Header=BB108_2 Depth=1
	s_or_b64 exec, exec, s[24:25]
	v_add_u32_e32 v71, 1, v69
	v_add_u32_e32 v70, 1, v68
	v_cndmask_b32_e64 v72, v71, v69, s[22:23]
	v_cndmask_b32_e64 v70, v68, v70, s[22:23]
	v_cmp_ge_i32_e64 s[26:27], v72, v33
	s_waitcnt lgkmcnt(0)
	v_cmp_lt_u16_sdwa s[28:29], v67, v66 src0_sel:BYTE_0 src1_sel:BYTE_0
	v_cmp_lt_i32_e64 s[24:25], v70, v34
	s_or_b64 s[26:27], s[26:27], s[28:29]
	s_and_b64 s[24:25], s[24:25], s[26:27]
	s_xor_b64 s[26:27], s[24:25], -1
                                        ; implicit-def: $vgpr68
	s_and_saveexec_b64 s[28:29], s[26:27]
	s_xor_b64 s[26:27], exec, s[28:29]
	s_cbranch_execz .LBB108_156
; %bb.155:                              ;   in Loop: Header=BB108_2 Depth=1
	ds_read_u8 v68, v72 offset:1
.LBB108_156:                            ;   in Loop: Header=BB108_2 Depth=1
	s_or_saveexec_b64 s[26:27], s[26:27]
	v_mov_b32_e32 v69, v67
	s_xor_b64 exec, exec, s[26:27]
	s_cbranch_execz .LBB108_158
; %bb.157:                              ;   in Loop: Header=BB108_2 Depth=1
	ds_read_u8 v69, v70 offset:1
	s_waitcnt lgkmcnt(1)
	v_mov_b32_e32 v68, v66
.LBB108_158:                            ;   in Loop: Header=BB108_2 Depth=1
	s_or_b64 exec, exec, s[26:27]
	v_add_u32_e32 v73, 1, v72
	v_add_u32_e32 v71, 1, v70
	v_cndmask_b32_e64 v72, v73, v72, s[24:25]
	v_cndmask_b32_e64 v71, v70, v71, s[24:25]
	v_cmp_ge_i32_e64 s[28:29], v72, v33
	s_waitcnt lgkmcnt(0)
	v_cmp_lt_u16_sdwa s[44:45], v69, v68 src0_sel:BYTE_0 src1_sel:BYTE_0
	v_cmp_lt_i32_e64 s[26:27], v71, v34
	s_or_b64 s[28:29], s[28:29], s[44:45]
	s_and_b64 s[26:27], s[26:27], s[28:29]
	s_xor_b64 s[28:29], s[26:27], -1
                                        ; implicit-def: $vgpr70
	s_and_saveexec_b64 s[44:45], s[28:29]
	s_xor_b64 s[28:29], exec, s[44:45]
	s_cbranch_execz .LBB108_160
; %bb.159:                              ;   in Loop: Header=BB108_2 Depth=1
	ds_read_u8 v70, v72 offset:1
.LBB108_160:                            ;   in Loop: Header=BB108_2 Depth=1
	s_or_saveexec_b64 s[28:29], s[28:29]
	v_mov_b32_e32 v73, v69
	s_xor_b64 exec, exec, s[28:29]
	s_cbranch_execz .LBB108_162
; %bb.161:                              ;   in Loop: Header=BB108_2 Depth=1
	ds_read_u8 v73, v71 offset:1
	s_waitcnt lgkmcnt(1)
	v_mov_b32_e32 v70, v68
.LBB108_162:                            ;   in Loop: Header=BB108_2 Depth=1
	s_or_b64 exec, exec, s[28:29]
	v_cndmask_b32_e64 v68, v68, v69, s[26:27]
	v_add_u32_e32 v69, 1, v71
	v_add_u32_e32 v74, 1, v72
	v_cndmask_b32_e64 v69, v71, v69, s[26:27]
	v_cndmask_b32_e64 v71, v74, v72, s[26:27]
	;; [unrolled: 1-line block ×4, first 2 shown]
	v_cmp_ge_i32_e64 s[16:17], v71, v33
	s_waitcnt lgkmcnt(0)
	v_cmp_lt_u16_sdwa s[18:19], v73, v70 src0_sel:BYTE_0 src1_sel:BYTE_0
	v_cndmask_b32_e64 v62, v62, v63, s[20:21]
	v_cndmask_b32_e64 v56, v56, v57, s[14:15]
	v_cmp_lt_i32_e64 s[14:15], v69, v34
	s_or_b64 s[16:17], s[16:17], s[18:19]
	v_lshlrev_b16_e32 v58, 8, v58
	s_and_b64 s[14:15], s[14:15], s[16:17]
	v_or_b32_sdwa v56, v56, v58 dst_sel:DWORD dst_unused:UNUSED_PAD src0_sel:BYTE_0 src1_sel:DWORD
	v_lshlrev_b16_e32 v58, 8, v62
	v_cndmask_b32_e64 v66, v66, v67, s[24:25]
	v_cndmask_b32_e64 v57, v70, v73, s[14:15]
	v_or_b32_sdwa v58, v60, v58 dst_sel:WORD_1 dst_unused:UNUSED_PAD src0_sel:BYTE_0 src1_sel:DWORD
	v_cndmask_b32_e64 v64, v64, v65, s[22:23]
	v_or_b32_sdwa v56, v56, v58 dst_sel:DWORD dst_unused:UNUSED_PAD src0_sel:WORD_0 src1_sel:DWORD
	v_lshlrev_b16_e32 v58, 8, v66
	v_lshlrev_b16_e32 v57, 8, v57
	v_or_b32_sdwa v58, v64, v58 dst_sel:DWORD dst_unused:UNUSED_PAD src0_sel:BYTE_0 src1_sel:DWORD
	v_or_b32_sdwa v57, v68, v57 dst_sel:WORD_1 dst_unused:UNUSED_PAD src0_sel:BYTE_0 src1_sel:DWORD
	s_nop 0
	v_or_b32_sdwa v57, v58, v57 dst_sel:DWORD dst_unused:UNUSED_PAD src0_sel:WORD_0 src1_sel:DWORD
	s_barrier
	ds_write_b64 v2, v[56:57]
	v_mov_b32_e32 v56, v42
	s_waitcnt lgkmcnt(0)
	s_barrier
	s_and_saveexec_b64 s[16:17], s[8:9]
	s_cbranch_execz .LBB108_166
; %bb.163:                              ;   in Loop: Header=BB108_2 Depth=1
	s_mov_b64 s[18:19], 0
	v_mov_b32_e32 v56, v42
	v_mov_b32_e32 v57, v43
.LBB108_164:                            ;   Parent Loop BB108_2 Depth=1
                                        ; =>  This Inner Loop Header: Depth=2
	v_sub_u32_e32 v58, v57, v56
	v_lshrrev_b32_e32 v59, 31, v58
	v_add_u32_e32 v58, v58, v59
	v_ashrrev_i32_e32 v58, 1, v58
	v_add_u32_e32 v58, v58, v56
	v_not_b32_e32 v60, v58
	v_add_u32_e32 v59, v38, v58
	v_add3_u32 v60, v39, v60, v40
	ds_read_u8 v59, v59
	ds_read_u8 v60, v60
	v_add_u32_e32 v61, 1, v58
	s_waitcnt lgkmcnt(0)
	v_cmp_lt_u16_e64 s[14:15], v60, v59
	s_nop 1
	v_cndmask_b32_e64 v57, v57, v58, s[14:15]
	v_cndmask_b32_e64 v56, v61, v56, s[14:15]
	v_cmp_ge_i32_e64 s[14:15], v56, v57
	s_or_b64 s[18:19], s[14:15], s[18:19]
	s_andn2_b64 exec, exec, s[18:19]
	s_cbranch_execnz .LBB108_164
; %bb.165:                              ;   in Loop: Header=BB108_2 Depth=1
	s_or_b64 exec, exec, s[18:19]
.LBB108_166:                            ;   in Loop: Header=BB108_2 Depth=1
	s_or_b64 exec, exec, s[16:17]
	v_add_u32_e32 v60, v56, v38
	v_sub_u32_e32 v61, v44, v56
	ds_read_u8 v56, v60
	ds_read_u8 v57, v61
	v_cmp_le_i32_e64 s[16:17], v40, v60
	v_cmp_gt_i32_e64 s[14:15], v41, v61
                                        ; implicit-def: $vgpr58
                                        ; implicit-def: $vgpr59
	s_waitcnt lgkmcnt(0)
	v_cmp_lt_u16_sdwa s[18:19], v57, v56 src0_sel:BYTE_0 src1_sel:BYTE_0
	s_or_b64 s[16:17], s[16:17], s[18:19]
	s_and_b64 s[14:15], s[14:15], s[16:17]
	s_xor_b64 s[16:17], s[14:15], -1
	s_and_saveexec_b64 s[18:19], s[16:17]
	s_xor_b64 s[16:17], exec, s[18:19]
	s_cbranch_execz .LBB108_168
; %bb.167:                              ;   in Loop: Header=BB108_2 Depth=1
	ds_read_u8 v59, v60 offset:1
	v_mov_b32_e32 v58, v57
.LBB108_168:                            ;   in Loop: Header=BB108_2 Depth=1
	s_andn2_saveexec_b64 s[16:17], s[16:17]
	s_cbranch_execz .LBB108_170
; %bb.169:                              ;   in Loop: Header=BB108_2 Depth=1
	ds_read_u8 v58, v61 offset:1
	s_waitcnt lgkmcnt(1)
	v_mov_b32_e32 v59, v56
.LBB108_170:                            ;   in Loop: Header=BB108_2 Depth=1
	s_or_b64 exec, exec, s[16:17]
	v_add_u32_e32 v63, 1, v60
	v_add_u32_e32 v62, 1, v61
	v_cndmask_b32_e64 v63, v63, v60, s[14:15]
	v_cndmask_b32_e64 v62, v61, v62, s[14:15]
	v_cmp_ge_i32_e64 s[18:19], v63, v40
	s_waitcnt lgkmcnt(0)
	v_cmp_lt_u16_sdwa s[20:21], v58, v59 src0_sel:BYTE_0 src1_sel:BYTE_0
	v_cmp_lt_i32_e64 s[16:17], v62, v41
	s_or_b64 s[18:19], s[18:19], s[20:21]
	s_and_b64 s[16:17], s[16:17], s[18:19]
	s_xor_b64 s[18:19], s[16:17], -1
                                        ; implicit-def: $vgpr60
	s_and_saveexec_b64 s[20:21], s[18:19]
	s_xor_b64 s[18:19], exec, s[20:21]
	s_cbranch_execz .LBB108_172
; %bb.171:                              ;   in Loop: Header=BB108_2 Depth=1
	ds_read_u8 v60, v63 offset:1
.LBB108_172:                            ;   in Loop: Header=BB108_2 Depth=1
	s_or_saveexec_b64 s[18:19], s[18:19]
	v_mov_b32_e32 v61, v58
	s_xor_b64 exec, exec, s[18:19]
	s_cbranch_execz .LBB108_174
; %bb.173:                              ;   in Loop: Header=BB108_2 Depth=1
	ds_read_u8 v61, v62 offset:1
	s_waitcnt lgkmcnt(1)
	v_mov_b32_e32 v60, v59
.LBB108_174:                            ;   in Loop: Header=BB108_2 Depth=1
	s_or_b64 exec, exec, s[18:19]
	v_add_u32_e32 v65, 1, v63
	v_add_u32_e32 v64, 1, v62
	v_cndmask_b32_e64 v65, v65, v63, s[16:17]
	v_cndmask_b32_e64 v64, v62, v64, s[16:17]
	v_cmp_ge_i32_e64 s[20:21], v65, v40
	s_waitcnt lgkmcnt(0)
	v_cmp_lt_u16_sdwa s[22:23], v61, v60 src0_sel:BYTE_0 src1_sel:BYTE_0
	v_cmp_lt_i32_e64 s[18:19], v64, v41
	s_or_b64 s[20:21], s[20:21], s[22:23]
	s_and_b64 s[18:19], s[18:19], s[20:21]
	s_xor_b64 s[20:21], s[18:19], -1
                                        ; implicit-def: $vgpr62
	s_and_saveexec_b64 s[22:23], s[20:21]
	s_xor_b64 s[20:21], exec, s[22:23]
	s_cbranch_execz .LBB108_176
; %bb.175:                              ;   in Loop: Header=BB108_2 Depth=1
	ds_read_u8 v62, v65 offset:1
.LBB108_176:                            ;   in Loop: Header=BB108_2 Depth=1
	s_or_saveexec_b64 s[20:21], s[20:21]
	v_mov_b32_e32 v63, v61
	s_xor_b64 exec, exec, s[20:21]
	s_cbranch_execz .LBB108_178
; %bb.177:                              ;   in Loop: Header=BB108_2 Depth=1
	ds_read_u8 v63, v64 offset:1
	s_waitcnt lgkmcnt(1)
	v_mov_b32_e32 v62, v60
.LBB108_178:                            ;   in Loop: Header=BB108_2 Depth=1
	s_or_b64 exec, exec, s[20:21]
	v_add_u32_e32 v67, 1, v65
	v_add_u32_e32 v66, 1, v64
	v_cndmask_b32_e64 v67, v67, v65, s[18:19]
	v_cndmask_b32_e64 v66, v64, v66, s[18:19]
	v_cmp_ge_i32_e64 s[22:23], v67, v40
	s_waitcnt lgkmcnt(0)
	v_cmp_lt_u16_sdwa s[24:25], v63, v62 src0_sel:BYTE_0 src1_sel:BYTE_0
	v_cmp_lt_i32_e64 s[20:21], v66, v41
	s_or_b64 s[22:23], s[22:23], s[24:25]
	s_and_b64 s[20:21], s[20:21], s[22:23]
	s_xor_b64 s[22:23], s[20:21], -1
                                        ; implicit-def: $vgpr64
	s_and_saveexec_b64 s[24:25], s[22:23]
	s_xor_b64 s[22:23], exec, s[24:25]
	s_cbranch_execz .LBB108_180
; %bb.179:                              ;   in Loop: Header=BB108_2 Depth=1
	ds_read_u8 v64, v67 offset:1
.LBB108_180:                            ;   in Loop: Header=BB108_2 Depth=1
	s_or_saveexec_b64 s[22:23], s[22:23]
	v_mov_b32_e32 v65, v63
	s_xor_b64 exec, exec, s[22:23]
	s_cbranch_execz .LBB108_182
; %bb.181:                              ;   in Loop: Header=BB108_2 Depth=1
	ds_read_u8 v65, v66 offset:1
	s_waitcnt lgkmcnt(1)
	v_mov_b32_e32 v64, v62
.LBB108_182:                            ;   in Loop: Header=BB108_2 Depth=1
	s_or_b64 exec, exec, s[22:23]
	v_add_u32_e32 v69, 1, v67
	v_add_u32_e32 v68, 1, v66
	v_cndmask_b32_e64 v69, v69, v67, s[20:21]
	v_cndmask_b32_e64 v68, v66, v68, s[20:21]
	v_cmp_ge_i32_e64 s[24:25], v69, v40
	s_waitcnt lgkmcnt(0)
	v_cmp_lt_u16_sdwa s[26:27], v65, v64 src0_sel:BYTE_0 src1_sel:BYTE_0
	v_cmp_lt_i32_e64 s[22:23], v68, v41
	s_or_b64 s[24:25], s[24:25], s[26:27]
	s_and_b64 s[22:23], s[22:23], s[24:25]
	s_xor_b64 s[24:25], s[22:23], -1
                                        ; implicit-def: $vgpr66
	s_and_saveexec_b64 s[26:27], s[24:25]
	s_xor_b64 s[24:25], exec, s[26:27]
	s_cbranch_execz .LBB108_184
; %bb.183:                              ;   in Loop: Header=BB108_2 Depth=1
	ds_read_u8 v66, v69 offset:1
.LBB108_184:                            ;   in Loop: Header=BB108_2 Depth=1
	s_or_saveexec_b64 s[24:25], s[24:25]
	v_mov_b32_e32 v67, v65
	s_xor_b64 exec, exec, s[24:25]
	s_cbranch_execz .LBB108_186
; %bb.185:                              ;   in Loop: Header=BB108_2 Depth=1
	ds_read_u8 v67, v68 offset:1
	s_waitcnt lgkmcnt(1)
	v_mov_b32_e32 v66, v64
.LBB108_186:                            ;   in Loop: Header=BB108_2 Depth=1
	s_or_b64 exec, exec, s[24:25]
	v_add_u32_e32 v71, 1, v69
	v_add_u32_e32 v70, 1, v68
	v_cndmask_b32_e64 v72, v71, v69, s[22:23]
	v_cndmask_b32_e64 v70, v68, v70, s[22:23]
	v_cmp_ge_i32_e64 s[26:27], v72, v40
	s_waitcnt lgkmcnt(0)
	v_cmp_lt_u16_sdwa s[28:29], v67, v66 src0_sel:BYTE_0 src1_sel:BYTE_0
	v_cmp_lt_i32_e64 s[24:25], v70, v41
	s_or_b64 s[26:27], s[26:27], s[28:29]
	s_and_b64 s[24:25], s[24:25], s[26:27]
	s_xor_b64 s[26:27], s[24:25], -1
                                        ; implicit-def: $vgpr68
	s_and_saveexec_b64 s[28:29], s[26:27]
	s_xor_b64 s[26:27], exec, s[28:29]
	s_cbranch_execz .LBB108_188
; %bb.187:                              ;   in Loop: Header=BB108_2 Depth=1
	ds_read_u8 v68, v72 offset:1
.LBB108_188:                            ;   in Loop: Header=BB108_2 Depth=1
	s_or_saveexec_b64 s[26:27], s[26:27]
	v_mov_b32_e32 v69, v67
	s_xor_b64 exec, exec, s[26:27]
	s_cbranch_execz .LBB108_190
; %bb.189:                              ;   in Loop: Header=BB108_2 Depth=1
	ds_read_u8 v69, v70 offset:1
	s_waitcnt lgkmcnt(1)
	v_mov_b32_e32 v68, v66
.LBB108_190:                            ;   in Loop: Header=BB108_2 Depth=1
	s_or_b64 exec, exec, s[26:27]
	v_add_u32_e32 v73, 1, v72
	v_add_u32_e32 v71, 1, v70
	v_cndmask_b32_e64 v72, v73, v72, s[24:25]
	v_cndmask_b32_e64 v71, v70, v71, s[24:25]
	v_cmp_ge_i32_e64 s[28:29], v72, v40
	s_waitcnt lgkmcnt(0)
	v_cmp_lt_u16_sdwa s[44:45], v69, v68 src0_sel:BYTE_0 src1_sel:BYTE_0
	v_cmp_lt_i32_e64 s[26:27], v71, v41
	s_or_b64 s[28:29], s[28:29], s[44:45]
	s_and_b64 s[26:27], s[26:27], s[28:29]
	s_xor_b64 s[28:29], s[26:27], -1
                                        ; implicit-def: $vgpr70
	s_and_saveexec_b64 s[44:45], s[28:29]
	s_xor_b64 s[28:29], exec, s[44:45]
	s_cbranch_execz .LBB108_192
; %bb.191:                              ;   in Loop: Header=BB108_2 Depth=1
	ds_read_u8 v70, v72 offset:1
.LBB108_192:                            ;   in Loop: Header=BB108_2 Depth=1
	s_or_saveexec_b64 s[28:29], s[28:29]
	v_mov_b32_e32 v73, v69
	s_xor_b64 exec, exec, s[28:29]
	s_cbranch_execz .LBB108_194
; %bb.193:                              ;   in Loop: Header=BB108_2 Depth=1
	ds_read_u8 v73, v71 offset:1
	s_waitcnt lgkmcnt(1)
	v_mov_b32_e32 v70, v68
.LBB108_194:                            ;   in Loop: Header=BB108_2 Depth=1
	s_or_b64 exec, exec, s[28:29]
	v_cndmask_b32_e64 v68, v68, v69, s[26:27]
	v_add_u32_e32 v69, 1, v71
	v_add_u32_e32 v74, 1, v72
	v_cndmask_b32_e64 v69, v71, v69, s[26:27]
	v_cndmask_b32_e64 v71, v74, v72, s[26:27]
	;; [unrolled: 1-line block ×4, first 2 shown]
	v_cmp_ge_i32_e64 s[16:17], v71, v40
	s_waitcnt lgkmcnt(0)
	v_cmp_lt_u16_sdwa s[18:19], v73, v70 src0_sel:BYTE_0 src1_sel:BYTE_0
	v_cndmask_b32_e64 v62, v62, v63, s[20:21]
	v_cndmask_b32_e64 v56, v56, v57, s[14:15]
	v_cmp_lt_i32_e64 s[14:15], v69, v41
	s_or_b64 s[16:17], s[16:17], s[18:19]
	v_lshlrev_b16_e32 v58, 8, v58
	s_and_b64 s[14:15], s[14:15], s[16:17]
	v_or_b32_sdwa v56, v56, v58 dst_sel:DWORD dst_unused:UNUSED_PAD src0_sel:BYTE_0 src1_sel:DWORD
	v_lshlrev_b16_e32 v58, 8, v62
	v_cndmask_b32_e64 v66, v66, v67, s[24:25]
	v_cndmask_b32_e64 v57, v70, v73, s[14:15]
	v_or_b32_sdwa v58, v60, v58 dst_sel:WORD_1 dst_unused:UNUSED_PAD src0_sel:BYTE_0 src1_sel:DWORD
	v_cndmask_b32_e64 v64, v64, v65, s[22:23]
	v_or_b32_sdwa v56, v56, v58 dst_sel:DWORD dst_unused:UNUSED_PAD src0_sel:WORD_0 src1_sel:DWORD
	v_lshlrev_b16_e32 v58, 8, v66
	v_lshlrev_b16_e32 v57, 8, v57
	v_or_b32_sdwa v58, v64, v58 dst_sel:DWORD dst_unused:UNUSED_PAD src0_sel:BYTE_0 src1_sel:DWORD
	v_or_b32_sdwa v57, v68, v57 dst_sel:WORD_1 dst_unused:UNUSED_PAD src0_sel:BYTE_0 src1_sel:DWORD
	s_nop 0
	v_or_b32_sdwa v57, v58, v57 dst_sel:DWORD dst_unused:UNUSED_PAD src0_sel:WORD_0 src1_sel:DWORD
	s_barrier
	ds_write_b64 v2, v[56:57]
	v_mov_b32_e32 v56, v50
	s_waitcnt lgkmcnt(0)
	s_barrier
	s_and_saveexec_b64 s[16:17], s[10:11]
	s_cbranch_execz .LBB108_198
; %bb.195:                              ;   in Loop: Header=BB108_2 Depth=1
	s_mov_b64 s[18:19], 0
	v_mov_b32_e32 v56, v50
	v_mov_b32_e32 v57, v51
.LBB108_196:                            ;   Parent Loop BB108_2 Depth=1
                                        ; =>  This Inner Loop Header: Depth=2
	v_sub_u32_e32 v58, v57, v56
	v_lshrrev_b32_e32 v59, 31, v58
	v_add_u32_e32 v58, v58, v59
	v_ashrrev_i32_e32 v58, 1, v58
	v_add_u32_e32 v58, v58, v56
	v_not_b32_e32 v60, v58
	v_add_u32_e32 v59, v46, v58
	v_add3_u32 v60, v47, v60, v48
	ds_read_u8 v59, v59
	ds_read_u8 v60, v60
	v_add_u32_e32 v61, 1, v58
	s_waitcnt lgkmcnt(0)
	v_cmp_lt_u16_e64 s[14:15], v60, v59
	s_nop 1
	v_cndmask_b32_e64 v57, v57, v58, s[14:15]
	v_cndmask_b32_e64 v56, v61, v56, s[14:15]
	v_cmp_ge_i32_e64 s[14:15], v56, v57
	s_or_b64 s[18:19], s[14:15], s[18:19]
	s_andn2_b64 exec, exec, s[18:19]
	s_cbranch_execnz .LBB108_196
; %bb.197:                              ;   in Loop: Header=BB108_2 Depth=1
	s_or_b64 exec, exec, s[18:19]
.LBB108_198:                            ;   in Loop: Header=BB108_2 Depth=1
	s_or_b64 exec, exec, s[16:17]
	v_add_u32_e32 v60, v56, v46
	v_sub_u32_e32 v61, v52, v56
	ds_read_u8 v56, v60
	ds_read_u8 v57, v61
	v_cmp_le_i32_e64 s[16:17], v48, v60
	v_cmp_gt_i32_e64 s[14:15], v49, v61
                                        ; implicit-def: $vgpr58
                                        ; implicit-def: $vgpr59
	s_waitcnt lgkmcnt(0)
	v_cmp_lt_u16_sdwa s[18:19], v57, v56 src0_sel:BYTE_0 src1_sel:BYTE_0
	s_or_b64 s[16:17], s[16:17], s[18:19]
	s_and_b64 s[14:15], s[14:15], s[16:17]
	s_xor_b64 s[16:17], s[14:15], -1
	s_and_saveexec_b64 s[18:19], s[16:17]
	s_xor_b64 s[16:17], exec, s[18:19]
	s_cbranch_execz .LBB108_200
; %bb.199:                              ;   in Loop: Header=BB108_2 Depth=1
	ds_read_u8 v59, v60 offset:1
	v_mov_b32_e32 v58, v57
.LBB108_200:                            ;   in Loop: Header=BB108_2 Depth=1
	s_andn2_saveexec_b64 s[16:17], s[16:17]
	s_cbranch_execz .LBB108_202
; %bb.201:                              ;   in Loop: Header=BB108_2 Depth=1
	ds_read_u8 v58, v61 offset:1
	s_waitcnt lgkmcnt(1)
	v_mov_b32_e32 v59, v56
.LBB108_202:                            ;   in Loop: Header=BB108_2 Depth=1
	s_or_b64 exec, exec, s[16:17]
	v_add_u32_e32 v63, 1, v60
	v_add_u32_e32 v62, 1, v61
	v_cndmask_b32_e64 v63, v63, v60, s[14:15]
	v_cndmask_b32_e64 v62, v61, v62, s[14:15]
	v_cmp_ge_i32_e64 s[18:19], v63, v48
	s_waitcnt lgkmcnt(0)
	v_cmp_lt_u16_sdwa s[20:21], v58, v59 src0_sel:BYTE_0 src1_sel:BYTE_0
	v_cmp_lt_i32_e64 s[16:17], v62, v49
	s_or_b64 s[18:19], s[18:19], s[20:21]
	s_and_b64 s[16:17], s[16:17], s[18:19]
	s_xor_b64 s[18:19], s[16:17], -1
                                        ; implicit-def: $vgpr60
	s_and_saveexec_b64 s[20:21], s[18:19]
	s_xor_b64 s[18:19], exec, s[20:21]
	s_cbranch_execz .LBB108_204
; %bb.203:                              ;   in Loop: Header=BB108_2 Depth=1
	ds_read_u8 v60, v63 offset:1
.LBB108_204:                            ;   in Loop: Header=BB108_2 Depth=1
	s_or_saveexec_b64 s[18:19], s[18:19]
	v_mov_b32_e32 v61, v58
	s_xor_b64 exec, exec, s[18:19]
	s_cbranch_execz .LBB108_206
; %bb.205:                              ;   in Loop: Header=BB108_2 Depth=1
	ds_read_u8 v61, v62 offset:1
	s_waitcnt lgkmcnt(1)
	v_mov_b32_e32 v60, v59
.LBB108_206:                            ;   in Loop: Header=BB108_2 Depth=1
	s_or_b64 exec, exec, s[18:19]
	v_add_u32_e32 v65, 1, v63
	v_add_u32_e32 v64, 1, v62
	v_cndmask_b32_e64 v65, v65, v63, s[16:17]
	v_cndmask_b32_e64 v64, v62, v64, s[16:17]
	v_cmp_ge_i32_e64 s[20:21], v65, v48
	s_waitcnt lgkmcnt(0)
	v_cmp_lt_u16_sdwa s[22:23], v61, v60 src0_sel:BYTE_0 src1_sel:BYTE_0
	v_cmp_lt_i32_e64 s[18:19], v64, v49
	s_or_b64 s[20:21], s[20:21], s[22:23]
	s_and_b64 s[18:19], s[18:19], s[20:21]
	s_xor_b64 s[20:21], s[18:19], -1
                                        ; implicit-def: $vgpr62
	s_and_saveexec_b64 s[22:23], s[20:21]
	s_xor_b64 s[20:21], exec, s[22:23]
	s_cbranch_execz .LBB108_208
; %bb.207:                              ;   in Loop: Header=BB108_2 Depth=1
	ds_read_u8 v62, v65 offset:1
.LBB108_208:                            ;   in Loop: Header=BB108_2 Depth=1
	s_or_saveexec_b64 s[20:21], s[20:21]
	v_mov_b32_e32 v63, v61
	s_xor_b64 exec, exec, s[20:21]
	s_cbranch_execz .LBB108_210
; %bb.209:                              ;   in Loop: Header=BB108_2 Depth=1
	ds_read_u8 v63, v64 offset:1
	s_waitcnt lgkmcnt(1)
	v_mov_b32_e32 v62, v60
.LBB108_210:                            ;   in Loop: Header=BB108_2 Depth=1
	s_or_b64 exec, exec, s[20:21]
	v_add_u32_e32 v67, 1, v65
	v_add_u32_e32 v66, 1, v64
	v_cndmask_b32_e64 v67, v67, v65, s[18:19]
	v_cndmask_b32_e64 v66, v64, v66, s[18:19]
	v_cmp_ge_i32_e64 s[22:23], v67, v48
	s_waitcnt lgkmcnt(0)
	v_cmp_lt_u16_sdwa s[24:25], v63, v62 src0_sel:BYTE_0 src1_sel:BYTE_0
	v_cmp_lt_i32_e64 s[20:21], v66, v49
	s_or_b64 s[22:23], s[22:23], s[24:25]
	s_and_b64 s[20:21], s[20:21], s[22:23]
	s_xor_b64 s[22:23], s[20:21], -1
                                        ; implicit-def: $vgpr64
	s_and_saveexec_b64 s[24:25], s[22:23]
	s_xor_b64 s[22:23], exec, s[24:25]
	s_cbranch_execz .LBB108_212
; %bb.211:                              ;   in Loop: Header=BB108_2 Depth=1
	ds_read_u8 v64, v67 offset:1
.LBB108_212:                            ;   in Loop: Header=BB108_2 Depth=1
	s_or_saveexec_b64 s[22:23], s[22:23]
	v_mov_b32_e32 v65, v63
	s_xor_b64 exec, exec, s[22:23]
	s_cbranch_execz .LBB108_214
; %bb.213:                              ;   in Loop: Header=BB108_2 Depth=1
	ds_read_u8 v65, v66 offset:1
	s_waitcnt lgkmcnt(1)
	v_mov_b32_e32 v64, v62
.LBB108_214:                            ;   in Loop: Header=BB108_2 Depth=1
	s_or_b64 exec, exec, s[22:23]
	v_add_u32_e32 v69, 1, v67
	v_add_u32_e32 v68, 1, v66
	v_cndmask_b32_e64 v69, v69, v67, s[20:21]
	v_cndmask_b32_e64 v68, v66, v68, s[20:21]
	v_cmp_ge_i32_e64 s[24:25], v69, v48
	s_waitcnt lgkmcnt(0)
	v_cmp_lt_u16_sdwa s[26:27], v65, v64 src0_sel:BYTE_0 src1_sel:BYTE_0
	v_cmp_lt_i32_e64 s[22:23], v68, v49
	s_or_b64 s[24:25], s[24:25], s[26:27]
	s_and_b64 s[22:23], s[22:23], s[24:25]
	s_xor_b64 s[24:25], s[22:23], -1
                                        ; implicit-def: $vgpr66
	s_and_saveexec_b64 s[26:27], s[24:25]
	s_xor_b64 s[24:25], exec, s[26:27]
	s_cbranch_execz .LBB108_216
; %bb.215:                              ;   in Loop: Header=BB108_2 Depth=1
	ds_read_u8 v66, v69 offset:1
.LBB108_216:                            ;   in Loop: Header=BB108_2 Depth=1
	s_or_saveexec_b64 s[24:25], s[24:25]
	v_mov_b32_e32 v67, v65
	s_xor_b64 exec, exec, s[24:25]
	s_cbranch_execz .LBB108_218
; %bb.217:                              ;   in Loop: Header=BB108_2 Depth=1
	ds_read_u8 v67, v68 offset:1
	s_waitcnt lgkmcnt(1)
	v_mov_b32_e32 v66, v64
.LBB108_218:                            ;   in Loop: Header=BB108_2 Depth=1
	s_or_b64 exec, exec, s[24:25]
	v_add_u32_e32 v71, 1, v69
	v_add_u32_e32 v70, 1, v68
	v_cndmask_b32_e64 v72, v71, v69, s[22:23]
	v_cndmask_b32_e64 v70, v68, v70, s[22:23]
	v_cmp_ge_i32_e64 s[26:27], v72, v48
	s_waitcnt lgkmcnt(0)
	v_cmp_lt_u16_sdwa s[28:29], v67, v66 src0_sel:BYTE_0 src1_sel:BYTE_0
	v_cmp_lt_i32_e64 s[24:25], v70, v49
	s_or_b64 s[26:27], s[26:27], s[28:29]
	s_and_b64 s[24:25], s[24:25], s[26:27]
	s_xor_b64 s[26:27], s[24:25], -1
                                        ; implicit-def: $vgpr68
	s_and_saveexec_b64 s[28:29], s[26:27]
	s_xor_b64 s[26:27], exec, s[28:29]
	s_cbranch_execz .LBB108_220
; %bb.219:                              ;   in Loop: Header=BB108_2 Depth=1
	ds_read_u8 v68, v72 offset:1
.LBB108_220:                            ;   in Loop: Header=BB108_2 Depth=1
	s_or_saveexec_b64 s[26:27], s[26:27]
	v_mov_b32_e32 v69, v67
	s_xor_b64 exec, exec, s[26:27]
	s_cbranch_execz .LBB108_222
; %bb.221:                              ;   in Loop: Header=BB108_2 Depth=1
	ds_read_u8 v69, v70 offset:1
	s_waitcnt lgkmcnt(1)
	v_mov_b32_e32 v68, v66
.LBB108_222:                            ;   in Loop: Header=BB108_2 Depth=1
	s_or_b64 exec, exec, s[26:27]
	v_add_u32_e32 v73, 1, v72
	v_add_u32_e32 v71, 1, v70
	v_cndmask_b32_e64 v72, v73, v72, s[24:25]
	v_cndmask_b32_e64 v71, v70, v71, s[24:25]
	v_cmp_ge_i32_e64 s[28:29], v72, v48
	s_waitcnt lgkmcnt(0)
	v_cmp_lt_u16_sdwa s[44:45], v69, v68 src0_sel:BYTE_0 src1_sel:BYTE_0
	v_cmp_lt_i32_e64 s[26:27], v71, v49
	s_or_b64 s[28:29], s[28:29], s[44:45]
	s_and_b64 s[26:27], s[26:27], s[28:29]
	s_xor_b64 s[28:29], s[26:27], -1
                                        ; implicit-def: $vgpr70
	s_and_saveexec_b64 s[44:45], s[28:29]
	s_xor_b64 s[28:29], exec, s[44:45]
	s_cbranch_execz .LBB108_224
; %bb.223:                              ;   in Loop: Header=BB108_2 Depth=1
	ds_read_u8 v70, v72 offset:1
.LBB108_224:                            ;   in Loop: Header=BB108_2 Depth=1
	s_or_saveexec_b64 s[28:29], s[28:29]
	v_mov_b32_e32 v73, v69
	s_xor_b64 exec, exec, s[28:29]
	s_cbranch_execz .LBB108_226
; %bb.225:                              ;   in Loop: Header=BB108_2 Depth=1
	ds_read_u8 v73, v71 offset:1
	s_waitcnt lgkmcnt(1)
	v_mov_b32_e32 v70, v68
.LBB108_226:                            ;   in Loop: Header=BB108_2 Depth=1
	s_or_b64 exec, exec, s[28:29]
	v_cndmask_b32_e64 v68, v68, v69, s[26:27]
	v_add_u32_e32 v69, 1, v71
	v_add_u32_e32 v74, 1, v72
	v_cndmask_b32_e64 v69, v71, v69, s[26:27]
	v_cndmask_b32_e64 v71, v74, v72, s[26:27]
	;; [unrolled: 1-line block ×4, first 2 shown]
	v_cmp_ge_i32_e64 s[16:17], v71, v48
	s_waitcnt lgkmcnt(0)
	v_cmp_lt_u16_sdwa s[18:19], v73, v70 src0_sel:BYTE_0 src1_sel:BYTE_0
	v_cndmask_b32_e64 v62, v62, v63, s[20:21]
	v_cndmask_b32_e64 v56, v56, v57, s[14:15]
	v_cmp_lt_i32_e64 s[14:15], v69, v49
	s_or_b64 s[16:17], s[16:17], s[18:19]
	v_lshlrev_b16_e32 v58, 8, v58
	s_and_b64 s[14:15], s[14:15], s[16:17]
	v_or_b32_sdwa v56, v56, v58 dst_sel:DWORD dst_unused:UNUSED_PAD src0_sel:BYTE_0 src1_sel:DWORD
	v_lshlrev_b16_e32 v58, 8, v62
	v_cndmask_b32_e64 v66, v66, v67, s[24:25]
	v_cndmask_b32_e64 v57, v70, v73, s[14:15]
	v_or_b32_sdwa v58, v60, v58 dst_sel:WORD_1 dst_unused:UNUSED_PAD src0_sel:BYTE_0 src1_sel:DWORD
	v_cndmask_b32_e64 v64, v64, v65, s[22:23]
	v_or_b32_sdwa v56, v56, v58 dst_sel:DWORD dst_unused:UNUSED_PAD src0_sel:WORD_0 src1_sel:DWORD
	v_lshlrev_b16_e32 v58, 8, v66
	v_lshlrev_b16_e32 v57, 8, v57
	v_or_b32_sdwa v58, v64, v58 dst_sel:DWORD dst_unused:UNUSED_PAD src0_sel:BYTE_0 src1_sel:DWORD
	v_or_b32_sdwa v57, v68, v57 dst_sel:WORD_1 dst_unused:UNUSED_PAD src0_sel:BYTE_0 src1_sel:DWORD
	v_mov_b32_e32 v60, v53
	v_or_b32_sdwa v57, v58, v57 dst_sel:DWORD dst_unused:UNUSED_PAD src0_sel:WORD_0 src1_sel:DWORD
	s_barrier
	ds_write_b64 v2, v[56:57]
	s_waitcnt lgkmcnt(0)
	s_barrier
	s_and_saveexec_b64 s[16:17], s[12:13]
	s_cbranch_execz .LBB108_230
; %bb.227:                              ;   in Loop: Header=BB108_2 Depth=1
	s_mov_b64 s[18:19], 0
	v_mov_b32_e32 v60, v53
	v_mov_b32_e32 v56, v54
.LBB108_228:                            ;   Parent Loop BB108_2 Depth=1
                                        ; =>  This Inner Loop Header: Depth=2
	v_sub_u32_e32 v57, v56, v60
	v_lshrrev_b32_e32 v58, 31, v57
	v_add_u32_e32 v57, v57, v58
	v_ashrrev_i32_e32 v57, 1, v57
	v_add_u32_e32 v57, v57, v60
	v_not_b32_e32 v58, v57
	v_add3_u32 v58, v2, v58, v45
	ds_read_u8 v59, v57
	ds_read_u8 v58, v58
	v_add_u32_e32 v61, 1, v57
	s_waitcnt lgkmcnt(0)
	v_cmp_lt_u16_e64 s[14:15], v58, v59
	s_nop 1
	v_cndmask_b32_e64 v56, v56, v57, s[14:15]
	v_cndmask_b32_e64 v60, v61, v60, s[14:15]
	v_cmp_ge_i32_e64 s[14:15], v60, v56
	s_or_b64 s[18:19], s[14:15], s[18:19]
	s_andn2_b64 exec, exec, s[18:19]
	s_cbranch_execnz .LBB108_228
; %bb.229:                              ;   in Loop: Header=BB108_2 Depth=1
	s_or_b64 exec, exec, s[18:19]
.LBB108_230:                            ;   in Loop: Header=BB108_2 Depth=1
	s_or_b64 exec, exec, s[16:17]
	v_sub_u32_e32 v61, v55, v60
	ds_read_u8 v56, v60
	ds_read_u8 v57, v61
	v_cmp_le_i32_e64 s[16:17], v45, v60
	v_cmp_gt_i32_e64 s[14:15], s42, v61
                                        ; implicit-def: $vgpr58
                                        ; implicit-def: $vgpr59
	s_waitcnt lgkmcnt(0)
	v_cmp_lt_u16_sdwa s[18:19], v57, v56 src0_sel:BYTE_0 src1_sel:BYTE_0
	s_or_b64 s[16:17], s[16:17], s[18:19]
	s_and_b64 s[14:15], s[14:15], s[16:17]
	s_xor_b64 s[16:17], s[14:15], -1
	s_and_saveexec_b64 s[18:19], s[16:17]
	s_xor_b64 s[16:17], exec, s[18:19]
	s_cbranch_execz .LBB108_232
; %bb.231:                              ;   in Loop: Header=BB108_2 Depth=1
	ds_read_u8 v59, v60 offset:1
	v_mov_b32_e32 v58, v57
.LBB108_232:                            ;   in Loop: Header=BB108_2 Depth=1
	s_andn2_saveexec_b64 s[16:17], s[16:17]
	s_cbranch_execz .LBB108_234
; %bb.233:                              ;   in Loop: Header=BB108_2 Depth=1
	ds_read_u8 v58, v61 offset:1
	s_waitcnt lgkmcnt(1)
	v_mov_b32_e32 v59, v56
.LBB108_234:                            ;   in Loop: Header=BB108_2 Depth=1
	s_or_b64 exec, exec, s[16:17]
	v_add_u32_e32 v63, 1, v60
	v_add_u32_e32 v62, 1, v61
	v_cndmask_b32_e64 v63, v63, v60, s[14:15]
	v_cndmask_b32_e64 v62, v61, v62, s[14:15]
	v_cmp_ge_i32_e64 s[18:19], v63, v45
	s_waitcnt lgkmcnt(0)
	v_cmp_lt_u16_sdwa s[20:21], v58, v59 src0_sel:BYTE_0 src1_sel:BYTE_0
	v_cmp_gt_i32_e64 s[16:17], s42, v62
	s_or_b64 s[18:19], s[18:19], s[20:21]
	s_and_b64 s[16:17], s[16:17], s[18:19]
	s_xor_b64 s[18:19], s[16:17], -1
                                        ; implicit-def: $vgpr60
	s_and_saveexec_b64 s[20:21], s[18:19]
	s_xor_b64 s[18:19], exec, s[20:21]
	s_cbranch_execz .LBB108_236
; %bb.235:                              ;   in Loop: Header=BB108_2 Depth=1
	ds_read_u8 v60, v63 offset:1
.LBB108_236:                            ;   in Loop: Header=BB108_2 Depth=1
	s_or_saveexec_b64 s[18:19], s[18:19]
	v_mov_b32_e32 v61, v58
	s_xor_b64 exec, exec, s[18:19]
	s_cbranch_execz .LBB108_238
; %bb.237:                              ;   in Loop: Header=BB108_2 Depth=1
	ds_read_u8 v61, v62 offset:1
	s_waitcnt lgkmcnt(1)
	v_mov_b32_e32 v60, v59
.LBB108_238:                            ;   in Loop: Header=BB108_2 Depth=1
	s_or_b64 exec, exec, s[18:19]
	v_add_u32_e32 v65, 1, v63
	v_add_u32_e32 v64, 1, v62
	v_cndmask_b32_e64 v65, v65, v63, s[16:17]
	v_cndmask_b32_e64 v64, v62, v64, s[16:17]
	v_cmp_ge_i32_e64 s[20:21], v65, v45
	s_waitcnt lgkmcnt(0)
	v_cmp_lt_u16_sdwa s[22:23], v61, v60 src0_sel:BYTE_0 src1_sel:BYTE_0
	v_cmp_gt_i32_e64 s[18:19], s42, v64
	s_or_b64 s[20:21], s[20:21], s[22:23]
	s_and_b64 s[18:19], s[18:19], s[20:21]
	s_xor_b64 s[20:21], s[18:19], -1
                                        ; implicit-def: $vgpr62
	s_and_saveexec_b64 s[22:23], s[20:21]
	s_xor_b64 s[20:21], exec, s[22:23]
	s_cbranch_execz .LBB108_240
; %bb.239:                              ;   in Loop: Header=BB108_2 Depth=1
	ds_read_u8 v62, v65 offset:1
.LBB108_240:                            ;   in Loop: Header=BB108_2 Depth=1
	s_or_saveexec_b64 s[20:21], s[20:21]
	v_mov_b32_e32 v63, v61
	s_xor_b64 exec, exec, s[20:21]
	s_cbranch_execz .LBB108_242
; %bb.241:                              ;   in Loop: Header=BB108_2 Depth=1
	ds_read_u8 v63, v64 offset:1
	s_waitcnt lgkmcnt(1)
	v_mov_b32_e32 v62, v60
.LBB108_242:                            ;   in Loop: Header=BB108_2 Depth=1
	s_or_b64 exec, exec, s[20:21]
	v_add_u32_e32 v67, 1, v65
	v_add_u32_e32 v66, 1, v64
	v_cndmask_b32_e64 v67, v67, v65, s[18:19]
	v_cndmask_b32_e64 v66, v64, v66, s[18:19]
	v_cmp_ge_i32_e64 s[22:23], v67, v45
	s_waitcnt lgkmcnt(0)
	v_cmp_lt_u16_sdwa s[24:25], v63, v62 src0_sel:BYTE_0 src1_sel:BYTE_0
	v_cmp_gt_i32_e64 s[20:21], s42, v66
	s_or_b64 s[22:23], s[22:23], s[24:25]
	s_and_b64 s[20:21], s[20:21], s[22:23]
	s_xor_b64 s[22:23], s[20:21], -1
                                        ; implicit-def: $vgpr64
	s_and_saveexec_b64 s[24:25], s[22:23]
	s_xor_b64 s[22:23], exec, s[24:25]
	s_cbranch_execz .LBB108_244
; %bb.243:                              ;   in Loop: Header=BB108_2 Depth=1
	ds_read_u8 v64, v67 offset:1
.LBB108_244:                            ;   in Loop: Header=BB108_2 Depth=1
	s_or_saveexec_b64 s[22:23], s[22:23]
	v_mov_b32_e32 v65, v63
	s_xor_b64 exec, exec, s[22:23]
	s_cbranch_execz .LBB108_246
; %bb.245:                              ;   in Loop: Header=BB108_2 Depth=1
	ds_read_u8 v65, v66 offset:1
	s_waitcnt lgkmcnt(1)
	v_mov_b32_e32 v64, v62
.LBB108_246:                            ;   in Loop: Header=BB108_2 Depth=1
	s_or_b64 exec, exec, s[22:23]
	v_add_u32_e32 v69, 1, v67
	v_add_u32_e32 v68, 1, v66
	v_cndmask_b32_e64 v69, v69, v67, s[20:21]
	v_cndmask_b32_e64 v68, v66, v68, s[20:21]
	v_cmp_ge_i32_e64 s[24:25], v69, v45
	s_waitcnt lgkmcnt(0)
	v_cmp_lt_u16_sdwa s[26:27], v65, v64 src0_sel:BYTE_0 src1_sel:BYTE_0
	v_cmp_gt_i32_e64 s[22:23], s42, v68
	s_or_b64 s[24:25], s[24:25], s[26:27]
	s_and_b64 s[22:23], s[22:23], s[24:25]
	s_xor_b64 s[24:25], s[22:23], -1
                                        ; implicit-def: $vgpr66
	s_and_saveexec_b64 s[26:27], s[24:25]
	s_xor_b64 s[24:25], exec, s[26:27]
	s_cbranch_execz .LBB108_248
; %bb.247:                              ;   in Loop: Header=BB108_2 Depth=1
	ds_read_u8 v66, v69 offset:1
.LBB108_248:                            ;   in Loop: Header=BB108_2 Depth=1
	s_or_saveexec_b64 s[24:25], s[24:25]
	v_mov_b32_e32 v67, v65
	s_xor_b64 exec, exec, s[24:25]
	s_cbranch_execz .LBB108_250
; %bb.249:                              ;   in Loop: Header=BB108_2 Depth=1
	ds_read_u8 v67, v68 offset:1
	s_waitcnt lgkmcnt(1)
	v_mov_b32_e32 v66, v64
.LBB108_250:                            ;   in Loop: Header=BB108_2 Depth=1
	s_or_b64 exec, exec, s[24:25]
	v_add_u32_e32 v71, 1, v69
	v_add_u32_e32 v70, 1, v68
	v_cndmask_b32_e64 v71, v71, v69, s[22:23]
	v_cndmask_b32_e64 v70, v68, v70, s[22:23]
	v_cmp_ge_i32_e64 s[26:27], v71, v45
	s_waitcnt lgkmcnt(0)
	v_cmp_lt_u16_sdwa s[28:29], v67, v66 src0_sel:BYTE_0 src1_sel:BYTE_0
	v_cmp_gt_i32_e64 s[24:25], s42, v70
	s_or_b64 s[26:27], s[26:27], s[28:29]
	s_and_b64 s[24:25], s[24:25], s[26:27]
	s_xor_b64 s[26:27], s[24:25], -1
                                        ; implicit-def: $vgpr68
	s_and_saveexec_b64 s[28:29], s[26:27]
	s_xor_b64 s[26:27], exec, s[28:29]
	s_cbranch_execz .LBB108_252
; %bb.251:                              ;   in Loop: Header=BB108_2 Depth=1
	ds_read_u8 v68, v71 offset:1
.LBB108_252:                            ;   in Loop: Header=BB108_2 Depth=1
	s_or_saveexec_b64 s[26:27], s[26:27]
	v_mov_b32_e32 v69, v67
	s_xor_b64 exec, exec, s[26:27]
	s_cbranch_execz .LBB108_254
; %bb.253:                              ;   in Loop: Header=BB108_2 Depth=1
	ds_read_u8 v69, v70 offset:1
	s_waitcnt lgkmcnt(1)
	v_mov_b32_e32 v68, v66
.LBB108_254:                            ;   in Loop: Header=BB108_2 Depth=1
	s_or_b64 exec, exec, s[26:27]
	v_add_u32_e32 v73, 1, v71
	v_add_u32_e32 v72, 1, v70
	v_cndmask_b32_e64 v73, v73, v71, s[24:25]
	v_cndmask_b32_e64 v70, v70, v72, s[24:25]
	v_cmp_ge_i32_e64 s[28:29], v73, v45
	s_waitcnt lgkmcnt(0)
	v_cmp_lt_u16_sdwa s[44:45], v69, v68 src0_sel:BYTE_0 src1_sel:BYTE_0
	v_cmp_gt_i32_e64 s[26:27], s42, v70
	s_or_b64 s[28:29], s[28:29], s[44:45]
	s_and_b64 s[26:27], s[26:27], s[28:29]
	s_xor_b64 s[28:29], s[26:27], -1
                                        ; implicit-def: $vgpr71
                                        ; implicit-def: $vgpr72
	s_and_saveexec_b64 s[44:45], s[28:29]
	s_xor_b64 s[28:29], exec, s[44:45]
	s_cbranch_execz .LBB108_256
; %bb.255:                              ;   in Loop: Header=BB108_2 Depth=1
	ds_read_u8 v71, v73 offset:1
	v_add_u32_e32 v72, 1, v73
                                        ; implicit-def: $vgpr73
.LBB108_256:                            ;   in Loop: Header=BB108_2 Depth=1
	s_or_saveexec_b64 s[28:29], s[28:29]
	v_mov_b32_e32 v74, v69
	s_xor_b64 exec, exec, s[28:29]
	s_cbranch_execz .LBB108_1
; %bb.257:                              ;   in Loop: Header=BB108_2 Depth=1
	ds_read_u8 v74, v70 offset:1
	v_add_u32_e32 v70, 1, v70
	v_mov_b32_e32 v72, v73
	s_waitcnt lgkmcnt(1)
	v_mov_b32_e32 v71, v68
	s_branch .LBB108_1
.LBB108_258:
	s_add_u32 s0, s30, s33
	s_addc_u32 s1, s31, 0
	v_lshl_add_u64 v[0:1], s[0:1], 0, v[0:1]
	global_store_byte v[0:1], v73, off
	global_store_byte v[0:1], v58, off offset:256
	global_store_byte v[0:1], v59, off offset:512
	;; [unrolled: 1-line block ×7, first 2 shown]
	s_endpgm
	.section	.rodata,"a",@progbits
	.p2align	6, 0x0
	.amdhsa_kernel _Z16sort_keys_kernelIhLj256ELj8EN10test_utils4lessELj10EEvPKT_PS2_T2_
		.amdhsa_group_segment_fixed_size 2049
		.amdhsa_private_segment_fixed_size 0
		.amdhsa_kernarg_size 20
		.amdhsa_user_sgpr_count 2
		.amdhsa_user_sgpr_dispatch_ptr 0
		.amdhsa_user_sgpr_queue_ptr 0
		.amdhsa_user_sgpr_kernarg_segment_ptr 1
		.amdhsa_user_sgpr_dispatch_id 0
		.amdhsa_user_sgpr_kernarg_preload_length 0
		.amdhsa_user_sgpr_kernarg_preload_offset 0
		.amdhsa_user_sgpr_private_segment_size 0
		.amdhsa_uses_dynamic_stack 0
		.amdhsa_enable_private_segment 0
		.amdhsa_system_sgpr_workgroup_id_x 1
		.amdhsa_system_sgpr_workgroup_id_y 0
		.amdhsa_system_sgpr_workgroup_id_z 0
		.amdhsa_system_sgpr_workgroup_info 0
		.amdhsa_system_vgpr_workitem_id 0
		.amdhsa_next_free_vgpr 75
		.amdhsa_next_free_sgpr 46
		.amdhsa_accum_offset 76
		.amdhsa_reserve_vcc 1
		.amdhsa_float_round_mode_32 0
		.amdhsa_float_round_mode_16_64 0
		.amdhsa_float_denorm_mode_32 3
		.amdhsa_float_denorm_mode_16_64 3
		.amdhsa_dx10_clamp 1
		.amdhsa_ieee_mode 1
		.amdhsa_fp16_overflow 0
		.amdhsa_tg_split 0
		.amdhsa_exception_fp_ieee_invalid_op 0
		.amdhsa_exception_fp_denorm_src 0
		.amdhsa_exception_fp_ieee_div_zero 0
		.amdhsa_exception_fp_ieee_overflow 0
		.amdhsa_exception_fp_ieee_underflow 0
		.amdhsa_exception_fp_ieee_inexact 0
		.amdhsa_exception_int_div_zero 0
	.end_amdhsa_kernel
	.section	.text._Z16sort_keys_kernelIhLj256ELj8EN10test_utils4lessELj10EEvPKT_PS2_T2_,"axG",@progbits,_Z16sort_keys_kernelIhLj256ELj8EN10test_utils4lessELj10EEvPKT_PS2_T2_,comdat
.Lfunc_end108:
	.size	_Z16sort_keys_kernelIhLj256ELj8EN10test_utils4lessELj10EEvPKT_PS2_T2_, .Lfunc_end108-_Z16sort_keys_kernelIhLj256ELj8EN10test_utils4lessELj10EEvPKT_PS2_T2_
                                        ; -- End function
	.section	.AMDGPU.csdata,"",@progbits
; Kernel info:
; codeLenInByte = 11912
; NumSgprs: 52
; NumVgprs: 75
; NumAgprs: 0
; TotalNumVgprs: 75
; ScratchSize: 0
; MemoryBound: 0
; FloatMode: 240
; IeeeMode: 1
; LDSByteSize: 2049 bytes/workgroup (compile time only)
; SGPRBlocks: 6
; VGPRBlocks: 9
; NumSGPRsForWavesPerEU: 52
; NumVGPRsForWavesPerEU: 75
; AccumOffset: 76
; Occupancy: 6
; WaveLimiterHint : 1
; COMPUTE_PGM_RSRC2:SCRATCH_EN: 0
; COMPUTE_PGM_RSRC2:USER_SGPR: 2
; COMPUTE_PGM_RSRC2:TRAP_HANDLER: 0
; COMPUTE_PGM_RSRC2:TGID_X_EN: 1
; COMPUTE_PGM_RSRC2:TGID_Y_EN: 0
; COMPUTE_PGM_RSRC2:TGID_Z_EN: 0
; COMPUTE_PGM_RSRC2:TIDIG_COMP_CNT: 0
; COMPUTE_PGM_RSRC3_GFX90A:ACCUM_OFFSET: 18
; COMPUTE_PGM_RSRC3_GFX90A:TG_SPLIT: 0
	.section	.text._Z17sort_pairs_kernelIhLj256ELj8EN10test_utils4lessELj10EEvPKT_PS2_T2_,"axG",@progbits,_Z17sort_pairs_kernelIhLj256ELj8EN10test_utils4lessELj10EEvPKT_PS2_T2_,comdat
	.protected	_Z17sort_pairs_kernelIhLj256ELj8EN10test_utils4lessELj10EEvPKT_PS2_T2_ ; -- Begin function _Z17sort_pairs_kernelIhLj256ELj8EN10test_utils4lessELj10EEvPKT_PS2_T2_
	.globl	_Z17sort_pairs_kernelIhLj256ELj8EN10test_utils4lessELj10EEvPKT_PS2_T2_
	.p2align	8
	.type	_Z17sort_pairs_kernelIhLj256ELj8EN10test_utils4lessELj10EEvPKT_PS2_T2_,@function
_Z17sort_pairs_kernelIhLj256ELj8EN10test_utils4lessELj10EEvPKT_PS2_T2_: ; @_Z17sort_pairs_kernelIhLj256ELj8EN10test_utils4lessELj10EEvPKT_PS2_T2_
; %bb.0:
	s_load_dwordx4 s[4:7], s[0:1], 0x0
	s_lshl_b32 s33, s2, 11
                                        ; implicit-def: $vgpr96 : SGPR spill to VGPR lane
	v_lshlrev_b32_e32 v2, 3, v0
	v_and_b32_e32 v3, 0x7f0, v2
	v_and_b32_e32 v5, 0x7e0, v2
	s_waitcnt lgkmcnt(0)
	s_add_u32 s0, s4, s33
	s_mov_b64 s[2:3], s[6:7]
	v_writelane_b32 v96, s0, 0
	v_or_b32_e32 v15, 8, v3
	v_add_u32_e32 v16, 16, v3
	v_writelane_b32 v96, s1, 1
	v_writelane_b32 v96, s2, 2
	;; [unrolled: 1-line block ×3, first 2 shown]
	s_addc_u32 s1, s5, 0
	global_load_ubyte v48, v0, s[0:1]
	global_load_ubyte v49, v0, s[0:1] offset:512
	global_load_ubyte v50, v0, s[0:1] offset:1024
	;; [unrolled: 1-line block ×7, first 2 shown]
	v_and_b32_e32 v4, 8, v2
	v_and_b32_e32 v7, 0x7c0, v2
	v_or_b32_e32 v17, 16, v5
	v_add_u32_e32 v18, 32, v5
	v_sub_u32_e32 v37, v16, v15
	v_and_b32_e32 v6, 24, v2
	v_and_b32_e32 v9, 0x780, v2
	v_or_b32_e32 v19, 32, v7
	v_add_u32_e32 v20, 64, v7
	v_sub_u32_e32 v38, v18, v17
	v_sub_u32_e32 v44, v4, v37
	v_cmp_ge_i32_e32 vcc, v4, v37
	v_and_b32_e32 v8, 56, v2
	v_and_b32_e32 v11, 0x700, v2
	v_or_b32_e32 v21, 64, v9
	v_add_u32_e32 v22, 0x80, v9
	v_sub_u32_e32 v39, v20, v19
	v_sub_u32_e32 v45, v6, v38
	v_cndmask_b32_e32 v37, 0, v44, vcc
	v_cmp_ge_i32_e32 vcc, v6, v38
	v_and_b32_e32 v10, 0x78, v2
	v_or_b32_e32 v23, 0x80, v11
	v_add_u32_e32 v24, 0x100, v11
	v_sub_u32_e32 v40, v22, v21
	v_sub_u32_e32 v46, v8, v39
	v_cndmask_b32_e32 v38, 0, v45, vcc
	v_cmp_ge_i32_e32 vcc, v8, v39
	v_and_b32_e32 v12, 0xf8, v2
	v_sub_u32_e32 v41, v24, v23
	v_sub_u32_e32 v47, v10, v40
	v_cndmask_b32_e32 v39, 0, v46, vcc
	v_cmp_ge_i32_e32 vcc, v10, v40
	v_sub_u32_e32 v56, v12, v41
	v_and_b32_e32 v46, 0x400, v2
	v_cndmask_b32_e32 v40, 0, v47, vcc
	v_cmp_ge_i32_e32 vcc, v12, v41
	v_and_b32_e32 v13, 0x600, v2
	v_or_b32_e32 v25, 0x100, v13
	v_cndmask_b32_e32 v41, 0, v56, vcc
	v_add_u32_e32 v26, 0x200, v13
	v_and_b32_e32 v47, 0x3f8, v2
	s_movk_i32 s14, 0x100
	v_and_b32_e32 v14, 0x1f8, v2
	v_sub_u32_e32 v32, v15, v3
	v_sub_u32_e32 v42, v26, v25
	;; [unrolled: 1-line block ×7, first 2 shown]
	v_min_i32_e32 v32, v4, v32
	v_sub_u32_e32 v44, v14, v42
	v_cmp_ge_i32_e64 s[8:9], v14, v42
	v_mov_b32_e32 v45, 0x400
	v_min_i32_e32 v33, v6, v33
	v_min_i32_e32 v34, v8, v34
	;; [unrolled: 1-line block ×4, first 2 shown]
	v_cmp_lt_i32_e64 s[0:1], v37, v32
	v_cndmask_b32_e64 v42, 0, v44, s[8:9]
	v_min_i32_e32 v43, v14, v43
	s_mov_b32 s88, 0
	v_mov_b32_e32 v1, 0
	v_add_u32_e32 v27, v15, v4
	v_add_u32_e32 v28, v17, v6
	;; [unrolled: 1-line block ×5, first 2 shown]
	v_writelane_b32 v96, s0, 4
	v_cmp_lt_i32_e32 vcc, v38, v33
	v_cmp_lt_i32_e64 s[2:3], v39, v34
	v_cmp_lt_i32_e64 s[4:5], v40, v35
	;; [unrolled: 1-line block ×4, first 2 shown]
	v_add_u32_e32 v44, v25, v14
	s_waitcnt vmcnt(7)
	v_add_u16_e32 v56, 1, v48
	s_waitcnt vmcnt(6)
	v_add_u16_e32 v57, 1, v49
	s_waitcnt vmcnt(2)
	v_lshlrev_b16_e32 v53, 8, v53
	s_waitcnt vmcnt(1)
	v_lshlrev_b16_e32 v54, 8, v54
	;; [unrolled: 2-line block ×3, first 2 shown]
	v_or_b32_e32 v48, v48, v55
	v_or_b32_sdwa v49, v49, v54 dst_sel:WORD_1 dst_unused:UNUSED_PAD src0_sel:DWORD src1_sel:DWORD
	v_lshlrev_b16_e32 v62, 8, v52
	v_add_u16_e32 v60, 1, v50
	v_or_b32_sdwa v58, v48, v49 dst_sel:DWORD dst_unused:UNUSED_PAD src0_sel:WORD_0 src1_sel:DWORD
	v_or_b32_e32 v49, v50, v53
	v_or_b32_sdwa v50, v51, v62 dst_sel:WORD_1 dst_unused:UNUSED_PAD src0_sel:DWORD src1_sel:DWORD
	v_or_b32_e32 v48, 0x200, v46
	v_or_b32_sdwa v59, v49, v50 dst_sel:DWORD dst_unused:UNUSED_PAD src0_sel:WORD_0 src1_sel:DWORD
	v_add_u32_e32 v49, 0x400, v46
	v_sub_u32_e32 v50, v49, v48
	v_add_u16_e32 v61, 1, v51
	v_or_b32_sdwa v52, v55, v56 dst_sel:DWORD dst_unused:UNUSED_PAD src0_sel:DWORD src1_sel:BYTE_0
	v_or_b32_sdwa v54, v54, v57 dst_sel:DWORD dst_unused:UNUSED_PAD src0_sel:DWORD src1_sel:BYTE_0
	v_sub_u32_e32 v51, v47, v50
	v_sub_u32_e32 v55, v48, v46
	v_cmp_ge_i32_e64 s[10:11], v47, v50
	v_add_u16_e32 v52, 0x100, v52
	v_add_u16_sdwa v54, v54, s14 dst_sel:WORD_1 dst_unused:UNUSED_PAD src0_sel:DWORD src1_sel:DWORD
	v_cndmask_b32_e64 v50, 0, v51, s[10:11]
	v_min_i32_e32 v51, v47, v55
	v_or_b32_sdwa v55, v53, v60 dst_sel:DWORD dst_unused:UNUSED_PAD src0_sel:DWORD src1_sel:BYTE_0
	v_or_b32_sdwa v57, v62, v61 dst_sel:DWORD dst_unused:UNUSED_PAD src0_sel:DWORD src1_sel:BYTE_0
	v_or_b32_e32 v56, v52, v54
	v_sub_u32_e64 v53, v2, v45 clamp
	v_min_i32_e32 v54, 0x400, v2
	v_add_u16_e32 v55, 0x100, v55
	v_add_u16_sdwa v57, v57, s14 dst_sel:WORD_1 dst_unused:UNUSED_PAD src0_sel:DWORD src1_sel:DWORD
	v_cmp_lt_i32_e64 s[10:11], v50, v51
	v_add_u32_e32 v52, v48, v47
	v_cmp_lt_i32_e64 s[12:13], v53, v54
	v_or_b32_e32 v57, v55, v57
	v_add_u32_e32 v55, 0x400, v2
	s_mov_b32 s89, 0xffff
	s_movk_i32 s92, 0xff
	s_mov_b32 s93, 0x7060405
	s_mov_b32 s94, 0xc0c0001
	;; [unrolled: 1-line block ×6, first 2 shown]
	s_movk_i32 s99, 0x800
	v_writelane_b32 v96, s1, 5
	s_branch .LBB109_2
.LBB109_1:                              ;   in Loop: Header=BB109_2 Depth=1
	s_or_b64 exec, exec, s[28:29]
	v_cndmask_b32_e64 v66, v66, v67, s[14:15]
	v_cndmask_b32_e64 v67, v69, v68, s[16:17]
	;; [unrolled: 1-line block ×3, first 2 shown]
	v_cmp_ge_i32_e64 s[16:17], v92, v45
	s_waitcnt lgkmcnt(0)
	v_cmp_lt_u16_sdwa s[0:1], v95, v93 src0_sel:BYTE_0 src1_sel:BYTE_0
	v_lshlrev_b16_e32 v58, 8, v58
	v_cndmask_b32_e64 v65, v64, v65, s[14:15]
	v_cmp_gt_i32_e64 s[14:15], s99, v90
	s_or_b64 s[0:1], s[16:17], s[0:1]
	v_lshlrev_b16_e32 v63, 8, v63
	v_lshlrev_b16_e32 v60, 8, v60
	v_or_b32_sdwa v56, v56, v58 dst_sel:DWORD dst_unused:UNUSED_PAD src0_sel:BYTE_0 src1_sel:DWORD
	v_lshlrev_b16_e32 v58, 8, v59
	v_cndmask_b32_e64 v69, v76, v77, s[20:21]
	s_and_b64 s[14:15], s[14:15], s[0:1]
	v_or_b32_sdwa v61, v61, v63 dst_sel:DWORD dst_unused:UNUSED_PAD src0_sel:BYTE_0 src1_sel:DWORD
	v_or_b32_sdwa v60, v62, v60 dst_sel:WORD_1 dst_unused:UNUSED_PAD src0_sel:BYTE_0 src1_sel:DWORD
	v_or_b32_sdwa v57, v57, v58 dst_sel:WORD_1 dst_unused:UNUSED_PAD src0_sel:BYTE_0 src1_sel:DWORD
	v_cndmask_b32_e64 v68, v72, v73, s[18:19]
	v_cndmask_b32_e64 v74, v75, v74, s[18:19]
	;; [unrolled: 1-line block ×3, first 2 shown]
	v_or_b32_sdwa v61, v61, v60 dst_sel:DWORD dst_unused:UNUSED_PAD src0_sel:WORD_0 src1_sel:DWORD
	v_or_b32_sdwa v60, v56, v57 dst_sel:DWORD dst_unused:UNUSED_PAD src0_sel:WORD_0 src1_sel:DWORD
	v_lshlrev_b16_e32 v56, 8, v67
	v_lshlrev_b16_e32 v57, 8, v69
	v_cndmask_b32_e64 v72, v80, v81, s[22:23]
	v_cndmask_b32_e64 v73, v84, v85, s[24:25]
	;; [unrolled: 1-line block ×6, first 2 shown]
	s_barrier
	ds_write_b64 v2, v[60:61]
	s_waitcnt lgkmcnt(0)
	s_barrier
	ds_read_u8 v60, v91
	ds_read_u8 v61, v71
	;; [unrolled: 1-line block ×8, first 2 shown]
	v_or_b32_sdwa v56, v66, v56 dst_sel:DWORD dst_unused:UNUSED_PAD src0_sel:BYTE_0 src1_sel:DWORD
	v_or_b32_sdwa v57, v68, v57 dst_sel:WORD_1 dst_unused:UNUSED_PAD src0_sel:BYTE_0 src1_sel:DWORD
	v_cndmask_b32_e64 v76, v88, v89, s[26:27]
	v_or_b32_sdwa v58, v56, v57 dst_sel:DWORD dst_unused:UNUSED_PAD src0_sel:WORD_0 src1_sel:DWORD
	v_lshlrev_b16_e32 v56, 8, v73
	v_lshlrev_b16_e32 v57, 8, v64
	v_or_b32_sdwa v56, v72, v56 dst_sel:DWORD dst_unused:UNUSED_PAD src0_sel:BYTE_0 src1_sel:DWORD
	v_or_b32_sdwa v57, v76, v57 dst_sel:WORD_1 dst_unused:UNUSED_PAD src0_sel:BYTE_0 src1_sel:DWORD
	s_waitcnt lgkmcnt(6)
	v_lshlrev_b16_e32 v75, 8, v61
	v_or_b32_sdwa v59, v56, v57 dst_sel:DWORD dst_unused:UNUSED_PAD src0_sel:WORD_0 src1_sel:DWORD
	s_waitcnt lgkmcnt(4)
	v_lshlrev_b16_e32 v56, 8, v63
	s_waitcnt lgkmcnt(2)
	v_lshlrev_b16_e32 v57, 8, v70
	v_or_b32_e32 v56, v62, v56
	v_or_b32_sdwa v57, v65, v57 dst_sel:WORD_1 dst_unused:UNUSED_PAD src0_sel:DWORD src1_sel:DWORD
	s_add_i32 s88, s88, 1
	v_or_b32_sdwa v56, v56, v57 dst_sel:DWORD dst_unused:UNUSED_PAD src0_sel:WORD_0 src1_sel:DWORD
	s_waitcnt lgkmcnt(0)
	v_lshlrev_b16_e32 v57, 8, v74
	v_or_b32_e32 v57, v71, v57
	v_or_b32_sdwa v75, v60, v75 dst_sel:WORD_1 dst_unused:UNUSED_PAD src0_sel:DWORD src1_sel:DWORD
	s_cmp_eq_u32 s88, 10
	v_or_b32_sdwa v57, v57, v75 dst_sel:DWORD dst_unused:UNUSED_PAD src0_sel:WORD_0 src1_sel:DWORD
	s_cbranch_scc1 .LBB109_258
.LBB109_2:                              ; =>This Loop Header: Depth=1
                                        ;     Child Loop BB109_4 Depth 2
                                        ;     Child Loop BB109_36 Depth 2
	;; [unrolled: 1-line block ×8, first 2 shown]
	v_lshrrev_b32_e32 v61, 8, v58
	v_perm_b32 v60, v58, v58, s93
	v_cmp_lt_u16_sdwa s[14:15], v61, v58 src0_sel:BYTE_0 src1_sel:BYTE_0
	v_readlane_b32 s0, v96, 4
	s_nop 0
	v_cndmask_b32_e64 v58, v58, v60, s[14:15]
	v_lshrrev_b32_e32 v60, 16, v58
	v_perm_b32 v61, 0, v60, s94
	v_lshlrev_b32_e32 v61, 16, v61
	v_and_or_b32 v61, v58, s89, v61
	v_cmp_lt_u16_sdwa s[16:17], v58, v60 src0_sel:BYTE_3 src1_sel:BYTE_0
	v_perm_b32 v60, v59, v59, s93
	s_barrier
	v_cndmask_b32_e64 v58, v58, v61, s[16:17]
	v_lshrrev_b32_e32 v61, 8, v59
	v_cmp_lt_u16_sdwa s[18:19], v61, v59 src0_sel:BYTE_0 src1_sel:BYTE_0
	v_perm_b32 v62, v58, v58, s96
	s_nop 0
	v_cndmask_b32_e64 v59, v59, v60, s[18:19]
	v_and_b32_sdwa v60, v59, s92 dst_sel:DWORD dst_unused:UNUSED_PAD src0_sel:WORD_1 src1_sel:DWORD
	v_perm_b32 v61, v59, v59, s95
	v_cmp_lt_u16_sdwa s[20:21], v59, v60 src0_sel:BYTE_3 src1_sel:DWORD
	v_and_b32_sdwa v60, v58, s92 dst_sel:DWORD dst_unused:UNUSED_PAD src0_sel:WORD_1 src1_sel:DWORD
	v_readlane_b32 s1, v96, 5
	v_cndmask_b32_e64 v59, v59, v61, s[20:21]
	v_lshrrev_b32_e32 v61, 8, v58
	v_cmp_lt_u16_sdwa s[22:23], v60, v61 src0_sel:DWORD src1_sel:BYTE_0
	s_nop 1
	v_cndmask_b32_e64 v58, v58, v62, s[22:23]
	v_and_b32_sdwa v61, v58, s92 dst_sel:DWORD dst_unused:UNUSED_PAD src0_sel:WORD_1 src1_sel:DWORD
	v_lshlrev_b16_e32 v62, 8, v59
	v_perm_b32 v60, v58, v59, s97
	v_or_b32_sdwa v61, v61, v62 dst_sel:WORD_1 dst_unused:UNUSED_PAD src0_sel:DWORD src1_sel:DWORD
	v_cmp_lt_u16_sdwa s[24:25], v59, v58 src0_sel:BYTE_0 src1_sel:BYTE_3
	v_and_or_b32 v61, v58, s89, v61
	s_nop 0
	v_cndmask_b32_e64 v59, v59, v60, s[24:25]
	v_cndmask_b32_e64 v58, v58, v61, s[24:25]
	v_and_b32_sdwa v60, v59, s92 dst_sel:DWORD dst_unused:UNUSED_PAD src0_sel:WORD_1 src1_sel:DWORD
	v_lshrrev_b32_e32 v61, 8, v59
	v_cmp_lt_u16_sdwa s[26:27], v60, v61 src0_sel:DWORD src1_sel:BYTE_0
	v_perm_b32 v60, 0, v58, s94
	v_lshrrev_b32_e32 v61, 8, v58
	v_and_or_b32 v60, v58, s98, v60
	v_cmp_lt_u16_sdwa s[28:29], v61, v58 src0_sel:BYTE_0 src1_sel:BYTE_0
	v_perm_b32 v62, v59, v59, s96
	v_cndmask_b32_e64 v59, v59, v62, s[26:27]
	v_cndmask_b32_e64 v58, v58, v60, s[28:29]
	v_lshrrev_b32_e32 v60, 16, v58
	v_perm_b32 v61, 0, v60, s94
	v_lshlrev_b32_e32 v61, 16, v61
	v_and_or_b32 v61, v58, s89, v61
	v_cmp_lt_u16_sdwa s[30:31], v58, v60 src0_sel:BYTE_3 src1_sel:BYTE_0
	v_perm_b32 v60, v59, v59, s93
	s_nop 0
	v_cndmask_b32_e64 v58, v58, v61, s[30:31]
	v_lshrrev_b32_e32 v61, 8, v59
	v_cmp_lt_u16_sdwa s[34:35], v61, v59 src0_sel:BYTE_0 src1_sel:BYTE_0
	v_perm_b32 v62, v58, v58, s96
	s_nop 0
	v_cndmask_b32_e64 v59, v59, v60, s[34:35]
	v_and_b32_sdwa v60, v59, s92 dst_sel:DWORD dst_unused:UNUSED_PAD src0_sel:WORD_1 src1_sel:DWORD
	v_perm_b32 v61, v59, v59, s95
	v_cmp_lt_u16_sdwa s[36:37], v59, v60 src0_sel:BYTE_3 src1_sel:DWORD
	v_and_b32_sdwa v60, v58, s92 dst_sel:DWORD dst_unused:UNUSED_PAD src0_sel:WORD_1 src1_sel:DWORD
	s_nop 0
	v_cndmask_b32_e64 v59, v59, v61, s[36:37]
	v_lshrrev_b32_e32 v61, 8, v58
	v_cmp_lt_u16_sdwa s[38:39], v60, v61 src0_sel:DWORD src1_sel:BYTE_0
	s_nop 1
	v_cndmask_b32_e64 v58, v58, v62, s[38:39]
	v_and_b32_sdwa v61, v58, s92 dst_sel:DWORD dst_unused:UNUSED_PAD src0_sel:WORD_1 src1_sel:DWORD
	v_lshlrev_b16_e32 v62, 8, v59
	v_perm_b32 v60, v58, v59, s97
	v_or_b32_sdwa v61, v61, v62 dst_sel:WORD_1 dst_unused:UNUSED_PAD src0_sel:DWORD src1_sel:DWORD
	v_cmp_lt_u16_sdwa s[40:41], v59, v58 src0_sel:BYTE_0 src1_sel:BYTE_3
	v_and_or_b32 v61, v58, s89, v61
	s_nop 0
	v_cndmask_b32_e64 v59, v59, v60, s[40:41]
	v_cndmask_b32_e64 v58, v58, v61, s[40:41]
	v_and_b32_sdwa v60, v59, s92 dst_sel:DWORD dst_unused:UNUSED_PAD src0_sel:WORD_1 src1_sel:DWORD
	v_lshrrev_b32_e32 v61, 8, v59
	v_cmp_lt_u16_sdwa s[42:43], v60, v61 src0_sel:DWORD src1_sel:BYTE_0
	v_perm_b32 v60, 0, v58, s94
	v_lshrrev_b32_e32 v61, 8, v58
	v_and_or_b32 v60, v58, s98, v60
	v_cmp_lt_u16_sdwa s[44:45], v61, v58 src0_sel:BYTE_0 src1_sel:BYTE_0
	v_perm_b32 v62, v59, v59, s96
	v_cndmask_b32_e64 v59, v59, v62, s[42:43]
	v_cndmask_b32_e64 v58, v58, v60, s[44:45]
	v_lshrrev_b32_e32 v60, 16, v58
	v_perm_b32 v61, 0, v60, s94
	v_lshlrev_b32_e32 v61, 16, v61
	v_and_or_b32 v61, v58, s89, v61
	v_cmp_lt_u16_sdwa s[46:47], v58, v60 src0_sel:BYTE_3 src1_sel:BYTE_0
	v_perm_b32 v60, v59, v59, s93
	s_nop 0
	v_cndmask_b32_e64 v58, v58, v61, s[46:47]
	v_lshrrev_b32_e32 v61, 8, v59
	v_cmp_lt_u16_sdwa s[48:49], v61, v59 src0_sel:BYTE_0 src1_sel:BYTE_0
	v_perm_b32 v62, v58, v58, s96
	s_nop 0
	v_cndmask_b32_e64 v59, v59, v60, s[48:49]
	v_and_b32_sdwa v60, v59, s92 dst_sel:DWORD dst_unused:UNUSED_PAD src0_sel:WORD_1 src1_sel:DWORD
	v_perm_b32 v61, v59, v59, s95
	v_cmp_lt_u16_sdwa s[50:51], v59, v60 src0_sel:BYTE_3 src1_sel:DWORD
	v_and_b32_sdwa v60, v58, s92 dst_sel:DWORD dst_unused:UNUSED_PAD src0_sel:WORD_1 src1_sel:DWORD
	s_nop 0
	;; [unrolled: 42-line block ×3, first 2 shown]
	v_cndmask_b32_e64 v59, v59, v61, s[64:65]
	v_lshrrev_b32_e32 v61, 8, v58
	v_cmp_lt_u16_sdwa s[66:67], v60, v61 src0_sel:DWORD src1_sel:BYTE_0
	s_nop 1
	v_cndmask_b32_e64 v58, v58, v62, s[66:67]
	v_and_b32_sdwa v61, v58, s92 dst_sel:DWORD dst_unused:UNUSED_PAD src0_sel:WORD_1 src1_sel:DWORD
	v_lshlrev_b16_e32 v62, 8, v59
	v_perm_b32 v60, v58, v59, s97
	v_or_b32_sdwa v61, v61, v62 dst_sel:WORD_1 dst_unused:UNUSED_PAD src0_sel:DWORD src1_sel:DWORD
	v_cmp_lt_u16_sdwa s[68:69], v59, v58 src0_sel:BYTE_0 src1_sel:BYTE_3
	v_and_or_b32 v61, v58, s89, v61
	s_nop 0
	v_cndmask_b32_e64 v59, v59, v60, s[68:69]
	v_cndmask_b32_e64 v58, v58, v61, s[68:69]
	v_and_b32_sdwa v60, v59, s92 dst_sel:DWORD dst_unused:UNUSED_PAD src0_sel:WORD_1 src1_sel:DWORD
	v_lshrrev_b32_e32 v61, 8, v59
	v_perm_b32 v62, v59, v59, s96
	v_cmp_lt_u16_sdwa s[70:71], v60, v61 src0_sel:DWORD src1_sel:BYTE_0
	s_nop 1
	v_cndmask_b32_e64 v59, v59, v62, s[70:71]
	ds_write_b64 v2, v[58:59]
	v_mov_b32_e32 v59, v37
	s_waitcnt lgkmcnt(0)
	s_barrier
	s_and_saveexec_b64 s[74:75], s[0:1]
	s_cbranch_execz .LBB109_6
; %bb.3:                                ;   in Loop: Header=BB109_2 Depth=1
	s_mov_b64 s[76:77], 0
	v_mov_b32_e32 v59, v37
	v_mov_b32_e32 v58, v32
.LBB109_4:                              ;   Parent Loop BB109_2 Depth=1
                                        ; =>  This Inner Loop Header: Depth=2
	v_sub_u32_e32 v60, v58, v59
	v_lshrrev_b32_e32 v61, 31, v60
	v_add_u32_e32 v60, v60, v61
	v_ashrrev_i32_e32 v60, 1, v60
	v_add_u32_e32 v60, v60, v59
	v_not_b32_e32 v62, v60
	v_add_u32_e32 v61, v3, v60
	v_add3_u32 v62, v4, v62, v15
	ds_read_u8 v61, v61
	ds_read_u8 v62, v62
	v_add_u32_e32 v63, 1, v60
	s_waitcnt lgkmcnt(0)
	v_cmp_lt_u16_e64 s[72:73], v62, v61
	s_nop 1
	v_cndmask_b32_e64 v58, v58, v60, s[72:73]
	v_cndmask_b32_e64 v59, v63, v59, s[72:73]
	v_cmp_ge_i32_e64 s[72:73], v59, v58
	s_or_b64 s[76:77], s[72:73], s[76:77]
	s_andn2_b64 exec, exec, s[76:77]
	s_cbranch_execnz .LBB109_4
; %bb.5:                                ;   in Loop: Header=BB109_2 Depth=1
	s_or_b64 exec, exec, s[76:77]
.LBB109_6:                              ;   in Loop: Header=BB109_2 Depth=1
	s_or_b64 exec, exec, s[74:75]
	v_add_u32_e32 v58, v59, v3
	v_sub_u32_e32 v59, v27, v59
	ds_read_u8 v60, v58
	ds_read_u8 v61, v59
	v_cmp_le_i32_e64 s[74:75], v15, v58
	v_cmp_gt_i32_e64 s[72:73], v16, v59
                                        ; implicit-def: $vgpr62
                                        ; implicit-def: $vgpr63
	s_waitcnt lgkmcnt(0)
	v_cmp_lt_u16_sdwa s[76:77], v61, v60 src0_sel:BYTE_0 src1_sel:BYTE_0
	s_or_b64 s[74:75], s[74:75], s[76:77]
	s_and_b64 s[72:73], s[72:73], s[74:75]
	s_xor_b64 s[74:75], s[72:73], -1
	s_and_saveexec_b64 s[76:77], s[74:75]
	s_xor_b64 s[74:75], exec, s[76:77]
	s_cbranch_execz .LBB109_8
; %bb.7:                                ;   in Loop: Header=BB109_2 Depth=1
	ds_read_u8 v63, v58 offset:1
	v_mov_b32_e32 v62, v61
.LBB109_8:                              ;   in Loop: Header=BB109_2 Depth=1
	s_andn2_saveexec_b64 s[74:75], s[74:75]
	s_cbranch_execz .LBB109_10
; %bb.9:                                ;   in Loop: Header=BB109_2 Depth=1
	ds_read_u8 v62, v59 offset:1
	s_waitcnt lgkmcnt(1)
	v_mov_b32_e32 v63, v60
.LBB109_10:                             ;   in Loop: Header=BB109_2 Depth=1
	s_or_b64 exec, exec, s[74:75]
	v_add_u32_e32 v65, 1, v58
	v_add_u32_e32 v64, 1, v59
	v_cndmask_b32_e64 v65, v65, v58, s[72:73]
	v_cndmask_b32_e64 v64, v59, v64, s[72:73]
	v_cmp_ge_i32_e64 s[76:77], v65, v15
	s_waitcnt lgkmcnt(0)
	v_cmp_lt_u16_sdwa s[78:79], v62, v63 src0_sel:BYTE_0 src1_sel:BYTE_0
	v_cmp_lt_i32_e64 s[74:75], v64, v16
	s_or_b64 s[76:77], s[76:77], s[78:79]
	s_and_b64 s[74:75], s[74:75], s[76:77]
	s_xor_b64 s[76:77], s[74:75], -1
                                        ; implicit-def: $vgpr66
	s_and_saveexec_b64 s[78:79], s[76:77]
	s_xor_b64 s[76:77], exec, s[78:79]
	s_cbranch_execz .LBB109_12
; %bb.11:                               ;   in Loop: Header=BB109_2 Depth=1
	ds_read_u8 v66, v65 offset:1
.LBB109_12:                             ;   in Loop: Header=BB109_2 Depth=1
	s_or_saveexec_b64 s[76:77], s[76:77]
	v_mov_b32_e32 v67, v62
	s_xor_b64 exec, exec, s[76:77]
	s_cbranch_execz .LBB109_14
; %bb.13:                               ;   in Loop: Header=BB109_2 Depth=1
	ds_read_u8 v67, v64 offset:1
	s_waitcnt lgkmcnt(1)
	v_mov_b32_e32 v66, v63
.LBB109_14:                             ;   in Loop: Header=BB109_2 Depth=1
	s_or_b64 exec, exec, s[76:77]
	v_add_u32_e32 v69, 1, v65
	v_add_u32_e32 v68, 1, v64
	v_cndmask_b32_e64 v69, v69, v65, s[74:75]
	v_cndmask_b32_e64 v68, v64, v68, s[74:75]
	v_cmp_ge_i32_e64 s[78:79], v69, v15
	s_waitcnt lgkmcnt(0)
	v_cmp_lt_u16_sdwa s[80:81], v67, v66 src0_sel:BYTE_0 src1_sel:BYTE_0
	v_cmp_lt_i32_e64 s[76:77], v68, v16
	s_or_b64 s[78:79], s[78:79], s[80:81]
	s_and_b64 s[76:77], s[76:77], s[78:79]
	s_xor_b64 s[78:79], s[76:77], -1
                                        ; implicit-def: $vgpr70
	s_and_saveexec_b64 s[80:81], s[78:79]
	s_xor_b64 s[78:79], exec, s[80:81]
	s_cbranch_execz .LBB109_16
; %bb.15:                               ;   in Loop: Header=BB109_2 Depth=1
	ds_read_u8 v70, v69 offset:1
.LBB109_16:                             ;   in Loop: Header=BB109_2 Depth=1
	s_or_saveexec_b64 s[78:79], s[78:79]
	v_mov_b32_e32 v71, v67
	s_xor_b64 exec, exec, s[78:79]
	s_cbranch_execz .LBB109_18
; %bb.17:                               ;   in Loop: Header=BB109_2 Depth=1
	ds_read_u8 v71, v68 offset:1
	s_waitcnt lgkmcnt(1)
	v_mov_b32_e32 v70, v66
.LBB109_18:                             ;   in Loop: Header=BB109_2 Depth=1
	s_or_b64 exec, exec, s[78:79]
	v_add_u32_e32 v73, 1, v69
	v_add_u32_e32 v72, 1, v68
	v_cndmask_b32_e64 v73, v73, v69, s[76:77]
	v_cndmask_b32_e64 v72, v68, v72, s[76:77]
	v_cmp_ge_i32_e64 s[80:81], v73, v15
	s_waitcnt lgkmcnt(0)
	v_cmp_lt_u16_sdwa s[82:83], v71, v70 src0_sel:BYTE_0 src1_sel:BYTE_0
	v_cmp_lt_i32_e64 s[78:79], v72, v16
	s_or_b64 s[80:81], s[80:81], s[82:83]
	s_and_b64 s[78:79], s[78:79], s[80:81]
	s_xor_b64 s[80:81], s[78:79], -1
                                        ; implicit-def: $vgpr74
	s_and_saveexec_b64 s[82:83], s[80:81]
	s_xor_b64 s[80:81], exec, s[82:83]
	s_cbranch_execz .LBB109_20
; %bb.19:                               ;   in Loop: Header=BB109_2 Depth=1
	ds_read_u8 v74, v73 offset:1
.LBB109_20:                             ;   in Loop: Header=BB109_2 Depth=1
	s_or_saveexec_b64 s[80:81], s[80:81]
	v_mov_b32_e32 v75, v71
	s_xor_b64 exec, exec, s[80:81]
	s_cbranch_execz .LBB109_22
; %bb.21:                               ;   in Loop: Header=BB109_2 Depth=1
	ds_read_u8 v75, v72 offset:1
	s_waitcnt lgkmcnt(1)
	v_mov_b32_e32 v74, v70
.LBB109_22:                             ;   in Loop: Header=BB109_2 Depth=1
	s_or_b64 exec, exec, s[80:81]
	v_add_u32_e32 v78, 1, v73
	v_add_u32_e32 v76, 1, v72
	v_cndmask_b32_e64 v78, v78, v73, s[78:79]
	v_cndmask_b32_e64 v77, v72, v76, s[78:79]
	v_cmp_ge_i32_e64 s[82:83], v78, v15
	s_waitcnt lgkmcnt(0)
	v_cmp_lt_u16_sdwa s[84:85], v75, v74 src0_sel:BYTE_0 src1_sel:BYTE_0
	v_cmp_lt_i32_e64 s[80:81], v77, v16
	s_or_b64 s[82:83], s[82:83], s[84:85]
	s_and_b64 s[80:81], s[80:81], s[82:83]
	s_xor_b64 s[82:83], s[80:81], -1
                                        ; implicit-def: $vgpr80
	s_and_saveexec_b64 s[84:85], s[82:83]
	s_xor_b64 s[82:83], exec, s[84:85]
	s_cbranch_execz .LBB109_24
; %bb.23:                               ;   in Loop: Header=BB109_2 Depth=1
	ds_read_u8 v80, v78 offset:1
.LBB109_24:                             ;   in Loop: Header=BB109_2 Depth=1
	s_or_saveexec_b64 s[82:83], s[82:83]
	v_mov_b32_e32 v81, v75
	s_xor_b64 exec, exec, s[82:83]
	s_cbranch_execz .LBB109_26
; %bb.25:                               ;   in Loop: Header=BB109_2 Depth=1
	ds_read_u8 v81, v77 offset:1
	s_waitcnt lgkmcnt(1)
	v_mov_b32_e32 v80, v74
.LBB109_26:                             ;   in Loop: Header=BB109_2 Depth=1
	s_or_b64 exec, exec, s[82:83]
	v_add_u32_e32 v79, 1, v78
	v_add_u32_e32 v76, 1, v77
	v_cndmask_b32_e64 v83, v79, v78, s[80:81]
	v_cndmask_b32_e64 v82, v77, v76, s[80:81]
	v_cmp_ge_i32_e64 s[84:85], v83, v15
	s_waitcnt lgkmcnt(0)
	v_cmp_lt_u16_sdwa s[86:87], v81, v80 src0_sel:BYTE_0 src1_sel:BYTE_0
	v_cmp_lt_i32_e64 s[82:83], v82, v16
	s_or_b64 s[84:85], s[84:85], s[86:87]
	s_and_b64 s[82:83], s[82:83], s[84:85]
	s_xor_b64 s[84:85], s[82:83], -1
                                        ; implicit-def: $vgpr84
	s_and_saveexec_b64 s[86:87], s[84:85]
	s_xor_b64 s[84:85], exec, s[86:87]
	s_cbranch_execz .LBB109_28
; %bb.27:                               ;   in Loop: Header=BB109_2 Depth=1
	ds_read_u8 v84, v83 offset:1
.LBB109_28:                             ;   in Loop: Header=BB109_2 Depth=1
	s_or_saveexec_b64 s[84:85], s[84:85]
	v_mov_b32_e32 v85, v81
	s_xor_b64 exec, exec, s[84:85]
	s_cbranch_execz .LBB109_30
; %bb.29:                               ;   in Loop: Header=BB109_2 Depth=1
	ds_read_u8 v85, v82 offset:1
	s_waitcnt lgkmcnt(1)
	v_mov_b32_e32 v84, v80
.LBB109_30:                             ;   in Loop: Header=BB109_2 Depth=1
	s_or_b64 exec, exec, s[84:85]
	v_add_u32_e32 v79, 1, v83
	v_add_u32_e32 v76, 1, v82
	v_cndmask_b32_e64 v87, v79, v83, s[82:83]
	v_cndmask_b32_e64 v86, v82, v76, s[82:83]
	v_cmp_ge_i32_e64 s[86:87], v87, v15
	s_waitcnt lgkmcnt(0)
	v_cmp_lt_u16_sdwa s[90:91], v85, v84 src0_sel:BYTE_0 src1_sel:BYTE_0
	v_cmp_lt_i32_e64 s[84:85], v86, v16
	s_or_b64 s[86:87], s[86:87], s[90:91]
	s_and_b64 s[84:85], s[84:85], s[86:87]
	s_xor_b64 s[86:87], s[84:85], -1
                                        ; implicit-def: $vgpr76
	s_and_saveexec_b64 s[90:91], s[86:87]
	s_xor_b64 s[86:87], exec, s[90:91]
	s_cbranch_execz .LBB109_32
; %bb.31:                               ;   in Loop: Header=BB109_2 Depth=1
	ds_read_u8 v76, v87 offset:1
.LBB109_32:                             ;   in Loop: Header=BB109_2 Depth=1
	s_or_saveexec_b64 s[86:87], s[86:87]
	v_mov_b32_e32 v79, v85
	s_xor_b64 exec, exec, s[86:87]
	s_cbranch_execz .LBB109_34
; %bb.33:                               ;   in Loop: Header=BB109_2 Depth=1
	ds_read_u8 v79, v86 offset:1
	s_waitcnt lgkmcnt(1)
	v_mov_b32_e32 v76, v84
.LBB109_34:                             ;   in Loop: Header=BB109_2 Depth=1
	s_or_b64 exec, exec, s[86:87]
	v_perm_b32 v88, 0, v56, s94
	v_and_or_b32 v88, v56, s98, v88
	v_cndmask_b32_e64 v56, v56, v88, s[14:15]
	v_cndmask_b32_e64 v58, v58, v59, s[72:73]
	v_lshrrev_b32_e32 v59, 16, v56
	v_perm_b32 v59, 0, v59, s94
	v_lshlrev_b32_e32 v59, 16, v59
	v_and_or_b32 v59, v56, s89, v59
	v_cndmask_b32_e64 v56, v56, v59, s[16:17]
	v_perm_b32 v59, v57, v57, s93
	v_cndmask_b32_e64 v57, v57, v59, s[18:19]
	v_perm_b32 v59, v57, v57, s95
	;; [unrolled: 2-line block ×3, first 2 shown]
	v_cndmask_b32_e64 v56, v56, v59, s[22:23]
	v_cndmask_b32_e64 v66, v66, v67, s[76:77]
	v_cndmask_b32_e64 v67, v69, v68, s[76:77]
	v_cndmask_b32_e64 v68, v63, v62, s[74:75]
	v_cndmask_b32_e64 v62, v65, v64, s[74:75]
	v_cndmask_b32_e64 v64, v60, v61, s[72:73]
	v_and_b32_sdwa v60, v56, s92 dst_sel:DWORD dst_unused:UNUSED_PAD src0_sel:WORD_1 src1_sel:DWORD
	v_lshlrev_b16_e32 v61, 8, v57
	v_or_b32_sdwa v60, v60, v61 dst_sel:WORD_1 dst_unused:UNUSED_PAD src0_sel:DWORD src1_sel:DWORD
	v_perm_b32 v59, v56, v57, s97
	v_and_or_b32 v60, v56, s89, v60
	v_cndmask_b32_e64 v56, v56, v60, s[24:25]
	v_perm_b32 v60, 0, v56, s94
	v_cndmask_b32_e64 v57, v57, v59, s[24:25]
	v_and_or_b32 v60, v56, s98, v60
	v_perm_b32 v59, v57, v57, s96
	v_cndmask_b32_e64 v56, v56, v60, s[28:29]
	v_cndmask_b32_e64 v57, v57, v59, s[26:27]
	v_lshrrev_b32_e32 v59, 16, v56
	v_perm_b32 v59, 0, v59, s94
	v_lshlrev_b32_e32 v59, 16, v59
	v_and_or_b32 v59, v56, s89, v59
	v_cndmask_b32_e64 v56, v56, v59, s[30:31]
	v_perm_b32 v59, v57, v57, s93
	v_cndmask_b32_e64 v57, v57, v59, s[34:35]
	v_perm_b32 v59, v57, v57, s95
	;; [unrolled: 2-line block ×3, first 2 shown]
	v_cndmask_b32_e64 v56, v56, v59, s[38:39]
	v_and_b32_sdwa v60, v56, s92 dst_sel:DWORD dst_unused:UNUSED_PAD src0_sel:WORD_1 src1_sel:DWORD
	v_lshlrev_b16_e32 v61, 8, v57
	v_or_b32_sdwa v60, v60, v61 dst_sel:WORD_1 dst_unused:UNUSED_PAD src0_sel:DWORD src1_sel:DWORD
	v_perm_b32 v59, v56, v57, s97
	v_and_or_b32 v60, v56, s89, v60
	v_cndmask_b32_e64 v56, v56, v60, s[40:41]
	v_perm_b32 v60, 0, v56, s94
	v_cndmask_b32_e64 v57, v57, v59, s[40:41]
	v_and_or_b32 v60, v56, s98, v60
	v_perm_b32 v59, v57, v57, s96
	v_cndmask_b32_e64 v56, v56, v60, s[44:45]
	v_cndmask_b32_e64 v57, v57, v59, s[42:43]
	v_lshrrev_b32_e32 v59, 16, v56
	v_perm_b32 v59, 0, v59, s94
	v_lshlrev_b32_e32 v59, 16, v59
	v_and_or_b32 v59, v56, s89, v59
	v_cndmask_b32_e64 v56, v56, v59, s[46:47]
	v_perm_b32 v59, v57, v57, s93
	v_cndmask_b32_e64 v57, v57, v59, s[48:49]
	v_perm_b32 v59, v57, v57, s95
	;; [unrolled: 2-line block ×3, first 2 shown]
	v_cndmask_b32_e64 v56, v56, v59, s[52:53]
	v_and_b32_sdwa v60, v56, s92 dst_sel:DWORD dst_unused:UNUSED_PAD src0_sel:WORD_1 src1_sel:DWORD
	v_lshlrev_b16_e32 v61, 8, v57
	v_or_b32_sdwa v60, v60, v61 dst_sel:WORD_1 dst_unused:UNUSED_PAD src0_sel:DWORD src1_sel:DWORD
	v_perm_b32 v59, v56, v57, s97
	v_and_or_b32 v60, v56, s89, v60
	v_cndmask_b32_e64 v56, v56, v60, s[54:55]
	v_perm_b32 v60, 0, v56, s94
	v_cndmask_b32_e64 v57, v57, v59, s[54:55]
	v_and_or_b32 v60, v56, s98, v60
	v_perm_b32 v59, v57, v57, s96
	v_cndmask_b32_e64 v56, v56, v60, s[58:59]
	v_cndmask_b32_e64 v57, v57, v59, s[56:57]
	v_lshrrev_b32_e32 v59, 16, v56
	v_perm_b32 v59, 0, v59, s94
	v_lshlrev_b32_e32 v59, 16, v59
	v_and_or_b32 v59, v56, s89, v59
	v_cndmask_b32_e64 v56, v56, v59, s[60:61]
	v_perm_b32 v59, v57, v57, s93
	v_cndmask_b32_e64 v57, v57, v59, s[62:63]
	v_perm_b32 v59, v57, v57, s95
	v_add_u32_e32 v89, 1, v87
	v_cndmask_b32_e64 v57, v57, v59, s[64:65]
	v_perm_b32 v59, v56, v56, s96
	v_cndmask_b32_e64 v84, v84, v85, s[84:85]
	v_add_u32_e32 v85, 1, v86
	v_cndmask_b32_e64 v89, v89, v87, s[84:85]
	v_cndmask_b32_e64 v56, v56, v59, s[66:67]
	;; [unrolled: 1-line block ×3, first 2 shown]
	v_perm_b32 v59, v56, v57, s97
	v_and_b32_sdwa v60, v56, s92 dst_sel:DWORD dst_unused:UNUSED_PAD src0_sel:WORD_1 src1_sel:DWORD
	v_lshlrev_b16_e32 v61, 8, v57
	v_cmp_ge_i32_e64 s[16:17], v89, v15
	s_waitcnt lgkmcnt(0)
	v_cmp_lt_u16_sdwa s[0:1], v79, v76 src0_sel:BYTE_0 src1_sel:BYTE_0
	v_or_b32_sdwa v60, v60, v61 dst_sel:WORD_1 dst_unused:UNUSED_PAD src0_sel:DWORD src1_sel:DWORD
	v_cndmask_b32_e64 v57, v57, v59, s[68:69]
	v_cmp_lt_i32_e64 s[14:15], v85, v16
	s_or_b64 s[0:1], s[16:17], s[0:1]
	v_and_or_b32 v60, v56, s89, v60
	v_perm_b32 v59, v57, v57, s96
	s_and_b64 s[14:15], s[14:15], s[0:1]
	v_cndmask_b32_e64 v56, v56, v60, s[68:69]
	v_cndmask_b32_e64 v57, v57, v59, s[70:71]
	;; [unrolled: 1-line block ×10, first 2 shown]
	s_barrier
	ds_write_b64 v2, v[56:57]
	s_waitcnt lgkmcnt(0)
	s_barrier
	ds_read_u8 v60, v59
	ds_read_u8 v56, v58
	;; [unrolled: 1-line block ×8, first 2 shown]
	v_lshlrev_b16_e32 v67, 8, v68
	v_or_b32_sdwa v64, v64, v67 dst_sel:DWORD dst_unused:UNUSED_PAD src0_sel:BYTE_0 src1_sel:DWORD
	v_lshlrev_b16_e32 v67, 8, v70
	v_cndmask_b32_e64 v65, v76, v79, s[14:15]
	v_or_b32_sdwa v66, v66, v67 dst_sel:WORD_1 dst_unused:UNUSED_PAD src0_sel:BYTE_0 src1_sel:DWORD
	v_lshlrev_b16_e32 v65, 8, v65
	v_or_b32_sdwa v64, v64, v66 dst_sel:DWORD dst_unused:UNUSED_PAD src0_sel:WORD_0 src1_sel:DWORD
	v_lshlrev_b16_e32 v66, 8, v80
	v_or_b32_sdwa v66, v74, v66 dst_sel:DWORD dst_unused:UNUSED_PAD src0_sel:BYTE_0 src1_sel:DWORD
	v_or_b32_sdwa v65, v84, v65 dst_sel:WORD_1 dst_unused:UNUSED_PAD src0_sel:BYTE_0 src1_sel:DWORD
	s_waitcnt lgkmcnt(0)
	v_or_b32_sdwa v65, v66, v65 dst_sel:DWORD dst_unused:UNUSED_PAD src0_sel:WORD_0 src1_sel:DWORD
	s_barrier
	ds_write_b64 v2, v[64:65]
	v_mov_b32_e32 v65, v38
	s_waitcnt lgkmcnt(0)
	s_barrier
	s_and_saveexec_b64 s[16:17], vcc
	s_cbranch_execz .LBB109_38
; %bb.35:                               ;   in Loop: Header=BB109_2 Depth=1
	s_mov_b64 s[18:19], 0
	v_mov_b32_e32 v65, v38
	v_mov_b32_e32 v64, v33
.LBB109_36:                             ;   Parent Loop BB109_2 Depth=1
                                        ; =>  This Inner Loop Header: Depth=2
	v_sub_u32_e32 v66, v64, v65
	v_lshrrev_b32_e32 v67, 31, v66
	v_add_u32_e32 v66, v66, v67
	v_ashrrev_i32_e32 v66, 1, v66
	v_add_u32_e32 v66, v66, v65
	v_not_b32_e32 v68, v66
	v_add_u32_e32 v67, v5, v66
	v_add3_u32 v68, v6, v68, v17
	ds_read_u8 v67, v67
	ds_read_u8 v68, v68
	v_add_u32_e32 v69, 1, v66
	s_waitcnt lgkmcnt(0)
	v_cmp_lt_u16_e64 s[14:15], v68, v67
	s_nop 1
	v_cndmask_b32_e64 v64, v64, v66, s[14:15]
	v_cndmask_b32_e64 v65, v69, v65, s[14:15]
	v_cmp_ge_i32_e64 s[14:15], v65, v64
	s_or_b64 s[18:19], s[14:15], s[18:19]
	s_andn2_b64 exec, exec, s[18:19]
	s_cbranch_execnz .LBB109_36
; %bb.37:                               ;   in Loop: Header=BB109_2 Depth=1
	s_or_b64 exec, exec, s[18:19]
.LBB109_38:                             ;   in Loop: Header=BB109_2 Depth=1
	s_or_b64 exec, exec, s[16:17]
	v_add_u32_e32 v64, v65, v5
	v_sub_u32_e32 v65, v28, v65
	ds_read_u8 v66, v64
	ds_read_u8 v67, v65
	v_cmp_le_i32_e64 s[16:17], v17, v64
	v_cmp_gt_i32_e64 s[14:15], v18, v65
                                        ; implicit-def: $vgpr68
                                        ; implicit-def: $vgpr69
	s_waitcnt lgkmcnt(0)
	v_cmp_lt_u16_sdwa s[0:1], v67, v66 src0_sel:BYTE_0 src1_sel:BYTE_0
	s_or_b64 s[0:1], s[16:17], s[0:1]
	s_and_b64 s[14:15], s[14:15], s[0:1]
	s_xor_b64 s[0:1], s[14:15], -1
	s_and_saveexec_b64 s[16:17], s[0:1]
	s_xor_b64 s[16:17], exec, s[16:17]
	s_cbranch_execz .LBB109_40
; %bb.39:                               ;   in Loop: Header=BB109_2 Depth=1
	ds_read_u8 v69, v64 offset:1
	v_mov_b32_e32 v68, v67
.LBB109_40:                             ;   in Loop: Header=BB109_2 Depth=1
	s_andn2_saveexec_b64 s[16:17], s[16:17]
	s_cbranch_execz .LBB109_42
; %bb.41:                               ;   in Loop: Header=BB109_2 Depth=1
	ds_read_u8 v68, v65 offset:1
	s_waitcnt lgkmcnt(1)
	v_mov_b32_e32 v69, v66
.LBB109_42:                             ;   in Loop: Header=BB109_2 Depth=1
	s_or_b64 exec, exec, s[16:17]
	v_add_u32_e32 v71, 1, v64
	v_add_u32_e32 v70, 1, v65
	v_cndmask_b32_e64 v71, v71, v64, s[14:15]
	v_cndmask_b32_e64 v70, v65, v70, s[14:15]
	v_cmp_ge_i32_e64 s[18:19], v71, v17
	s_waitcnt lgkmcnt(0)
	v_cmp_lt_u16_sdwa s[0:1], v68, v69 src0_sel:BYTE_0 src1_sel:BYTE_0
	v_cmp_lt_i32_e64 s[16:17], v70, v18
	s_or_b64 s[0:1], s[18:19], s[0:1]
	s_and_b64 s[16:17], s[16:17], s[0:1]
	s_xor_b64 s[0:1], s[16:17], -1
                                        ; implicit-def: $vgpr72
	s_and_saveexec_b64 s[18:19], s[0:1]
	s_xor_b64 s[18:19], exec, s[18:19]
	s_cbranch_execz .LBB109_44
; %bb.43:                               ;   in Loop: Header=BB109_2 Depth=1
	ds_read_u8 v72, v71 offset:1
.LBB109_44:                             ;   in Loop: Header=BB109_2 Depth=1
	s_or_saveexec_b64 s[18:19], s[18:19]
	v_mov_b32_e32 v73, v68
	s_xor_b64 exec, exec, s[18:19]
	s_cbranch_execz .LBB109_46
; %bb.45:                               ;   in Loop: Header=BB109_2 Depth=1
	ds_read_u8 v73, v70 offset:1
	s_waitcnt lgkmcnt(1)
	v_mov_b32_e32 v72, v69
.LBB109_46:                             ;   in Loop: Header=BB109_2 Depth=1
	s_or_b64 exec, exec, s[18:19]
	v_add_u32_e32 v75, 1, v71
	v_add_u32_e32 v74, 1, v70
	v_cndmask_b32_e64 v75, v75, v71, s[16:17]
	v_cndmask_b32_e64 v74, v70, v74, s[16:17]
	v_cmp_ge_i32_e64 s[20:21], v75, v17
	s_waitcnt lgkmcnt(0)
	v_cmp_lt_u16_sdwa s[0:1], v73, v72 src0_sel:BYTE_0 src1_sel:BYTE_0
	v_cmp_lt_i32_e64 s[18:19], v74, v18
	s_or_b64 s[0:1], s[20:21], s[0:1]
	s_and_b64 s[18:19], s[18:19], s[0:1]
	s_xor_b64 s[0:1], s[18:19], -1
                                        ; implicit-def: $vgpr76
	s_and_saveexec_b64 s[20:21], s[0:1]
	s_xor_b64 s[20:21], exec, s[20:21]
	s_cbranch_execz .LBB109_48
; %bb.47:                               ;   in Loop: Header=BB109_2 Depth=1
	ds_read_u8 v76, v75 offset:1
.LBB109_48:                             ;   in Loop: Header=BB109_2 Depth=1
	s_or_saveexec_b64 s[20:21], s[20:21]
	v_mov_b32_e32 v77, v73
	s_xor_b64 exec, exec, s[20:21]
	s_cbranch_execz .LBB109_50
; %bb.49:                               ;   in Loop: Header=BB109_2 Depth=1
	ds_read_u8 v77, v74 offset:1
	s_waitcnt lgkmcnt(1)
	v_mov_b32_e32 v76, v72
.LBB109_50:                             ;   in Loop: Header=BB109_2 Depth=1
	s_or_b64 exec, exec, s[20:21]
	v_add_u32_e32 v79, 1, v75
	v_add_u32_e32 v78, 1, v74
	v_cndmask_b32_e64 v79, v79, v75, s[18:19]
	v_cndmask_b32_e64 v78, v74, v78, s[18:19]
	v_cmp_ge_i32_e64 s[22:23], v79, v17
	s_waitcnt lgkmcnt(0)
	v_cmp_lt_u16_sdwa s[0:1], v77, v76 src0_sel:BYTE_0 src1_sel:BYTE_0
	v_cmp_lt_i32_e64 s[20:21], v78, v18
	s_or_b64 s[0:1], s[22:23], s[0:1]
	s_and_b64 s[20:21], s[20:21], s[0:1]
	s_xor_b64 s[0:1], s[20:21], -1
                                        ; implicit-def: $vgpr80
	s_and_saveexec_b64 s[22:23], s[0:1]
	s_xor_b64 s[22:23], exec, s[22:23]
	s_cbranch_execz .LBB109_52
; %bb.51:                               ;   in Loop: Header=BB109_2 Depth=1
	ds_read_u8 v80, v79 offset:1
.LBB109_52:                             ;   in Loop: Header=BB109_2 Depth=1
	s_or_saveexec_b64 s[22:23], s[22:23]
	v_mov_b32_e32 v81, v77
	s_xor_b64 exec, exec, s[22:23]
	s_cbranch_execz .LBB109_54
; %bb.53:                               ;   in Loop: Header=BB109_2 Depth=1
	ds_read_u8 v81, v78 offset:1
	s_waitcnt lgkmcnt(1)
	v_mov_b32_e32 v80, v76
.LBB109_54:                             ;   in Loop: Header=BB109_2 Depth=1
	s_or_b64 exec, exec, s[22:23]
	v_add_u32_e32 v83, 1, v79
	v_add_u32_e32 v82, 1, v78
	v_cndmask_b32_e64 v83, v83, v79, s[20:21]
	v_cndmask_b32_e64 v82, v78, v82, s[20:21]
	v_cmp_ge_i32_e64 s[24:25], v83, v17
	s_waitcnt lgkmcnt(0)
	v_cmp_lt_u16_sdwa s[0:1], v81, v80 src0_sel:BYTE_0 src1_sel:BYTE_0
	v_cmp_lt_i32_e64 s[22:23], v82, v18
	s_or_b64 s[0:1], s[24:25], s[0:1]
	s_and_b64 s[22:23], s[22:23], s[0:1]
	s_xor_b64 s[0:1], s[22:23], -1
                                        ; implicit-def: $vgpr84
	s_and_saveexec_b64 s[24:25], s[0:1]
	s_xor_b64 s[24:25], exec, s[24:25]
	s_cbranch_execz .LBB109_56
; %bb.55:                               ;   in Loop: Header=BB109_2 Depth=1
	ds_read_u8 v84, v83 offset:1
.LBB109_56:                             ;   in Loop: Header=BB109_2 Depth=1
	s_or_saveexec_b64 s[24:25], s[24:25]
	v_mov_b32_e32 v85, v81
	s_xor_b64 exec, exec, s[24:25]
	s_cbranch_execz .LBB109_58
; %bb.57:                               ;   in Loop: Header=BB109_2 Depth=1
	ds_read_u8 v85, v82 offset:1
	s_waitcnt lgkmcnt(1)
	v_mov_b32_e32 v84, v80
.LBB109_58:                             ;   in Loop: Header=BB109_2 Depth=1
	s_or_b64 exec, exec, s[24:25]
	v_add_u32_e32 v87, 1, v83
	v_add_u32_e32 v86, 1, v82
	v_cndmask_b32_e64 v87, v87, v83, s[22:23]
	v_cndmask_b32_e64 v86, v82, v86, s[22:23]
	v_cmp_ge_i32_e64 s[26:27], v87, v17
	s_waitcnt lgkmcnt(0)
	v_cmp_lt_u16_sdwa s[0:1], v85, v84 src0_sel:BYTE_0 src1_sel:BYTE_0
	v_cmp_lt_i32_e64 s[24:25], v86, v18
	s_or_b64 s[0:1], s[26:27], s[0:1]
	s_and_b64 s[24:25], s[24:25], s[0:1]
	s_xor_b64 s[0:1], s[24:25], -1
                                        ; implicit-def: $vgpr88
	s_and_saveexec_b64 s[26:27], s[0:1]
	s_xor_b64 s[26:27], exec, s[26:27]
	s_cbranch_execz .LBB109_60
; %bb.59:                               ;   in Loop: Header=BB109_2 Depth=1
	ds_read_u8 v88, v87 offset:1
.LBB109_60:                             ;   in Loop: Header=BB109_2 Depth=1
	s_or_saveexec_b64 s[26:27], s[26:27]
	v_mov_b32_e32 v89, v85
	s_xor_b64 exec, exec, s[26:27]
	s_cbranch_execz .LBB109_62
; %bb.61:                               ;   in Loop: Header=BB109_2 Depth=1
	ds_read_u8 v89, v86 offset:1
	s_waitcnt lgkmcnt(1)
	v_mov_b32_e32 v88, v84
.LBB109_62:                             ;   in Loop: Header=BB109_2 Depth=1
	s_or_b64 exec, exec, s[26:27]
	v_add_u32_e32 v92, 1, v87
	v_add_u32_e32 v90, 1, v86
	v_cndmask_b32_e64 v92, v92, v87, s[24:25]
	v_cndmask_b32_e64 v91, v86, v90, s[24:25]
	v_cmp_ge_i32_e64 s[28:29], v92, v17
	s_waitcnt lgkmcnt(0)
	v_cmp_lt_u16_sdwa s[0:1], v89, v88 src0_sel:BYTE_0 src1_sel:BYTE_0
	v_cmp_lt_i32_e64 s[26:27], v91, v18
	s_or_b64 s[0:1], s[28:29], s[0:1]
	s_and_b64 s[26:27], s[26:27], s[0:1]
	s_xor_b64 s[0:1], s[26:27], -1
                                        ; implicit-def: $vgpr90
	s_and_saveexec_b64 s[28:29], s[0:1]
	s_xor_b64 s[28:29], exec, s[28:29]
	s_cbranch_execz .LBB109_64
; %bb.63:                               ;   in Loop: Header=BB109_2 Depth=1
	ds_read_u8 v90, v92 offset:1
.LBB109_64:                             ;   in Loop: Header=BB109_2 Depth=1
	s_or_saveexec_b64 s[28:29], s[28:29]
	v_mov_b32_e32 v93, v89
	s_xor_b64 exec, exec, s[28:29]
	s_cbranch_execz .LBB109_66
; %bb.65:                               ;   in Loop: Header=BB109_2 Depth=1
	ds_read_u8 v93, v91 offset:1
	s_waitcnt lgkmcnt(1)
	v_mov_b32_e32 v90, v88
.LBB109_66:                             ;   in Loop: Header=BB109_2 Depth=1
	s_or_b64 exec, exec, s[28:29]
	v_add_u32_e32 v94, 1, v92
	v_cndmask_b32_e64 v88, v88, v89, s[26:27]
	v_add_u32_e32 v89, 1, v91
	v_cndmask_b32_e64 v94, v94, v92, s[26:27]
	v_cndmask_b32_e64 v89, v91, v89, s[26:27]
	;; [unrolled: 1-line block ×4, first 2 shown]
	v_cmp_ge_i32_e64 s[16:17], v94, v17
	s_waitcnt lgkmcnt(0)
	v_cmp_lt_u16_sdwa s[0:1], v93, v90 src0_sel:BYTE_0 src1_sel:BYTE_0
	v_lshlrev_b16_e32 v58, 8, v58
	v_cndmask_b32_e64 v66, v66, v67, s[14:15]
	v_cndmask_b32_e64 v64, v64, v65, s[14:15]
	v_cmp_lt_i32_e64 s[14:15], v89, v18
	s_or_b64 s[0:1], s[16:17], s[0:1]
	v_lshlrev_b16_e32 v63, 8, v63
	v_lshlrev_b16_e32 v60, 8, v60
	v_or_b32_sdwa v56, v56, v58 dst_sel:DWORD dst_unused:UNUSED_PAD src0_sel:BYTE_0 src1_sel:DWORD
	v_lshlrev_b16_e32 v58, 8, v59
	s_and_b64 s[14:15], s[14:15], s[0:1]
	v_or_b32_sdwa v61, v61, v63 dst_sel:DWORD dst_unused:UNUSED_PAD src0_sel:BYTE_0 src1_sel:DWORD
	v_or_b32_sdwa v60, v62, v60 dst_sel:WORD_1 dst_unused:UNUSED_PAD src0_sel:BYTE_0 src1_sel:DWORD
	v_or_b32_sdwa v57, v57, v58 dst_sel:WORD_1 dst_unused:UNUSED_PAD src0_sel:BYTE_0 src1_sel:DWORD
	v_cndmask_b32_e64 v67, v94, v89, s[14:15]
	v_or_b32_sdwa v61, v61, v60 dst_sel:DWORD dst_unused:UNUSED_PAD src0_sel:WORD_0 src1_sel:DWORD
	v_or_b32_sdwa v60, v56, v57 dst_sel:DWORD dst_unused:UNUSED_PAD src0_sel:WORD_0 src1_sel:DWORD
	v_cndmask_b32_e64 v91, v92, v91, s[26:27]
	v_cndmask_b32_e64 v84, v84, v85, s[24:25]
	;; [unrolled: 1-line block ×9, first 2 shown]
	s_barrier
	ds_write_b64 v2, v[60:61]
	s_waitcnt lgkmcnt(0)
	s_barrier
	ds_read_u8 v60, v67
	ds_read_u8 v56, v64
	;; [unrolled: 1-line block ×8, first 2 shown]
	v_lshlrev_b16_e32 v64, 8, v68
	v_or_b32_sdwa v64, v66, v64 dst_sel:DWORD dst_unused:UNUSED_PAD src0_sel:BYTE_0 src1_sel:DWORD
	v_lshlrev_b16_e32 v66, 8, v76
	v_cndmask_b32_e64 v65, v90, v93, s[14:15]
	v_or_b32_sdwa v66, v72, v66 dst_sel:WORD_1 dst_unused:UNUSED_PAD src0_sel:BYTE_0 src1_sel:DWORD
	v_lshlrev_b16_e32 v65, 8, v65
	v_or_b32_sdwa v64, v64, v66 dst_sel:DWORD dst_unused:UNUSED_PAD src0_sel:WORD_0 src1_sel:DWORD
	v_lshlrev_b16_e32 v66, 8, v84
	v_or_b32_sdwa v66, v80, v66 dst_sel:DWORD dst_unused:UNUSED_PAD src0_sel:BYTE_0 src1_sel:DWORD
	v_or_b32_sdwa v65, v88, v65 dst_sel:WORD_1 dst_unused:UNUSED_PAD src0_sel:BYTE_0 src1_sel:DWORD
	s_waitcnt lgkmcnt(0)
	v_or_b32_sdwa v65, v66, v65 dst_sel:DWORD dst_unused:UNUSED_PAD src0_sel:WORD_0 src1_sel:DWORD
	s_barrier
	ds_write_b64 v2, v[64:65]
	v_mov_b32_e32 v65, v39
	s_waitcnt lgkmcnt(0)
	s_barrier
	s_and_saveexec_b64 s[16:17], s[2:3]
	s_cbranch_execz .LBB109_70
; %bb.67:                               ;   in Loop: Header=BB109_2 Depth=1
	s_mov_b64 s[18:19], 0
	v_mov_b32_e32 v65, v39
	v_mov_b32_e32 v64, v34
.LBB109_68:                             ;   Parent Loop BB109_2 Depth=1
                                        ; =>  This Inner Loop Header: Depth=2
	v_sub_u32_e32 v66, v64, v65
	v_lshrrev_b32_e32 v67, 31, v66
	v_add_u32_e32 v66, v66, v67
	v_ashrrev_i32_e32 v66, 1, v66
	v_add_u32_e32 v66, v66, v65
	v_not_b32_e32 v68, v66
	v_add_u32_e32 v67, v7, v66
	v_add3_u32 v68, v8, v68, v19
	ds_read_u8 v67, v67
	ds_read_u8 v68, v68
	v_add_u32_e32 v69, 1, v66
	s_waitcnt lgkmcnt(0)
	v_cmp_lt_u16_e64 s[14:15], v68, v67
	s_nop 1
	v_cndmask_b32_e64 v64, v64, v66, s[14:15]
	v_cndmask_b32_e64 v65, v69, v65, s[14:15]
	v_cmp_ge_i32_e64 s[14:15], v65, v64
	s_or_b64 s[18:19], s[14:15], s[18:19]
	s_andn2_b64 exec, exec, s[18:19]
	s_cbranch_execnz .LBB109_68
; %bb.69:                               ;   in Loop: Header=BB109_2 Depth=1
	s_or_b64 exec, exec, s[18:19]
.LBB109_70:                             ;   in Loop: Header=BB109_2 Depth=1
	s_or_b64 exec, exec, s[16:17]
	v_add_u32_e32 v64, v65, v7
	v_sub_u32_e32 v65, v29, v65
	ds_read_u8 v66, v64
	ds_read_u8 v67, v65
	v_cmp_le_i32_e64 s[16:17], v19, v64
	v_cmp_gt_i32_e64 s[14:15], v20, v65
                                        ; implicit-def: $vgpr68
                                        ; implicit-def: $vgpr69
	s_waitcnt lgkmcnt(0)
	v_cmp_lt_u16_sdwa s[0:1], v67, v66 src0_sel:BYTE_0 src1_sel:BYTE_0
	s_or_b64 s[0:1], s[16:17], s[0:1]
	s_and_b64 s[14:15], s[14:15], s[0:1]
	s_xor_b64 s[0:1], s[14:15], -1
	s_and_saveexec_b64 s[16:17], s[0:1]
	s_xor_b64 s[16:17], exec, s[16:17]
	s_cbranch_execz .LBB109_72
; %bb.71:                               ;   in Loop: Header=BB109_2 Depth=1
	ds_read_u8 v69, v64 offset:1
	v_mov_b32_e32 v68, v67
.LBB109_72:                             ;   in Loop: Header=BB109_2 Depth=1
	s_andn2_saveexec_b64 s[16:17], s[16:17]
	s_cbranch_execz .LBB109_74
; %bb.73:                               ;   in Loop: Header=BB109_2 Depth=1
	ds_read_u8 v68, v65 offset:1
	s_waitcnt lgkmcnt(1)
	v_mov_b32_e32 v69, v66
.LBB109_74:                             ;   in Loop: Header=BB109_2 Depth=1
	s_or_b64 exec, exec, s[16:17]
	v_add_u32_e32 v71, 1, v64
	v_add_u32_e32 v70, 1, v65
	v_cndmask_b32_e64 v71, v71, v64, s[14:15]
	v_cndmask_b32_e64 v70, v65, v70, s[14:15]
	v_cmp_ge_i32_e64 s[18:19], v71, v19
	s_waitcnt lgkmcnt(0)
	v_cmp_lt_u16_sdwa s[0:1], v68, v69 src0_sel:BYTE_0 src1_sel:BYTE_0
	v_cmp_lt_i32_e64 s[16:17], v70, v20
	s_or_b64 s[0:1], s[18:19], s[0:1]
	s_and_b64 s[16:17], s[16:17], s[0:1]
	s_xor_b64 s[0:1], s[16:17], -1
                                        ; implicit-def: $vgpr72
	s_and_saveexec_b64 s[18:19], s[0:1]
	s_xor_b64 s[18:19], exec, s[18:19]
	s_cbranch_execz .LBB109_76
; %bb.75:                               ;   in Loop: Header=BB109_2 Depth=1
	ds_read_u8 v72, v71 offset:1
.LBB109_76:                             ;   in Loop: Header=BB109_2 Depth=1
	s_or_saveexec_b64 s[18:19], s[18:19]
	v_mov_b32_e32 v73, v68
	s_xor_b64 exec, exec, s[18:19]
	s_cbranch_execz .LBB109_78
; %bb.77:                               ;   in Loop: Header=BB109_2 Depth=1
	ds_read_u8 v73, v70 offset:1
	s_waitcnt lgkmcnt(1)
	v_mov_b32_e32 v72, v69
.LBB109_78:                             ;   in Loop: Header=BB109_2 Depth=1
	s_or_b64 exec, exec, s[18:19]
	v_add_u32_e32 v75, 1, v71
	v_add_u32_e32 v74, 1, v70
	v_cndmask_b32_e64 v75, v75, v71, s[16:17]
	v_cndmask_b32_e64 v74, v70, v74, s[16:17]
	v_cmp_ge_i32_e64 s[20:21], v75, v19
	s_waitcnt lgkmcnt(0)
	v_cmp_lt_u16_sdwa s[0:1], v73, v72 src0_sel:BYTE_0 src1_sel:BYTE_0
	v_cmp_lt_i32_e64 s[18:19], v74, v20
	s_or_b64 s[0:1], s[20:21], s[0:1]
	s_and_b64 s[18:19], s[18:19], s[0:1]
	s_xor_b64 s[0:1], s[18:19], -1
                                        ; implicit-def: $vgpr76
	s_and_saveexec_b64 s[20:21], s[0:1]
	s_xor_b64 s[20:21], exec, s[20:21]
	s_cbranch_execz .LBB109_80
; %bb.79:                               ;   in Loop: Header=BB109_2 Depth=1
	ds_read_u8 v76, v75 offset:1
.LBB109_80:                             ;   in Loop: Header=BB109_2 Depth=1
	s_or_saveexec_b64 s[20:21], s[20:21]
	v_mov_b32_e32 v77, v73
	s_xor_b64 exec, exec, s[20:21]
	s_cbranch_execz .LBB109_82
; %bb.81:                               ;   in Loop: Header=BB109_2 Depth=1
	ds_read_u8 v77, v74 offset:1
	s_waitcnt lgkmcnt(1)
	v_mov_b32_e32 v76, v72
.LBB109_82:                             ;   in Loop: Header=BB109_2 Depth=1
	s_or_b64 exec, exec, s[20:21]
	v_add_u32_e32 v79, 1, v75
	v_add_u32_e32 v78, 1, v74
	v_cndmask_b32_e64 v79, v79, v75, s[18:19]
	v_cndmask_b32_e64 v78, v74, v78, s[18:19]
	v_cmp_ge_i32_e64 s[22:23], v79, v19
	s_waitcnt lgkmcnt(0)
	v_cmp_lt_u16_sdwa s[0:1], v77, v76 src0_sel:BYTE_0 src1_sel:BYTE_0
	v_cmp_lt_i32_e64 s[20:21], v78, v20
	s_or_b64 s[0:1], s[22:23], s[0:1]
	s_and_b64 s[20:21], s[20:21], s[0:1]
	s_xor_b64 s[0:1], s[20:21], -1
                                        ; implicit-def: $vgpr80
	s_and_saveexec_b64 s[22:23], s[0:1]
	s_xor_b64 s[22:23], exec, s[22:23]
	s_cbranch_execz .LBB109_84
; %bb.83:                               ;   in Loop: Header=BB109_2 Depth=1
	ds_read_u8 v80, v79 offset:1
.LBB109_84:                             ;   in Loop: Header=BB109_2 Depth=1
	s_or_saveexec_b64 s[22:23], s[22:23]
	v_mov_b32_e32 v81, v77
	s_xor_b64 exec, exec, s[22:23]
	s_cbranch_execz .LBB109_86
; %bb.85:                               ;   in Loop: Header=BB109_2 Depth=1
	ds_read_u8 v81, v78 offset:1
	s_waitcnt lgkmcnt(1)
	v_mov_b32_e32 v80, v76
.LBB109_86:                             ;   in Loop: Header=BB109_2 Depth=1
	s_or_b64 exec, exec, s[22:23]
	v_add_u32_e32 v83, 1, v79
	v_add_u32_e32 v82, 1, v78
	v_cndmask_b32_e64 v83, v83, v79, s[20:21]
	v_cndmask_b32_e64 v82, v78, v82, s[20:21]
	v_cmp_ge_i32_e64 s[24:25], v83, v19
	s_waitcnt lgkmcnt(0)
	v_cmp_lt_u16_sdwa s[0:1], v81, v80 src0_sel:BYTE_0 src1_sel:BYTE_0
	v_cmp_lt_i32_e64 s[22:23], v82, v20
	s_or_b64 s[0:1], s[24:25], s[0:1]
	s_and_b64 s[22:23], s[22:23], s[0:1]
	s_xor_b64 s[0:1], s[22:23], -1
                                        ; implicit-def: $vgpr84
	s_and_saveexec_b64 s[24:25], s[0:1]
	s_xor_b64 s[24:25], exec, s[24:25]
	s_cbranch_execz .LBB109_88
; %bb.87:                               ;   in Loop: Header=BB109_2 Depth=1
	ds_read_u8 v84, v83 offset:1
.LBB109_88:                             ;   in Loop: Header=BB109_2 Depth=1
	s_or_saveexec_b64 s[24:25], s[24:25]
	v_mov_b32_e32 v85, v81
	s_xor_b64 exec, exec, s[24:25]
	s_cbranch_execz .LBB109_90
; %bb.89:                               ;   in Loop: Header=BB109_2 Depth=1
	ds_read_u8 v85, v82 offset:1
	s_waitcnt lgkmcnt(1)
	v_mov_b32_e32 v84, v80
.LBB109_90:                             ;   in Loop: Header=BB109_2 Depth=1
	s_or_b64 exec, exec, s[24:25]
	v_add_u32_e32 v87, 1, v83
	v_add_u32_e32 v86, 1, v82
	v_cndmask_b32_e64 v87, v87, v83, s[22:23]
	v_cndmask_b32_e64 v86, v82, v86, s[22:23]
	v_cmp_ge_i32_e64 s[26:27], v87, v19
	s_waitcnt lgkmcnt(0)
	v_cmp_lt_u16_sdwa s[0:1], v85, v84 src0_sel:BYTE_0 src1_sel:BYTE_0
	v_cmp_lt_i32_e64 s[24:25], v86, v20
	s_or_b64 s[0:1], s[26:27], s[0:1]
	s_and_b64 s[24:25], s[24:25], s[0:1]
	s_xor_b64 s[0:1], s[24:25], -1
                                        ; implicit-def: $vgpr88
	s_and_saveexec_b64 s[26:27], s[0:1]
	s_xor_b64 s[26:27], exec, s[26:27]
	s_cbranch_execz .LBB109_92
; %bb.91:                               ;   in Loop: Header=BB109_2 Depth=1
	ds_read_u8 v88, v87 offset:1
.LBB109_92:                             ;   in Loop: Header=BB109_2 Depth=1
	s_or_saveexec_b64 s[26:27], s[26:27]
	v_mov_b32_e32 v89, v85
	s_xor_b64 exec, exec, s[26:27]
	s_cbranch_execz .LBB109_94
; %bb.93:                               ;   in Loop: Header=BB109_2 Depth=1
	ds_read_u8 v89, v86 offset:1
	s_waitcnt lgkmcnt(1)
	v_mov_b32_e32 v88, v84
.LBB109_94:                             ;   in Loop: Header=BB109_2 Depth=1
	s_or_b64 exec, exec, s[26:27]
	v_add_u32_e32 v92, 1, v87
	v_add_u32_e32 v90, 1, v86
	v_cndmask_b32_e64 v92, v92, v87, s[24:25]
	v_cndmask_b32_e64 v91, v86, v90, s[24:25]
	v_cmp_ge_i32_e64 s[28:29], v92, v19
	s_waitcnt lgkmcnt(0)
	v_cmp_lt_u16_sdwa s[0:1], v89, v88 src0_sel:BYTE_0 src1_sel:BYTE_0
	v_cmp_lt_i32_e64 s[26:27], v91, v20
	s_or_b64 s[0:1], s[28:29], s[0:1]
	s_and_b64 s[26:27], s[26:27], s[0:1]
	s_xor_b64 s[0:1], s[26:27], -1
                                        ; implicit-def: $vgpr90
	s_and_saveexec_b64 s[28:29], s[0:1]
	s_xor_b64 s[28:29], exec, s[28:29]
	s_cbranch_execz .LBB109_96
; %bb.95:                               ;   in Loop: Header=BB109_2 Depth=1
	ds_read_u8 v90, v92 offset:1
.LBB109_96:                             ;   in Loop: Header=BB109_2 Depth=1
	s_or_saveexec_b64 s[28:29], s[28:29]
	v_mov_b32_e32 v93, v89
	s_xor_b64 exec, exec, s[28:29]
	s_cbranch_execz .LBB109_98
; %bb.97:                               ;   in Loop: Header=BB109_2 Depth=1
	ds_read_u8 v93, v91 offset:1
	s_waitcnt lgkmcnt(1)
	v_mov_b32_e32 v90, v88
.LBB109_98:                             ;   in Loop: Header=BB109_2 Depth=1
	s_or_b64 exec, exec, s[28:29]
	v_add_u32_e32 v94, 1, v92
	v_cndmask_b32_e64 v88, v88, v89, s[26:27]
	v_add_u32_e32 v89, 1, v91
	v_cndmask_b32_e64 v94, v94, v92, s[26:27]
	v_cndmask_b32_e64 v89, v91, v89, s[26:27]
	;; [unrolled: 1-line block ×4, first 2 shown]
	v_cmp_ge_i32_e64 s[16:17], v94, v19
	s_waitcnt lgkmcnt(0)
	v_cmp_lt_u16_sdwa s[0:1], v93, v90 src0_sel:BYTE_0 src1_sel:BYTE_0
	v_lshlrev_b16_e32 v58, 8, v58
	v_cndmask_b32_e64 v66, v66, v67, s[14:15]
	v_cndmask_b32_e64 v64, v64, v65, s[14:15]
	v_cmp_lt_i32_e64 s[14:15], v89, v20
	s_or_b64 s[0:1], s[16:17], s[0:1]
	v_lshlrev_b16_e32 v63, 8, v63
	v_lshlrev_b16_e32 v60, 8, v60
	v_or_b32_sdwa v56, v56, v58 dst_sel:DWORD dst_unused:UNUSED_PAD src0_sel:BYTE_0 src1_sel:DWORD
	v_lshlrev_b16_e32 v58, 8, v59
	s_and_b64 s[14:15], s[14:15], s[0:1]
	v_or_b32_sdwa v61, v61, v63 dst_sel:DWORD dst_unused:UNUSED_PAD src0_sel:BYTE_0 src1_sel:DWORD
	v_or_b32_sdwa v60, v62, v60 dst_sel:WORD_1 dst_unused:UNUSED_PAD src0_sel:BYTE_0 src1_sel:DWORD
	v_or_b32_sdwa v57, v57, v58 dst_sel:WORD_1 dst_unused:UNUSED_PAD src0_sel:BYTE_0 src1_sel:DWORD
	v_cndmask_b32_e64 v67, v94, v89, s[14:15]
	v_or_b32_sdwa v61, v61, v60 dst_sel:DWORD dst_unused:UNUSED_PAD src0_sel:WORD_0 src1_sel:DWORD
	v_or_b32_sdwa v60, v56, v57 dst_sel:DWORD dst_unused:UNUSED_PAD src0_sel:WORD_0 src1_sel:DWORD
	v_cndmask_b32_e64 v91, v92, v91, s[26:27]
	v_cndmask_b32_e64 v84, v84, v85, s[24:25]
	;; [unrolled: 1-line block ×9, first 2 shown]
	s_barrier
	ds_write_b64 v2, v[60:61]
	s_waitcnt lgkmcnt(0)
	s_barrier
	ds_read_u8 v60, v67
	ds_read_u8 v56, v64
	;; [unrolled: 1-line block ×8, first 2 shown]
	v_lshlrev_b16_e32 v64, 8, v68
	v_or_b32_sdwa v64, v66, v64 dst_sel:DWORD dst_unused:UNUSED_PAD src0_sel:BYTE_0 src1_sel:DWORD
	v_lshlrev_b16_e32 v66, 8, v76
	v_cndmask_b32_e64 v65, v90, v93, s[14:15]
	v_or_b32_sdwa v66, v72, v66 dst_sel:WORD_1 dst_unused:UNUSED_PAD src0_sel:BYTE_0 src1_sel:DWORD
	v_lshlrev_b16_e32 v65, 8, v65
	v_or_b32_sdwa v64, v64, v66 dst_sel:DWORD dst_unused:UNUSED_PAD src0_sel:WORD_0 src1_sel:DWORD
	v_lshlrev_b16_e32 v66, 8, v84
	v_or_b32_sdwa v66, v80, v66 dst_sel:DWORD dst_unused:UNUSED_PAD src0_sel:BYTE_0 src1_sel:DWORD
	v_or_b32_sdwa v65, v88, v65 dst_sel:WORD_1 dst_unused:UNUSED_PAD src0_sel:BYTE_0 src1_sel:DWORD
	s_waitcnt lgkmcnt(0)
	v_or_b32_sdwa v65, v66, v65 dst_sel:DWORD dst_unused:UNUSED_PAD src0_sel:WORD_0 src1_sel:DWORD
	s_barrier
	ds_write_b64 v2, v[64:65]
	v_mov_b32_e32 v65, v40
	s_waitcnt lgkmcnt(0)
	s_barrier
	s_and_saveexec_b64 s[16:17], s[4:5]
	s_cbranch_execz .LBB109_102
; %bb.99:                               ;   in Loop: Header=BB109_2 Depth=1
	s_mov_b64 s[18:19], 0
	v_mov_b32_e32 v65, v40
	v_mov_b32_e32 v64, v35
.LBB109_100:                            ;   Parent Loop BB109_2 Depth=1
                                        ; =>  This Inner Loop Header: Depth=2
	v_sub_u32_e32 v66, v64, v65
	v_lshrrev_b32_e32 v67, 31, v66
	v_add_u32_e32 v66, v66, v67
	v_ashrrev_i32_e32 v66, 1, v66
	v_add_u32_e32 v66, v66, v65
	v_not_b32_e32 v68, v66
	v_add_u32_e32 v67, v9, v66
	v_add3_u32 v68, v10, v68, v21
	ds_read_u8 v67, v67
	ds_read_u8 v68, v68
	v_add_u32_e32 v69, 1, v66
	s_waitcnt lgkmcnt(0)
	v_cmp_lt_u16_e64 s[14:15], v68, v67
	s_nop 1
	v_cndmask_b32_e64 v64, v64, v66, s[14:15]
	v_cndmask_b32_e64 v65, v69, v65, s[14:15]
	v_cmp_ge_i32_e64 s[14:15], v65, v64
	s_or_b64 s[18:19], s[14:15], s[18:19]
	s_andn2_b64 exec, exec, s[18:19]
	s_cbranch_execnz .LBB109_100
; %bb.101:                              ;   in Loop: Header=BB109_2 Depth=1
	s_or_b64 exec, exec, s[18:19]
.LBB109_102:                            ;   in Loop: Header=BB109_2 Depth=1
	s_or_b64 exec, exec, s[16:17]
	v_add_u32_e32 v64, v65, v9
	v_sub_u32_e32 v65, v30, v65
	ds_read_u8 v66, v64
	ds_read_u8 v67, v65
	v_cmp_le_i32_e64 s[16:17], v21, v64
	v_cmp_gt_i32_e64 s[14:15], v22, v65
                                        ; implicit-def: $vgpr68
                                        ; implicit-def: $vgpr69
	s_waitcnt lgkmcnt(0)
	v_cmp_lt_u16_sdwa s[0:1], v67, v66 src0_sel:BYTE_0 src1_sel:BYTE_0
	s_or_b64 s[0:1], s[16:17], s[0:1]
	s_and_b64 s[14:15], s[14:15], s[0:1]
	s_xor_b64 s[0:1], s[14:15], -1
	s_and_saveexec_b64 s[16:17], s[0:1]
	s_xor_b64 s[16:17], exec, s[16:17]
	s_cbranch_execz .LBB109_104
; %bb.103:                              ;   in Loop: Header=BB109_2 Depth=1
	ds_read_u8 v69, v64 offset:1
	v_mov_b32_e32 v68, v67
.LBB109_104:                            ;   in Loop: Header=BB109_2 Depth=1
	s_andn2_saveexec_b64 s[16:17], s[16:17]
	s_cbranch_execz .LBB109_106
; %bb.105:                              ;   in Loop: Header=BB109_2 Depth=1
	ds_read_u8 v68, v65 offset:1
	s_waitcnt lgkmcnt(1)
	v_mov_b32_e32 v69, v66
.LBB109_106:                            ;   in Loop: Header=BB109_2 Depth=1
	s_or_b64 exec, exec, s[16:17]
	v_add_u32_e32 v71, 1, v64
	v_add_u32_e32 v70, 1, v65
	v_cndmask_b32_e64 v71, v71, v64, s[14:15]
	v_cndmask_b32_e64 v70, v65, v70, s[14:15]
	v_cmp_ge_i32_e64 s[18:19], v71, v21
	s_waitcnt lgkmcnt(0)
	v_cmp_lt_u16_sdwa s[0:1], v68, v69 src0_sel:BYTE_0 src1_sel:BYTE_0
	v_cmp_lt_i32_e64 s[16:17], v70, v22
	s_or_b64 s[0:1], s[18:19], s[0:1]
	s_and_b64 s[16:17], s[16:17], s[0:1]
	s_xor_b64 s[0:1], s[16:17], -1
                                        ; implicit-def: $vgpr72
	s_and_saveexec_b64 s[18:19], s[0:1]
	s_xor_b64 s[18:19], exec, s[18:19]
	s_cbranch_execz .LBB109_108
; %bb.107:                              ;   in Loop: Header=BB109_2 Depth=1
	ds_read_u8 v72, v71 offset:1
.LBB109_108:                            ;   in Loop: Header=BB109_2 Depth=1
	s_or_saveexec_b64 s[18:19], s[18:19]
	v_mov_b32_e32 v73, v68
	s_xor_b64 exec, exec, s[18:19]
	s_cbranch_execz .LBB109_110
; %bb.109:                              ;   in Loop: Header=BB109_2 Depth=1
	ds_read_u8 v73, v70 offset:1
	s_waitcnt lgkmcnt(1)
	v_mov_b32_e32 v72, v69
.LBB109_110:                            ;   in Loop: Header=BB109_2 Depth=1
	s_or_b64 exec, exec, s[18:19]
	v_add_u32_e32 v75, 1, v71
	v_add_u32_e32 v74, 1, v70
	v_cndmask_b32_e64 v75, v75, v71, s[16:17]
	v_cndmask_b32_e64 v74, v70, v74, s[16:17]
	v_cmp_ge_i32_e64 s[20:21], v75, v21
	s_waitcnt lgkmcnt(0)
	v_cmp_lt_u16_sdwa s[0:1], v73, v72 src0_sel:BYTE_0 src1_sel:BYTE_0
	v_cmp_lt_i32_e64 s[18:19], v74, v22
	s_or_b64 s[0:1], s[20:21], s[0:1]
	s_and_b64 s[18:19], s[18:19], s[0:1]
	s_xor_b64 s[0:1], s[18:19], -1
                                        ; implicit-def: $vgpr76
	s_and_saveexec_b64 s[20:21], s[0:1]
	s_xor_b64 s[20:21], exec, s[20:21]
	s_cbranch_execz .LBB109_112
; %bb.111:                              ;   in Loop: Header=BB109_2 Depth=1
	ds_read_u8 v76, v75 offset:1
.LBB109_112:                            ;   in Loop: Header=BB109_2 Depth=1
	s_or_saveexec_b64 s[20:21], s[20:21]
	v_mov_b32_e32 v77, v73
	s_xor_b64 exec, exec, s[20:21]
	s_cbranch_execz .LBB109_114
; %bb.113:                              ;   in Loop: Header=BB109_2 Depth=1
	ds_read_u8 v77, v74 offset:1
	s_waitcnt lgkmcnt(1)
	v_mov_b32_e32 v76, v72
.LBB109_114:                            ;   in Loop: Header=BB109_2 Depth=1
	s_or_b64 exec, exec, s[20:21]
	v_add_u32_e32 v79, 1, v75
	v_add_u32_e32 v78, 1, v74
	v_cndmask_b32_e64 v79, v79, v75, s[18:19]
	v_cndmask_b32_e64 v78, v74, v78, s[18:19]
	v_cmp_ge_i32_e64 s[22:23], v79, v21
	s_waitcnt lgkmcnt(0)
	v_cmp_lt_u16_sdwa s[0:1], v77, v76 src0_sel:BYTE_0 src1_sel:BYTE_0
	v_cmp_lt_i32_e64 s[20:21], v78, v22
	s_or_b64 s[0:1], s[22:23], s[0:1]
	s_and_b64 s[20:21], s[20:21], s[0:1]
	s_xor_b64 s[0:1], s[20:21], -1
                                        ; implicit-def: $vgpr80
	s_and_saveexec_b64 s[22:23], s[0:1]
	s_xor_b64 s[22:23], exec, s[22:23]
	s_cbranch_execz .LBB109_116
; %bb.115:                              ;   in Loop: Header=BB109_2 Depth=1
	ds_read_u8 v80, v79 offset:1
.LBB109_116:                            ;   in Loop: Header=BB109_2 Depth=1
	s_or_saveexec_b64 s[22:23], s[22:23]
	v_mov_b32_e32 v81, v77
	s_xor_b64 exec, exec, s[22:23]
	s_cbranch_execz .LBB109_118
; %bb.117:                              ;   in Loop: Header=BB109_2 Depth=1
	ds_read_u8 v81, v78 offset:1
	s_waitcnt lgkmcnt(1)
	v_mov_b32_e32 v80, v76
.LBB109_118:                            ;   in Loop: Header=BB109_2 Depth=1
	s_or_b64 exec, exec, s[22:23]
	v_add_u32_e32 v83, 1, v79
	v_add_u32_e32 v82, 1, v78
	v_cndmask_b32_e64 v83, v83, v79, s[20:21]
	v_cndmask_b32_e64 v82, v78, v82, s[20:21]
	v_cmp_ge_i32_e64 s[24:25], v83, v21
	s_waitcnt lgkmcnt(0)
	v_cmp_lt_u16_sdwa s[0:1], v81, v80 src0_sel:BYTE_0 src1_sel:BYTE_0
	v_cmp_lt_i32_e64 s[22:23], v82, v22
	s_or_b64 s[0:1], s[24:25], s[0:1]
	s_and_b64 s[22:23], s[22:23], s[0:1]
	s_xor_b64 s[0:1], s[22:23], -1
                                        ; implicit-def: $vgpr84
	s_and_saveexec_b64 s[24:25], s[0:1]
	s_xor_b64 s[24:25], exec, s[24:25]
	s_cbranch_execz .LBB109_120
; %bb.119:                              ;   in Loop: Header=BB109_2 Depth=1
	ds_read_u8 v84, v83 offset:1
.LBB109_120:                            ;   in Loop: Header=BB109_2 Depth=1
	s_or_saveexec_b64 s[24:25], s[24:25]
	v_mov_b32_e32 v85, v81
	s_xor_b64 exec, exec, s[24:25]
	s_cbranch_execz .LBB109_122
; %bb.121:                              ;   in Loop: Header=BB109_2 Depth=1
	ds_read_u8 v85, v82 offset:1
	s_waitcnt lgkmcnt(1)
	v_mov_b32_e32 v84, v80
.LBB109_122:                            ;   in Loop: Header=BB109_2 Depth=1
	s_or_b64 exec, exec, s[24:25]
	v_add_u32_e32 v87, 1, v83
	v_add_u32_e32 v86, 1, v82
	v_cndmask_b32_e64 v87, v87, v83, s[22:23]
	v_cndmask_b32_e64 v86, v82, v86, s[22:23]
	v_cmp_ge_i32_e64 s[26:27], v87, v21
	s_waitcnt lgkmcnt(0)
	v_cmp_lt_u16_sdwa s[0:1], v85, v84 src0_sel:BYTE_0 src1_sel:BYTE_0
	v_cmp_lt_i32_e64 s[24:25], v86, v22
	s_or_b64 s[0:1], s[26:27], s[0:1]
	s_and_b64 s[24:25], s[24:25], s[0:1]
	s_xor_b64 s[0:1], s[24:25], -1
                                        ; implicit-def: $vgpr88
	s_and_saveexec_b64 s[26:27], s[0:1]
	s_xor_b64 s[26:27], exec, s[26:27]
	s_cbranch_execz .LBB109_124
; %bb.123:                              ;   in Loop: Header=BB109_2 Depth=1
	ds_read_u8 v88, v87 offset:1
.LBB109_124:                            ;   in Loop: Header=BB109_2 Depth=1
	s_or_saveexec_b64 s[26:27], s[26:27]
	v_mov_b32_e32 v89, v85
	s_xor_b64 exec, exec, s[26:27]
	s_cbranch_execz .LBB109_126
; %bb.125:                              ;   in Loop: Header=BB109_2 Depth=1
	ds_read_u8 v89, v86 offset:1
	s_waitcnt lgkmcnt(1)
	v_mov_b32_e32 v88, v84
.LBB109_126:                            ;   in Loop: Header=BB109_2 Depth=1
	s_or_b64 exec, exec, s[26:27]
	v_add_u32_e32 v92, 1, v87
	v_add_u32_e32 v90, 1, v86
	v_cndmask_b32_e64 v92, v92, v87, s[24:25]
	v_cndmask_b32_e64 v91, v86, v90, s[24:25]
	v_cmp_ge_i32_e64 s[28:29], v92, v21
	s_waitcnt lgkmcnt(0)
	v_cmp_lt_u16_sdwa s[0:1], v89, v88 src0_sel:BYTE_0 src1_sel:BYTE_0
	v_cmp_lt_i32_e64 s[26:27], v91, v22
	s_or_b64 s[0:1], s[28:29], s[0:1]
	s_and_b64 s[26:27], s[26:27], s[0:1]
	s_xor_b64 s[0:1], s[26:27], -1
                                        ; implicit-def: $vgpr90
	s_and_saveexec_b64 s[28:29], s[0:1]
	s_xor_b64 s[28:29], exec, s[28:29]
	s_cbranch_execz .LBB109_128
; %bb.127:                              ;   in Loop: Header=BB109_2 Depth=1
	ds_read_u8 v90, v92 offset:1
.LBB109_128:                            ;   in Loop: Header=BB109_2 Depth=1
	s_or_saveexec_b64 s[28:29], s[28:29]
	v_mov_b32_e32 v93, v89
	s_xor_b64 exec, exec, s[28:29]
	s_cbranch_execz .LBB109_130
; %bb.129:                              ;   in Loop: Header=BB109_2 Depth=1
	ds_read_u8 v93, v91 offset:1
	s_waitcnt lgkmcnt(1)
	v_mov_b32_e32 v90, v88
.LBB109_130:                            ;   in Loop: Header=BB109_2 Depth=1
	s_or_b64 exec, exec, s[28:29]
	v_add_u32_e32 v94, 1, v92
	v_cndmask_b32_e64 v88, v88, v89, s[26:27]
	v_add_u32_e32 v89, 1, v91
	v_cndmask_b32_e64 v94, v94, v92, s[26:27]
	v_cndmask_b32_e64 v89, v91, v89, s[26:27]
	;; [unrolled: 1-line block ×4, first 2 shown]
	v_cmp_ge_i32_e64 s[16:17], v94, v21
	s_waitcnt lgkmcnt(0)
	v_cmp_lt_u16_sdwa s[0:1], v93, v90 src0_sel:BYTE_0 src1_sel:BYTE_0
	v_lshlrev_b16_e32 v58, 8, v58
	v_cndmask_b32_e64 v66, v66, v67, s[14:15]
	v_cndmask_b32_e64 v64, v64, v65, s[14:15]
	v_cmp_lt_i32_e64 s[14:15], v89, v22
	s_or_b64 s[0:1], s[16:17], s[0:1]
	v_lshlrev_b16_e32 v63, 8, v63
	v_lshlrev_b16_e32 v60, 8, v60
	v_or_b32_sdwa v56, v56, v58 dst_sel:DWORD dst_unused:UNUSED_PAD src0_sel:BYTE_0 src1_sel:DWORD
	v_lshlrev_b16_e32 v58, 8, v59
	s_and_b64 s[14:15], s[14:15], s[0:1]
	v_or_b32_sdwa v61, v61, v63 dst_sel:DWORD dst_unused:UNUSED_PAD src0_sel:BYTE_0 src1_sel:DWORD
	v_or_b32_sdwa v60, v62, v60 dst_sel:WORD_1 dst_unused:UNUSED_PAD src0_sel:BYTE_0 src1_sel:DWORD
	v_or_b32_sdwa v57, v57, v58 dst_sel:WORD_1 dst_unused:UNUSED_PAD src0_sel:BYTE_0 src1_sel:DWORD
	v_cndmask_b32_e64 v67, v94, v89, s[14:15]
	v_or_b32_sdwa v61, v61, v60 dst_sel:DWORD dst_unused:UNUSED_PAD src0_sel:WORD_0 src1_sel:DWORD
	v_or_b32_sdwa v60, v56, v57 dst_sel:DWORD dst_unused:UNUSED_PAD src0_sel:WORD_0 src1_sel:DWORD
	v_cndmask_b32_e64 v91, v92, v91, s[26:27]
	v_cndmask_b32_e64 v84, v84, v85, s[24:25]
	;; [unrolled: 1-line block ×9, first 2 shown]
	s_barrier
	ds_write_b64 v2, v[60:61]
	s_waitcnt lgkmcnt(0)
	s_barrier
	ds_read_u8 v60, v67
	ds_read_u8 v56, v64
	;; [unrolled: 1-line block ×8, first 2 shown]
	v_lshlrev_b16_e32 v64, 8, v68
	v_or_b32_sdwa v64, v66, v64 dst_sel:DWORD dst_unused:UNUSED_PAD src0_sel:BYTE_0 src1_sel:DWORD
	v_lshlrev_b16_e32 v66, 8, v76
	v_cndmask_b32_e64 v65, v90, v93, s[14:15]
	v_or_b32_sdwa v66, v72, v66 dst_sel:WORD_1 dst_unused:UNUSED_PAD src0_sel:BYTE_0 src1_sel:DWORD
	v_lshlrev_b16_e32 v65, 8, v65
	v_or_b32_sdwa v64, v64, v66 dst_sel:DWORD dst_unused:UNUSED_PAD src0_sel:WORD_0 src1_sel:DWORD
	v_lshlrev_b16_e32 v66, 8, v84
	v_or_b32_sdwa v66, v80, v66 dst_sel:DWORD dst_unused:UNUSED_PAD src0_sel:BYTE_0 src1_sel:DWORD
	v_or_b32_sdwa v65, v88, v65 dst_sel:WORD_1 dst_unused:UNUSED_PAD src0_sel:BYTE_0 src1_sel:DWORD
	s_waitcnt lgkmcnt(0)
	v_or_b32_sdwa v65, v66, v65 dst_sel:DWORD dst_unused:UNUSED_PAD src0_sel:WORD_0 src1_sel:DWORD
	s_barrier
	ds_write_b64 v2, v[64:65]
	v_mov_b32_e32 v65, v41
	s_waitcnt lgkmcnt(0)
	s_barrier
	s_and_saveexec_b64 s[16:17], s[6:7]
	s_cbranch_execz .LBB109_134
; %bb.131:                              ;   in Loop: Header=BB109_2 Depth=1
	s_mov_b64 s[18:19], 0
	v_mov_b32_e32 v65, v41
	v_mov_b32_e32 v64, v36
.LBB109_132:                            ;   Parent Loop BB109_2 Depth=1
                                        ; =>  This Inner Loop Header: Depth=2
	v_sub_u32_e32 v66, v64, v65
	v_lshrrev_b32_e32 v67, 31, v66
	v_add_u32_e32 v66, v66, v67
	v_ashrrev_i32_e32 v66, 1, v66
	v_add_u32_e32 v66, v66, v65
	v_not_b32_e32 v68, v66
	v_add_u32_e32 v67, v11, v66
	v_add3_u32 v68, v12, v68, v23
	ds_read_u8 v67, v67
	ds_read_u8 v68, v68
	v_add_u32_e32 v69, 1, v66
	s_waitcnt lgkmcnt(0)
	v_cmp_lt_u16_e64 s[14:15], v68, v67
	s_nop 1
	v_cndmask_b32_e64 v64, v64, v66, s[14:15]
	v_cndmask_b32_e64 v65, v69, v65, s[14:15]
	v_cmp_ge_i32_e64 s[14:15], v65, v64
	s_or_b64 s[18:19], s[14:15], s[18:19]
	s_andn2_b64 exec, exec, s[18:19]
	s_cbranch_execnz .LBB109_132
; %bb.133:                              ;   in Loop: Header=BB109_2 Depth=1
	s_or_b64 exec, exec, s[18:19]
.LBB109_134:                            ;   in Loop: Header=BB109_2 Depth=1
	s_or_b64 exec, exec, s[16:17]
	v_add_u32_e32 v64, v65, v11
	v_sub_u32_e32 v65, v31, v65
	ds_read_u8 v66, v64
	ds_read_u8 v67, v65
	v_cmp_le_i32_e64 s[16:17], v23, v64
	v_cmp_gt_i32_e64 s[14:15], v24, v65
                                        ; implicit-def: $vgpr68
                                        ; implicit-def: $vgpr69
	s_waitcnt lgkmcnt(0)
	v_cmp_lt_u16_sdwa s[0:1], v67, v66 src0_sel:BYTE_0 src1_sel:BYTE_0
	s_or_b64 s[0:1], s[16:17], s[0:1]
	s_and_b64 s[14:15], s[14:15], s[0:1]
	s_xor_b64 s[0:1], s[14:15], -1
	s_and_saveexec_b64 s[16:17], s[0:1]
	s_xor_b64 s[16:17], exec, s[16:17]
	s_cbranch_execz .LBB109_136
; %bb.135:                              ;   in Loop: Header=BB109_2 Depth=1
	ds_read_u8 v69, v64 offset:1
	v_mov_b32_e32 v68, v67
.LBB109_136:                            ;   in Loop: Header=BB109_2 Depth=1
	s_andn2_saveexec_b64 s[16:17], s[16:17]
	s_cbranch_execz .LBB109_138
; %bb.137:                              ;   in Loop: Header=BB109_2 Depth=1
	ds_read_u8 v68, v65 offset:1
	s_waitcnt lgkmcnt(1)
	v_mov_b32_e32 v69, v66
.LBB109_138:                            ;   in Loop: Header=BB109_2 Depth=1
	s_or_b64 exec, exec, s[16:17]
	v_add_u32_e32 v71, 1, v64
	v_add_u32_e32 v70, 1, v65
	v_cndmask_b32_e64 v71, v71, v64, s[14:15]
	v_cndmask_b32_e64 v70, v65, v70, s[14:15]
	v_cmp_ge_i32_e64 s[18:19], v71, v23
	s_waitcnt lgkmcnt(0)
	v_cmp_lt_u16_sdwa s[0:1], v68, v69 src0_sel:BYTE_0 src1_sel:BYTE_0
	v_cmp_lt_i32_e64 s[16:17], v70, v24
	s_or_b64 s[0:1], s[18:19], s[0:1]
	s_and_b64 s[16:17], s[16:17], s[0:1]
	s_xor_b64 s[0:1], s[16:17], -1
                                        ; implicit-def: $vgpr72
	s_and_saveexec_b64 s[18:19], s[0:1]
	s_xor_b64 s[18:19], exec, s[18:19]
	s_cbranch_execz .LBB109_140
; %bb.139:                              ;   in Loop: Header=BB109_2 Depth=1
	ds_read_u8 v72, v71 offset:1
.LBB109_140:                            ;   in Loop: Header=BB109_2 Depth=1
	s_or_saveexec_b64 s[18:19], s[18:19]
	v_mov_b32_e32 v73, v68
	s_xor_b64 exec, exec, s[18:19]
	s_cbranch_execz .LBB109_142
; %bb.141:                              ;   in Loop: Header=BB109_2 Depth=1
	ds_read_u8 v73, v70 offset:1
	s_waitcnt lgkmcnt(1)
	v_mov_b32_e32 v72, v69
.LBB109_142:                            ;   in Loop: Header=BB109_2 Depth=1
	s_or_b64 exec, exec, s[18:19]
	v_add_u32_e32 v75, 1, v71
	v_add_u32_e32 v74, 1, v70
	v_cndmask_b32_e64 v75, v75, v71, s[16:17]
	v_cndmask_b32_e64 v74, v70, v74, s[16:17]
	v_cmp_ge_i32_e64 s[20:21], v75, v23
	s_waitcnt lgkmcnt(0)
	v_cmp_lt_u16_sdwa s[0:1], v73, v72 src0_sel:BYTE_0 src1_sel:BYTE_0
	v_cmp_lt_i32_e64 s[18:19], v74, v24
	s_or_b64 s[0:1], s[20:21], s[0:1]
	s_and_b64 s[18:19], s[18:19], s[0:1]
	s_xor_b64 s[0:1], s[18:19], -1
                                        ; implicit-def: $vgpr76
	s_and_saveexec_b64 s[20:21], s[0:1]
	s_xor_b64 s[20:21], exec, s[20:21]
	s_cbranch_execz .LBB109_144
; %bb.143:                              ;   in Loop: Header=BB109_2 Depth=1
	ds_read_u8 v76, v75 offset:1
.LBB109_144:                            ;   in Loop: Header=BB109_2 Depth=1
	s_or_saveexec_b64 s[20:21], s[20:21]
	v_mov_b32_e32 v77, v73
	s_xor_b64 exec, exec, s[20:21]
	s_cbranch_execz .LBB109_146
; %bb.145:                              ;   in Loop: Header=BB109_2 Depth=1
	ds_read_u8 v77, v74 offset:1
	s_waitcnt lgkmcnt(1)
	v_mov_b32_e32 v76, v72
.LBB109_146:                            ;   in Loop: Header=BB109_2 Depth=1
	s_or_b64 exec, exec, s[20:21]
	v_add_u32_e32 v79, 1, v75
	v_add_u32_e32 v78, 1, v74
	v_cndmask_b32_e64 v79, v79, v75, s[18:19]
	v_cndmask_b32_e64 v78, v74, v78, s[18:19]
	v_cmp_ge_i32_e64 s[22:23], v79, v23
	s_waitcnt lgkmcnt(0)
	v_cmp_lt_u16_sdwa s[0:1], v77, v76 src0_sel:BYTE_0 src1_sel:BYTE_0
	v_cmp_lt_i32_e64 s[20:21], v78, v24
	s_or_b64 s[0:1], s[22:23], s[0:1]
	s_and_b64 s[20:21], s[20:21], s[0:1]
	s_xor_b64 s[0:1], s[20:21], -1
                                        ; implicit-def: $vgpr80
	s_and_saveexec_b64 s[22:23], s[0:1]
	s_xor_b64 s[22:23], exec, s[22:23]
	s_cbranch_execz .LBB109_148
; %bb.147:                              ;   in Loop: Header=BB109_2 Depth=1
	ds_read_u8 v80, v79 offset:1
.LBB109_148:                            ;   in Loop: Header=BB109_2 Depth=1
	s_or_saveexec_b64 s[22:23], s[22:23]
	v_mov_b32_e32 v81, v77
	s_xor_b64 exec, exec, s[22:23]
	s_cbranch_execz .LBB109_150
; %bb.149:                              ;   in Loop: Header=BB109_2 Depth=1
	ds_read_u8 v81, v78 offset:1
	s_waitcnt lgkmcnt(1)
	v_mov_b32_e32 v80, v76
.LBB109_150:                            ;   in Loop: Header=BB109_2 Depth=1
	s_or_b64 exec, exec, s[22:23]
	v_add_u32_e32 v83, 1, v79
	v_add_u32_e32 v82, 1, v78
	v_cndmask_b32_e64 v83, v83, v79, s[20:21]
	v_cndmask_b32_e64 v82, v78, v82, s[20:21]
	v_cmp_ge_i32_e64 s[24:25], v83, v23
	s_waitcnt lgkmcnt(0)
	v_cmp_lt_u16_sdwa s[0:1], v81, v80 src0_sel:BYTE_0 src1_sel:BYTE_0
	v_cmp_lt_i32_e64 s[22:23], v82, v24
	s_or_b64 s[0:1], s[24:25], s[0:1]
	s_and_b64 s[22:23], s[22:23], s[0:1]
	s_xor_b64 s[0:1], s[22:23], -1
                                        ; implicit-def: $vgpr84
	s_and_saveexec_b64 s[24:25], s[0:1]
	s_xor_b64 s[24:25], exec, s[24:25]
	s_cbranch_execz .LBB109_152
; %bb.151:                              ;   in Loop: Header=BB109_2 Depth=1
	ds_read_u8 v84, v83 offset:1
.LBB109_152:                            ;   in Loop: Header=BB109_2 Depth=1
	s_or_saveexec_b64 s[24:25], s[24:25]
	v_mov_b32_e32 v85, v81
	s_xor_b64 exec, exec, s[24:25]
	s_cbranch_execz .LBB109_154
; %bb.153:                              ;   in Loop: Header=BB109_2 Depth=1
	ds_read_u8 v85, v82 offset:1
	s_waitcnt lgkmcnt(1)
	v_mov_b32_e32 v84, v80
.LBB109_154:                            ;   in Loop: Header=BB109_2 Depth=1
	s_or_b64 exec, exec, s[24:25]
	v_add_u32_e32 v87, 1, v83
	v_add_u32_e32 v86, 1, v82
	v_cndmask_b32_e64 v87, v87, v83, s[22:23]
	v_cndmask_b32_e64 v86, v82, v86, s[22:23]
	v_cmp_ge_i32_e64 s[26:27], v87, v23
	s_waitcnt lgkmcnt(0)
	v_cmp_lt_u16_sdwa s[0:1], v85, v84 src0_sel:BYTE_0 src1_sel:BYTE_0
	v_cmp_lt_i32_e64 s[24:25], v86, v24
	s_or_b64 s[0:1], s[26:27], s[0:1]
	s_and_b64 s[24:25], s[24:25], s[0:1]
	s_xor_b64 s[0:1], s[24:25], -1
                                        ; implicit-def: $vgpr88
	s_and_saveexec_b64 s[26:27], s[0:1]
	s_xor_b64 s[26:27], exec, s[26:27]
	s_cbranch_execz .LBB109_156
; %bb.155:                              ;   in Loop: Header=BB109_2 Depth=1
	ds_read_u8 v88, v87 offset:1
.LBB109_156:                            ;   in Loop: Header=BB109_2 Depth=1
	s_or_saveexec_b64 s[26:27], s[26:27]
	v_mov_b32_e32 v89, v85
	s_xor_b64 exec, exec, s[26:27]
	s_cbranch_execz .LBB109_158
; %bb.157:                              ;   in Loop: Header=BB109_2 Depth=1
	ds_read_u8 v89, v86 offset:1
	s_waitcnt lgkmcnt(1)
	v_mov_b32_e32 v88, v84
.LBB109_158:                            ;   in Loop: Header=BB109_2 Depth=1
	s_or_b64 exec, exec, s[26:27]
	v_add_u32_e32 v92, 1, v87
	v_add_u32_e32 v90, 1, v86
	v_cndmask_b32_e64 v92, v92, v87, s[24:25]
	v_cndmask_b32_e64 v91, v86, v90, s[24:25]
	v_cmp_ge_i32_e64 s[28:29], v92, v23
	s_waitcnt lgkmcnt(0)
	v_cmp_lt_u16_sdwa s[0:1], v89, v88 src0_sel:BYTE_0 src1_sel:BYTE_0
	v_cmp_lt_i32_e64 s[26:27], v91, v24
	s_or_b64 s[0:1], s[28:29], s[0:1]
	s_and_b64 s[26:27], s[26:27], s[0:1]
	s_xor_b64 s[0:1], s[26:27], -1
                                        ; implicit-def: $vgpr90
	s_and_saveexec_b64 s[28:29], s[0:1]
	s_xor_b64 s[28:29], exec, s[28:29]
	s_cbranch_execz .LBB109_160
; %bb.159:                              ;   in Loop: Header=BB109_2 Depth=1
	ds_read_u8 v90, v92 offset:1
.LBB109_160:                            ;   in Loop: Header=BB109_2 Depth=1
	s_or_saveexec_b64 s[28:29], s[28:29]
	v_mov_b32_e32 v93, v89
	s_xor_b64 exec, exec, s[28:29]
	s_cbranch_execz .LBB109_162
; %bb.161:                              ;   in Loop: Header=BB109_2 Depth=1
	ds_read_u8 v93, v91 offset:1
	s_waitcnt lgkmcnt(1)
	v_mov_b32_e32 v90, v88
.LBB109_162:                            ;   in Loop: Header=BB109_2 Depth=1
	s_or_b64 exec, exec, s[28:29]
	v_add_u32_e32 v94, 1, v92
	v_cndmask_b32_e64 v88, v88, v89, s[26:27]
	v_add_u32_e32 v89, 1, v91
	v_cndmask_b32_e64 v94, v94, v92, s[26:27]
	v_cndmask_b32_e64 v89, v91, v89, s[26:27]
	;; [unrolled: 1-line block ×4, first 2 shown]
	v_cmp_ge_i32_e64 s[16:17], v94, v23
	s_waitcnt lgkmcnt(0)
	v_cmp_lt_u16_sdwa s[0:1], v93, v90 src0_sel:BYTE_0 src1_sel:BYTE_0
	v_lshlrev_b16_e32 v58, 8, v58
	v_cndmask_b32_e64 v66, v66, v67, s[14:15]
	v_cndmask_b32_e64 v64, v64, v65, s[14:15]
	v_cmp_lt_i32_e64 s[14:15], v89, v24
	s_or_b64 s[0:1], s[16:17], s[0:1]
	v_lshlrev_b16_e32 v63, 8, v63
	v_lshlrev_b16_e32 v60, 8, v60
	v_or_b32_sdwa v56, v56, v58 dst_sel:DWORD dst_unused:UNUSED_PAD src0_sel:BYTE_0 src1_sel:DWORD
	v_lshlrev_b16_e32 v58, 8, v59
	s_and_b64 s[14:15], s[14:15], s[0:1]
	v_or_b32_sdwa v61, v61, v63 dst_sel:DWORD dst_unused:UNUSED_PAD src0_sel:BYTE_0 src1_sel:DWORD
	v_or_b32_sdwa v60, v62, v60 dst_sel:WORD_1 dst_unused:UNUSED_PAD src0_sel:BYTE_0 src1_sel:DWORD
	v_or_b32_sdwa v57, v57, v58 dst_sel:WORD_1 dst_unused:UNUSED_PAD src0_sel:BYTE_0 src1_sel:DWORD
	v_cndmask_b32_e64 v67, v94, v89, s[14:15]
	v_or_b32_sdwa v61, v61, v60 dst_sel:DWORD dst_unused:UNUSED_PAD src0_sel:WORD_0 src1_sel:DWORD
	v_or_b32_sdwa v60, v56, v57 dst_sel:DWORD dst_unused:UNUSED_PAD src0_sel:WORD_0 src1_sel:DWORD
	v_cndmask_b32_e64 v91, v92, v91, s[26:27]
	v_cndmask_b32_e64 v84, v84, v85, s[24:25]
	;; [unrolled: 1-line block ×9, first 2 shown]
	s_barrier
	ds_write_b64 v2, v[60:61]
	s_waitcnt lgkmcnt(0)
	s_barrier
	ds_read_u8 v60, v67
	ds_read_u8 v56, v64
	;; [unrolled: 1-line block ×8, first 2 shown]
	v_lshlrev_b16_e32 v64, 8, v68
	v_or_b32_sdwa v64, v66, v64 dst_sel:DWORD dst_unused:UNUSED_PAD src0_sel:BYTE_0 src1_sel:DWORD
	v_lshlrev_b16_e32 v66, 8, v76
	v_cndmask_b32_e64 v65, v90, v93, s[14:15]
	v_or_b32_sdwa v66, v72, v66 dst_sel:WORD_1 dst_unused:UNUSED_PAD src0_sel:BYTE_0 src1_sel:DWORD
	v_lshlrev_b16_e32 v65, 8, v65
	v_or_b32_sdwa v64, v64, v66 dst_sel:DWORD dst_unused:UNUSED_PAD src0_sel:WORD_0 src1_sel:DWORD
	v_lshlrev_b16_e32 v66, 8, v84
	v_or_b32_sdwa v66, v80, v66 dst_sel:DWORD dst_unused:UNUSED_PAD src0_sel:BYTE_0 src1_sel:DWORD
	v_or_b32_sdwa v65, v88, v65 dst_sel:WORD_1 dst_unused:UNUSED_PAD src0_sel:BYTE_0 src1_sel:DWORD
	s_waitcnt lgkmcnt(0)
	v_or_b32_sdwa v65, v66, v65 dst_sel:DWORD dst_unused:UNUSED_PAD src0_sel:WORD_0 src1_sel:DWORD
	s_barrier
	ds_write_b64 v2, v[64:65]
	v_mov_b32_e32 v65, v42
	s_waitcnt lgkmcnt(0)
	s_barrier
	s_and_saveexec_b64 s[16:17], s[8:9]
	s_cbranch_execz .LBB109_166
; %bb.163:                              ;   in Loop: Header=BB109_2 Depth=1
	s_mov_b64 s[18:19], 0
	v_mov_b32_e32 v65, v42
	v_mov_b32_e32 v64, v43
.LBB109_164:                            ;   Parent Loop BB109_2 Depth=1
                                        ; =>  This Inner Loop Header: Depth=2
	v_sub_u32_e32 v66, v64, v65
	v_lshrrev_b32_e32 v67, 31, v66
	v_add_u32_e32 v66, v66, v67
	v_ashrrev_i32_e32 v66, 1, v66
	v_add_u32_e32 v66, v66, v65
	v_not_b32_e32 v68, v66
	v_add_u32_e32 v67, v13, v66
	v_add3_u32 v68, v14, v68, v25
	ds_read_u8 v67, v67
	ds_read_u8 v68, v68
	v_add_u32_e32 v69, 1, v66
	s_waitcnt lgkmcnt(0)
	v_cmp_lt_u16_e64 s[14:15], v68, v67
	s_nop 1
	v_cndmask_b32_e64 v64, v64, v66, s[14:15]
	v_cndmask_b32_e64 v65, v69, v65, s[14:15]
	v_cmp_ge_i32_e64 s[14:15], v65, v64
	s_or_b64 s[18:19], s[14:15], s[18:19]
	s_andn2_b64 exec, exec, s[18:19]
	s_cbranch_execnz .LBB109_164
; %bb.165:                              ;   in Loop: Header=BB109_2 Depth=1
	s_or_b64 exec, exec, s[18:19]
.LBB109_166:                            ;   in Loop: Header=BB109_2 Depth=1
	s_or_b64 exec, exec, s[16:17]
	v_add_u32_e32 v64, v65, v13
	v_sub_u32_e32 v65, v44, v65
	ds_read_u8 v66, v64
	ds_read_u8 v67, v65
	v_cmp_le_i32_e64 s[16:17], v25, v64
	v_cmp_gt_i32_e64 s[14:15], v26, v65
                                        ; implicit-def: $vgpr68
                                        ; implicit-def: $vgpr69
	s_waitcnt lgkmcnt(0)
	v_cmp_lt_u16_sdwa s[0:1], v67, v66 src0_sel:BYTE_0 src1_sel:BYTE_0
	s_or_b64 s[0:1], s[16:17], s[0:1]
	s_and_b64 s[14:15], s[14:15], s[0:1]
	s_xor_b64 s[0:1], s[14:15], -1
	s_and_saveexec_b64 s[16:17], s[0:1]
	s_xor_b64 s[16:17], exec, s[16:17]
	s_cbranch_execz .LBB109_168
; %bb.167:                              ;   in Loop: Header=BB109_2 Depth=1
	ds_read_u8 v69, v64 offset:1
	v_mov_b32_e32 v68, v67
.LBB109_168:                            ;   in Loop: Header=BB109_2 Depth=1
	s_andn2_saveexec_b64 s[16:17], s[16:17]
	s_cbranch_execz .LBB109_170
; %bb.169:                              ;   in Loop: Header=BB109_2 Depth=1
	ds_read_u8 v68, v65 offset:1
	s_waitcnt lgkmcnt(1)
	v_mov_b32_e32 v69, v66
.LBB109_170:                            ;   in Loop: Header=BB109_2 Depth=1
	s_or_b64 exec, exec, s[16:17]
	v_add_u32_e32 v71, 1, v64
	v_add_u32_e32 v70, 1, v65
	v_cndmask_b32_e64 v71, v71, v64, s[14:15]
	v_cndmask_b32_e64 v70, v65, v70, s[14:15]
	v_cmp_ge_i32_e64 s[18:19], v71, v25
	s_waitcnt lgkmcnt(0)
	v_cmp_lt_u16_sdwa s[0:1], v68, v69 src0_sel:BYTE_0 src1_sel:BYTE_0
	v_cmp_lt_i32_e64 s[16:17], v70, v26
	s_or_b64 s[0:1], s[18:19], s[0:1]
	s_and_b64 s[16:17], s[16:17], s[0:1]
	s_xor_b64 s[0:1], s[16:17], -1
                                        ; implicit-def: $vgpr72
	s_and_saveexec_b64 s[18:19], s[0:1]
	s_xor_b64 s[18:19], exec, s[18:19]
	s_cbranch_execz .LBB109_172
; %bb.171:                              ;   in Loop: Header=BB109_2 Depth=1
	ds_read_u8 v72, v71 offset:1
.LBB109_172:                            ;   in Loop: Header=BB109_2 Depth=1
	s_or_saveexec_b64 s[18:19], s[18:19]
	v_mov_b32_e32 v73, v68
	s_xor_b64 exec, exec, s[18:19]
	s_cbranch_execz .LBB109_174
; %bb.173:                              ;   in Loop: Header=BB109_2 Depth=1
	ds_read_u8 v73, v70 offset:1
	s_waitcnt lgkmcnt(1)
	v_mov_b32_e32 v72, v69
.LBB109_174:                            ;   in Loop: Header=BB109_2 Depth=1
	s_or_b64 exec, exec, s[18:19]
	v_add_u32_e32 v75, 1, v71
	v_add_u32_e32 v74, 1, v70
	v_cndmask_b32_e64 v75, v75, v71, s[16:17]
	v_cndmask_b32_e64 v74, v70, v74, s[16:17]
	v_cmp_ge_i32_e64 s[20:21], v75, v25
	s_waitcnt lgkmcnt(0)
	v_cmp_lt_u16_sdwa s[0:1], v73, v72 src0_sel:BYTE_0 src1_sel:BYTE_0
	v_cmp_lt_i32_e64 s[18:19], v74, v26
	s_or_b64 s[0:1], s[20:21], s[0:1]
	s_and_b64 s[18:19], s[18:19], s[0:1]
	s_xor_b64 s[0:1], s[18:19], -1
                                        ; implicit-def: $vgpr76
	s_and_saveexec_b64 s[20:21], s[0:1]
	s_xor_b64 s[20:21], exec, s[20:21]
	s_cbranch_execz .LBB109_176
; %bb.175:                              ;   in Loop: Header=BB109_2 Depth=1
	ds_read_u8 v76, v75 offset:1
.LBB109_176:                            ;   in Loop: Header=BB109_2 Depth=1
	s_or_saveexec_b64 s[20:21], s[20:21]
	v_mov_b32_e32 v77, v73
	s_xor_b64 exec, exec, s[20:21]
	s_cbranch_execz .LBB109_178
; %bb.177:                              ;   in Loop: Header=BB109_2 Depth=1
	ds_read_u8 v77, v74 offset:1
	s_waitcnt lgkmcnt(1)
	v_mov_b32_e32 v76, v72
.LBB109_178:                            ;   in Loop: Header=BB109_2 Depth=1
	s_or_b64 exec, exec, s[20:21]
	v_add_u32_e32 v79, 1, v75
	v_add_u32_e32 v78, 1, v74
	v_cndmask_b32_e64 v79, v79, v75, s[18:19]
	v_cndmask_b32_e64 v78, v74, v78, s[18:19]
	v_cmp_ge_i32_e64 s[22:23], v79, v25
	s_waitcnt lgkmcnt(0)
	v_cmp_lt_u16_sdwa s[0:1], v77, v76 src0_sel:BYTE_0 src1_sel:BYTE_0
	v_cmp_lt_i32_e64 s[20:21], v78, v26
	s_or_b64 s[0:1], s[22:23], s[0:1]
	s_and_b64 s[20:21], s[20:21], s[0:1]
	s_xor_b64 s[0:1], s[20:21], -1
                                        ; implicit-def: $vgpr80
	s_and_saveexec_b64 s[22:23], s[0:1]
	s_xor_b64 s[22:23], exec, s[22:23]
	s_cbranch_execz .LBB109_180
; %bb.179:                              ;   in Loop: Header=BB109_2 Depth=1
	ds_read_u8 v80, v79 offset:1
.LBB109_180:                            ;   in Loop: Header=BB109_2 Depth=1
	s_or_saveexec_b64 s[22:23], s[22:23]
	v_mov_b32_e32 v81, v77
	s_xor_b64 exec, exec, s[22:23]
	s_cbranch_execz .LBB109_182
; %bb.181:                              ;   in Loop: Header=BB109_2 Depth=1
	ds_read_u8 v81, v78 offset:1
	s_waitcnt lgkmcnt(1)
	v_mov_b32_e32 v80, v76
.LBB109_182:                            ;   in Loop: Header=BB109_2 Depth=1
	s_or_b64 exec, exec, s[22:23]
	v_add_u32_e32 v83, 1, v79
	v_add_u32_e32 v82, 1, v78
	v_cndmask_b32_e64 v83, v83, v79, s[20:21]
	v_cndmask_b32_e64 v82, v78, v82, s[20:21]
	v_cmp_ge_i32_e64 s[24:25], v83, v25
	s_waitcnt lgkmcnt(0)
	v_cmp_lt_u16_sdwa s[0:1], v81, v80 src0_sel:BYTE_0 src1_sel:BYTE_0
	v_cmp_lt_i32_e64 s[22:23], v82, v26
	s_or_b64 s[0:1], s[24:25], s[0:1]
	s_and_b64 s[22:23], s[22:23], s[0:1]
	s_xor_b64 s[0:1], s[22:23], -1
                                        ; implicit-def: $vgpr84
	s_and_saveexec_b64 s[24:25], s[0:1]
	s_xor_b64 s[24:25], exec, s[24:25]
	s_cbranch_execz .LBB109_184
; %bb.183:                              ;   in Loop: Header=BB109_2 Depth=1
	ds_read_u8 v84, v83 offset:1
.LBB109_184:                            ;   in Loop: Header=BB109_2 Depth=1
	s_or_saveexec_b64 s[24:25], s[24:25]
	v_mov_b32_e32 v85, v81
	s_xor_b64 exec, exec, s[24:25]
	s_cbranch_execz .LBB109_186
; %bb.185:                              ;   in Loop: Header=BB109_2 Depth=1
	ds_read_u8 v85, v82 offset:1
	s_waitcnt lgkmcnt(1)
	v_mov_b32_e32 v84, v80
.LBB109_186:                            ;   in Loop: Header=BB109_2 Depth=1
	s_or_b64 exec, exec, s[24:25]
	v_add_u32_e32 v87, 1, v83
	v_add_u32_e32 v86, 1, v82
	v_cndmask_b32_e64 v87, v87, v83, s[22:23]
	v_cndmask_b32_e64 v86, v82, v86, s[22:23]
	v_cmp_ge_i32_e64 s[26:27], v87, v25
	s_waitcnt lgkmcnt(0)
	v_cmp_lt_u16_sdwa s[0:1], v85, v84 src0_sel:BYTE_0 src1_sel:BYTE_0
	v_cmp_lt_i32_e64 s[24:25], v86, v26
	s_or_b64 s[0:1], s[26:27], s[0:1]
	s_and_b64 s[24:25], s[24:25], s[0:1]
	s_xor_b64 s[0:1], s[24:25], -1
                                        ; implicit-def: $vgpr88
	s_and_saveexec_b64 s[26:27], s[0:1]
	s_xor_b64 s[26:27], exec, s[26:27]
	s_cbranch_execz .LBB109_188
; %bb.187:                              ;   in Loop: Header=BB109_2 Depth=1
	ds_read_u8 v88, v87 offset:1
.LBB109_188:                            ;   in Loop: Header=BB109_2 Depth=1
	s_or_saveexec_b64 s[26:27], s[26:27]
	v_mov_b32_e32 v89, v85
	s_xor_b64 exec, exec, s[26:27]
	s_cbranch_execz .LBB109_190
; %bb.189:                              ;   in Loop: Header=BB109_2 Depth=1
	ds_read_u8 v89, v86 offset:1
	s_waitcnt lgkmcnt(1)
	v_mov_b32_e32 v88, v84
.LBB109_190:                            ;   in Loop: Header=BB109_2 Depth=1
	s_or_b64 exec, exec, s[26:27]
	v_add_u32_e32 v92, 1, v87
	v_add_u32_e32 v90, 1, v86
	v_cndmask_b32_e64 v92, v92, v87, s[24:25]
	v_cndmask_b32_e64 v91, v86, v90, s[24:25]
	v_cmp_ge_i32_e64 s[28:29], v92, v25
	s_waitcnt lgkmcnt(0)
	v_cmp_lt_u16_sdwa s[0:1], v89, v88 src0_sel:BYTE_0 src1_sel:BYTE_0
	v_cmp_lt_i32_e64 s[26:27], v91, v26
	s_or_b64 s[0:1], s[28:29], s[0:1]
	s_and_b64 s[26:27], s[26:27], s[0:1]
	s_xor_b64 s[0:1], s[26:27], -1
                                        ; implicit-def: $vgpr90
	s_and_saveexec_b64 s[28:29], s[0:1]
	s_xor_b64 s[28:29], exec, s[28:29]
	s_cbranch_execz .LBB109_192
; %bb.191:                              ;   in Loop: Header=BB109_2 Depth=1
	ds_read_u8 v90, v92 offset:1
.LBB109_192:                            ;   in Loop: Header=BB109_2 Depth=1
	s_or_saveexec_b64 s[28:29], s[28:29]
	v_mov_b32_e32 v93, v89
	s_xor_b64 exec, exec, s[28:29]
	s_cbranch_execz .LBB109_194
; %bb.193:                              ;   in Loop: Header=BB109_2 Depth=1
	ds_read_u8 v93, v91 offset:1
	s_waitcnt lgkmcnt(1)
	v_mov_b32_e32 v90, v88
.LBB109_194:                            ;   in Loop: Header=BB109_2 Depth=1
	s_or_b64 exec, exec, s[28:29]
	v_add_u32_e32 v94, 1, v92
	v_cndmask_b32_e64 v88, v88, v89, s[26:27]
	v_add_u32_e32 v89, 1, v91
	v_cndmask_b32_e64 v94, v94, v92, s[26:27]
	v_cndmask_b32_e64 v89, v91, v89, s[26:27]
	;; [unrolled: 1-line block ×4, first 2 shown]
	v_cmp_ge_i32_e64 s[16:17], v94, v25
	s_waitcnt lgkmcnt(0)
	v_cmp_lt_u16_sdwa s[0:1], v93, v90 src0_sel:BYTE_0 src1_sel:BYTE_0
	v_lshlrev_b16_e32 v58, 8, v58
	v_cndmask_b32_e64 v66, v66, v67, s[14:15]
	v_cndmask_b32_e64 v64, v64, v65, s[14:15]
	v_cmp_lt_i32_e64 s[14:15], v89, v26
	s_or_b64 s[0:1], s[16:17], s[0:1]
	v_lshlrev_b16_e32 v63, 8, v63
	v_lshlrev_b16_e32 v60, 8, v60
	v_or_b32_sdwa v56, v56, v58 dst_sel:DWORD dst_unused:UNUSED_PAD src0_sel:BYTE_0 src1_sel:DWORD
	v_lshlrev_b16_e32 v58, 8, v59
	s_and_b64 s[14:15], s[14:15], s[0:1]
	v_or_b32_sdwa v61, v61, v63 dst_sel:DWORD dst_unused:UNUSED_PAD src0_sel:BYTE_0 src1_sel:DWORD
	v_or_b32_sdwa v60, v62, v60 dst_sel:WORD_1 dst_unused:UNUSED_PAD src0_sel:BYTE_0 src1_sel:DWORD
	v_or_b32_sdwa v57, v57, v58 dst_sel:WORD_1 dst_unused:UNUSED_PAD src0_sel:BYTE_0 src1_sel:DWORD
	v_cndmask_b32_e64 v67, v94, v89, s[14:15]
	v_or_b32_sdwa v61, v61, v60 dst_sel:DWORD dst_unused:UNUSED_PAD src0_sel:WORD_0 src1_sel:DWORD
	v_or_b32_sdwa v60, v56, v57 dst_sel:DWORD dst_unused:UNUSED_PAD src0_sel:WORD_0 src1_sel:DWORD
	v_cndmask_b32_e64 v91, v92, v91, s[26:27]
	v_cndmask_b32_e64 v84, v84, v85, s[24:25]
	;; [unrolled: 1-line block ×9, first 2 shown]
	s_barrier
	ds_write_b64 v2, v[60:61]
	s_waitcnt lgkmcnt(0)
	s_barrier
	ds_read_u8 v60, v67
	ds_read_u8 v56, v64
	;; [unrolled: 1-line block ×8, first 2 shown]
	v_lshlrev_b16_e32 v64, 8, v68
	v_or_b32_sdwa v64, v66, v64 dst_sel:DWORD dst_unused:UNUSED_PAD src0_sel:BYTE_0 src1_sel:DWORD
	v_lshlrev_b16_e32 v66, 8, v76
	v_cndmask_b32_e64 v65, v90, v93, s[14:15]
	v_or_b32_sdwa v66, v72, v66 dst_sel:WORD_1 dst_unused:UNUSED_PAD src0_sel:BYTE_0 src1_sel:DWORD
	v_lshlrev_b16_e32 v65, 8, v65
	v_or_b32_sdwa v64, v64, v66 dst_sel:DWORD dst_unused:UNUSED_PAD src0_sel:WORD_0 src1_sel:DWORD
	v_lshlrev_b16_e32 v66, 8, v84
	v_or_b32_sdwa v66, v80, v66 dst_sel:DWORD dst_unused:UNUSED_PAD src0_sel:BYTE_0 src1_sel:DWORD
	v_or_b32_sdwa v65, v88, v65 dst_sel:WORD_1 dst_unused:UNUSED_PAD src0_sel:BYTE_0 src1_sel:DWORD
	s_waitcnt lgkmcnt(0)
	v_or_b32_sdwa v65, v66, v65 dst_sel:DWORD dst_unused:UNUSED_PAD src0_sel:WORD_0 src1_sel:DWORD
	s_barrier
	ds_write_b64 v2, v[64:65]
	v_mov_b32_e32 v65, v50
	s_waitcnt lgkmcnt(0)
	s_barrier
	s_and_saveexec_b64 s[16:17], s[10:11]
	s_cbranch_execz .LBB109_198
; %bb.195:                              ;   in Loop: Header=BB109_2 Depth=1
	s_mov_b64 s[18:19], 0
	v_mov_b32_e32 v65, v50
	v_mov_b32_e32 v64, v51
.LBB109_196:                            ;   Parent Loop BB109_2 Depth=1
                                        ; =>  This Inner Loop Header: Depth=2
	v_sub_u32_e32 v66, v64, v65
	v_lshrrev_b32_e32 v67, 31, v66
	v_add_u32_e32 v66, v66, v67
	v_ashrrev_i32_e32 v66, 1, v66
	v_add_u32_e32 v66, v66, v65
	v_not_b32_e32 v68, v66
	v_add_u32_e32 v67, v46, v66
	v_add3_u32 v68, v47, v68, v48
	ds_read_u8 v67, v67
	ds_read_u8 v68, v68
	v_add_u32_e32 v69, 1, v66
	s_waitcnt lgkmcnt(0)
	v_cmp_lt_u16_e64 s[14:15], v68, v67
	s_nop 1
	v_cndmask_b32_e64 v64, v64, v66, s[14:15]
	v_cndmask_b32_e64 v65, v69, v65, s[14:15]
	v_cmp_ge_i32_e64 s[14:15], v65, v64
	s_or_b64 s[18:19], s[14:15], s[18:19]
	s_andn2_b64 exec, exec, s[18:19]
	s_cbranch_execnz .LBB109_196
; %bb.197:                              ;   in Loop: Header=BB109_2 Depth=1
	s_or_b64 exec, exec, s[18:19]
.LBB109_198:                            ;   in Loop: Header=BB109_2 Depth=1
	s_or_b64 exec, exec, s[16:17]
	v_add_u32_e32 v64, v65, v46
	v_sub_u32_e32 v65, v52, v65
	ds_read_u8 v66, v64
	ds_read_u8 v67, v65
	v_cmp_le_i32_e64 s[16:17], v48, v64
	v_cmp_gt_i32_e64 s[14:15], v49, v65
                                        ; implicit-def: $vgpr68
                                        ; implicit-def: $vgpr69
	s_waitcnt lgkmcnt(0)
	v_cmp_lt_u16_sdwa s[0:1], v67, v66 src0_sel:BYTE_0 src1_sel:BYTE_0
	s_or_b64 s[0:1], s[16:17], s[0:1]
	s_and_b64 s[14:15], s[14:15], s[0:1]
	s_xor_b64 s[0:1], s[14:15], -1
	s_and_saveexec_b64 s[16:17], s[0:1]
	s_xor_b64 s[16:17], exec, s[16:17]
	s_cbranch_execz .LBB109_200
; %bb.199:                              ;   in Loop: Header=BB109_2 Depth=1
	ds_read_u8 v69, v64 offset:1
	v_mov_b32_e32 v68, v67
.LBB109_200:                            ;   in Loop: Header=BB109_2 Depth=1
	s_andn2_saveexec_b64 s[16:17], s[16:17]
	s_cbranch_execz .LBB109_202
; %bb.201:                              ;   in Loop: Header=BB109_2 Depth=1
	ds_read_u8 v68, v65 offset:1
	s_waitcnt lgkmcnt(1)
	v_mov_b32_e32 v69, v66
.LBB109_202:                            ;   in Loop: Header=BB109_2 Depth=1
	s_or_b64 exec, exec, s[16:17]
	v_add_u32_e32 v71, 1, v64
	v_add_u32_e32 v70, 1, v65
	v_cndmask_b32_e64 v71, v71, v64, s[14:15]
	v_cndmask_b32_e64 v70, v65, v70, s[14:15]
	v_cmp_ge_i32_e64 s[18:19], v71, v48
	s_waitcnt lgkmcnt(0)
	v_cmp_lt_u16_sdwa s[0:1], v68, v69 src0_sel:BYTE_0 src1_sel:BYTE_0
	v_cmp_lt_i32_e64 s[16:17], v70, v49
	s_or_b64 s[0:1], s[18:19], s[0:1]
	s_and_b64 s[16:17], s[16:17], s[0:1]
	s_xor_b64 s[0:1], s[16:17], -1
                                        ; implicit-def: $vgpr72
	s_and_saveexec_b64 s[18:19], s[0:1]
	s_xor_b64 s[18:19], exec, s[18:19]
	s_cbranch_execz .LBB109_204
; %bb.203:                              ;   in Loop: Header=BB109_2 Depth=1
	ds_read_u8 v72, v71 offset:1
.LBB109_204:                            ;   in Loop: Header=BB109_2 Depth=1
	s_or_saveexec_b64 s[18:19], s[18:19]
	v_mov_b32_e32 v73, v68
	s_xor_b64 exec, exec, s[18:19]
	s_cbranch_execz .LBB109_206
; %bb.205:                              ;   in Loop: Header=BB109_2 Depth=1
	ds_read_u8 v73, v70 offset:1
	s_waitcnt lgkmcnt(1)
	v_mov_b32_e32 v72, v69
.LBB109_206:                            ;   in Loop: Header=BB109_2 Depth=1
	s_or_b64 exec, exec, s[18:19]
	v_add_u32_e32 v75, 1, v71
	v_add_u32_e32 v74, 1, v70
	v_cndmask_b32_e64 v75, v75, v71, s[16:17]
	v_cndmask_b32_e64 v74, v70, v74, s[16:17]
	v_cmp_ge_i32_e64 s[20:21], v75, v48
	s_waitcnt lgkmcnt(0)
	v_cmp_lt_u16_sdwa s[0:1], v73, v72 src0_sel:BYTE_0 src1_sel:BYTE_0
	v_cmp_lt_i32_e64 s[18:19], v74, v49
	s_or_b64 s[0:1], s[20:21], s[0:1]
	s_and_b64 s[18:19], s[18:19], s[0:1]
	s_xor_b64 s[0:1], s[18:19], -1
                                        ; implicit-def: $vgpr76
	s_and_saveexec_b64 s[20:21], s[0:1]
	s_xor_b64 s[20:21], exec, s[20:21]
	s_cbranch_execz .LBB109_208
; %bb.207:                              ;   in Loop: Header=BB109_2 Depth=1
	ds_read_u8 v76, v75 offset:1
.LBB109_208:                            ;   in Loop: Header=BB109_2 Depth=1
	s_or_saveexec_b64 s[20:21], s[20:21]
	v_mov_b32_e32 v77, v73
	s_xor_b64 exec, exec, s[20:21]
	s_cbranch_execz .LBB109_210
; %bb.209:                              ;   in Loop: Header=BB109_2 Depth=1
	ds_read_u8 v77, v74 offset:1
	s_waitcnt lgkmcnt(1)
	v_mov_b32_e32 v76, v72
.LBB109_210:                            ;   in Loop: Header=BB109_2 Depth=1
	s_or_b64 exec, exec, s[20:21]
	v_add_u32_e32 v79, 1, v75
	v_add_u32_e32 v78, 1, v74
	v_cndmask_b32_e64 v79, v79, v75, s[18:19]
	v_cndmask_b32_e64 v78, v74, v78, s[18:19]
	v_cmp_ge_i32_e64 s[22:23], v79, v48
	s_waitcnt lgkmcnt(0)
	v_cmp_lt_u16_sdwa s[0:1], v77, v76 src0_sel:BYTE_0 src1_sel:BYTE_0
	v_cmp_lt_i32_e64 s[20:21], v78, v49
	s_or_b64 s[0:1], s[22:23], s[0:1]
	s_and_b64 s[20:21], s[20:21], s[0:1]
	s_xor_b64 s[0:1], s[20:21], -1
                                        ; implicit-def: $vgpr80
	s_and_saveexec_b64 s[22:23], s[0:1]
	s_xor_b64 s[22:23], exec, s[22:23]
	s_cbranch_execz .LBB109_212
; %bb.211:                              ;   in Loop: Header=BB109_2 Depth=1
	ds_read_u8 v80, v79 offset:1
.LBB109_212:                            ;   in Loop: Header=BB109_2 Depth=1
	s_or_saveexec_b64 s[22:23], s[22:23]
	v_mov_b32_e32 v81, v77
	s_xor_b64 exec, exec, s[22:23]
	s_cbranch_execz .LBB109_214
; %bb.213:                              ;   in Loop: Header=BB109_2 Depth=1
	ds_read_u8 v81, v78 offset:1
	s_waitcnt lgkmcnt(1)
	v_mov_b32_e32 v80, v76
.LBB109_214:                            ;   in Loop: Header=BB109_2 Depth=1
	s_or_b64 exec, exec, s[22:23]
	v_add_u32_e32 v83, 1, v79
	v_add_u32_e32 v82, 1, v78
	v_cndmask_b32_e64 v83, v83, v79, s[20:21]
	v_cndmask_b32_e64 v82, v78, v82, s[20:21]
	v_cmp_ge_i32_e64 s[24:25], v83, v48
	s_waitcnt lgkmcnt(0)
	v_cmp_lt_u16_sdwa s[0:1], v81, v80 src0_sel:BYTE_0 src1_sel:BYTE_0
	v_cmp_lt_i32_e64 s[22:23], v82, v49
	s_or_b64 s[0:1], s[24:25], s[0:1]
	s_and_b64 s[22:23], s[22:23], s[0:1]
	s_xor_b64 s[0:1], s[22:23], -1
                                        ; implicit-def: $vgpr84
	s_and_saveexec_b64 s[24:25], s[0:1]
	s_xor_b64 s[24:25], exec, s[24:25]
	s_cbranch_execz .LBB109_216
; %bb.215:                              ;   in Loop: Header=BB109_2 Depth=1
	ds_read_u8 v84, v83 offset:1
.LBB109_216:                            ;   in Loop: Header=BB109_2 Depth=1
	s_or_saveexec_b64 s[24:25], s[24:25]
	v_mov_b32_e32 v85, v81
	s_xor_b64 exec, exec, s[24:25]
	s_cbranch_execz .LBB109_218
; %bb.217:                              ;   in Loop: Header=BB109_2 Depth=1
	ds_read_u8 v85, v82 offset:1
	s_waitcnt lgkmcnt(1)
	v_mov_b32_e32 v84, v80
.LBB109_218:                            ;   in Loop: Header=BB109_2 Depth=1
	s_or_b64 exec, exec, s[24:25]
	v_add_u32_e32 v87, 1, v83
	v_add_u32_e32 v86, 1, v82
	v_cndmask_b32_e64 v87, v87, v83, s[22:23]
	v_cndmask_b32_e64 v86, v82, v86, s[22:23]
	v_cmp_ge_i32_e64 s[26:27], v87, v48
	s_waitcnt lgkmcnt(0)
	v_cmp_lt_u16_sdwa s[0:1], v85, v84 src0_sel:BYTE_0 src1_sel:BYTE_0
	v_cmp_lt_i32_e64 s[24:25], v86, v49
	s_or_b64 s[0:1], s[26:27], s[0:1]
	s_and_b64 s[24:25], s[24:25], s[0:1]
	s_xor_b64 s[0:1], s[24:25], -1
                                        ; implicit-def: $vgpr88
	s_and_saveexec_b64 s[26:27], s[0:1]
	s_xor_b64 s[26:27], exec, s[26:27]
	s_cbranch_execz .LBB109_220
; %bb.219:                              ;   in Loop: Header=BB109_2 Depth=1
	ds_read_u8 v88, v87 offset:1
.LBB109_220:                            ;   in Loop: Header=BB109_2 Depth=1
	s_or_saveexec_b64 s[26:27], s[26:27]
	v_mov_b32_e32 v89, v85
	s_xor_b64 exec, exec, s[26:27]
	s_cbranch_execz .LBB109_222
; %bb.221:                              ;   in Loop: Header=BB109_2 Depth=1
	ds_read_u8 v89, v86 offset:1
	s_waitcnt lgkmcnt(1)
	v_mov_b32_e32 v88, v84
.LBB109_222:                            ;   in Loop: Header=BB109_2 Depth=1
	s_or_b64 exec, exec, s[26:27]
	v_add_u32_e32 v92, 1, v87
	v_add_u32_e32 v90, 1, v86
	v_cndmask_b32_e64 v92, v92, v87, s[24:25]
	v_cndmask_b32_e64 v91, v86, v90, s[24:25]
	v_cmp_ge_i32_e64 s[28:29], v92, v48
	s_waitcnt lgkmcnt(0)
	v_cmp_lt_u16_sdwa s[0:1], v89, v88 src0_sel:BYTE_0 src1_sel:BYTE_0
	v_cmp_lt_i32_e64 s[26:27], v91, v49
	s_or_b64 s[0:1], s[28:29], s[0:1]
	s_and_b64 s[26:27], s[26:27], s[0:1]
	s_xor_b64 s[0:1], s[26:27], -1
                                        ; implicit-def: $vgpr90
	s_and_saveexec_b64 s[28:29], s[0:1]
	s_xor_b64 s[28:29], exec, s[28:29]
	s_cbranch_execz .LBB109_224
; %bb.223:                              ;   in Loop: Header=BB109_2 Depth=1
	ds_read_u8 v90, v92 offset:1
.LBB109_224:                            ;   in Loop: Header=BB109_2 Depth=1
	s_or_saveexec_b64 s[28:29], s[28:29]
	v_mov_b32_e32 v93, v89
	s_xor_b64 exec, exec, s[28:29]
	s_cbranch_execz .LBB109_226
; %bb.225:                              ;   in Loop: Header=BB109_2 Depth=1
	ds_read_u8 v93, v91 offset:1
	s_waitcnt lgkmcnt(1)
	v_mov_b32_e32 v90, v88
.LBB109_226:                            ;   in Loop: Header=BB109_2 Depth=1
	s_or_b64 exec, exec, s[28:29]
	v_add_u32_e32 v94, 1, v92
	v_cndmask_b32_e64 v88, v88, v89, s[26:27]
	v_add_u32_e32 v89, 1, v91
	v_cndmask_b32_e64 v94, v94, v92, s[26:27]
	v_cndmask_b32_e64 v89, v91, v89, s[26:27]
	;; [unrolled: 1-line block ×4, first 2 shown]
	v_cmp_ge_i32_e64 s[16:17], v94, v48
	s_waitcnt lgkmcnt(0)
	v_cmp_lt_u16_sdwa s[0:1], v93, v90 src0_sel:BYTE_0 src1_sel:BYTE_0
	v_lshlrev_b16_e32 v58, 8, v58
	v_cndmask_b32_e64 v66, v66, v67, s[14:15]
	v_cndmask_b32_e64 v64, v64, v65, s[14:15]
	v_cmp_lt_i32_e64 s[14:15], v89, v49
	s_or_b64 s[0:1], s[16:17], s[0:1]
	v_lshlrev_b16_e32 v63, 8, v63
	v_lshlrev_b16_e32 v60, 8, v60
	v_or_b32_sdwa v56, v56, v58 dst_sel:DWORD dst_unused:UNUSED_PAD src0_sel:BYTE_0 src1_sel:DWORD
	v_lshlrev_b16_e32 v58, 8, v59
	s_and_b64 s[14:15], s[14:15], s[0:1]
	v_or_b32_sdwa v61, v61, v63 dst_sel:DWORD dst_unused:UNUSED_PAD src0_sel:BYTE_0 src1_sel:DWORD
	v_or_b32_sdwa v60, v62, v60 dst_sel:WORD_1 dst_unused:UNUSED_PAD src0_sel:BYTE_0 src1_sel:DWORD
	v_or_b32_sdwa v57, v57, v58 dst_sel:WORD_1 dst_unused:UNUSED_PAD src0_sel:BYTE_0 src1_sel:DWORD
	v_cndmask_b32_e64 v67, v94, v89, s[14:15]
	v_or_b32_sdwa v61, v61, v60 dst_sel:DWORD dst_unused:UNUSED_PAD src0_sel:WORD_0 src1_sel:DWORD
	v_or_b32_sdwa v60, v56, v57 dst_sel:DWORD dst_unused:UNUSED_PAD src0_sel:WORD_0 src1_sel:DWORD
	v_cndmask_b32_e64 v91, v92, v91, s[26:27]
	v_cndmask_b32_e64 v84, v84, v85, s[24:25]
	;; [unrolled: 1-line block ×9, first 2 shown]
	s_barrier
	ds_write_b64 v2, v[60:61]
	s_waitcnt lgkmcnt(0)
	s_barrier
	ds_read_u8 v60, v67
	ds_read_u8 v56, v64
	;; [unrolled: 1-line block ×8, first 2 shown]
	v_lshlrev_b16_e32 v64, 8, v68
	v_or_b32_sdwa v64, v66, v64 dst_sel:DWORD dst_unused:UNUSED_PAD src0_sel:BYTE_0 src1_sel:DWORD
	v_lshlrev_b16_e32 v66, 8, v76
	v_cndmask_b32_e64 v65, v90, v93, s[14:15]
	v_or_b32_sdwa v66, v72, v66 dst_sel:WORD_1 dst_unused:UNUSED_PAD src0_sel:BYTE_0 src1_sel:DWORD
	v_lshlrev_b16_e32 v65, 8, v65
	v_or_b32_sdwa v64, v64, v66 dst_sel:DWORD dst_unused:UNUSED_PAD src0_sel:WORD_0 src1_sel:DWORD
	v_lshlrev_b16_e32 v66, 8, v84
	v_or_b32_sdwa v66, v80, v66 dst_sel:DWORD dst_unused:UNUSED_PAD src0_sel:BYTE_0 src1_sel:DWORD
	v_or_b32_sdwa v65, v88, v65 dst_sel:WORD_1 dst_unused:UNUSED_PAD src0_sel:BYTE_0 src1_sel:DWORD
	s_waitcnt lgkmcnt(0)
	v_or_b32_sdwa v65, v66, v65 dst_sel:DWORD dst_unused:UNUSED_PAD src0_sel:WORD_0 src1_sel:DWORD
	s_barrier
	ds_write_b64 v2, v[64:65]
	v_mov_b32_e32 v64, v53
	s_waitcnt lgkmcnt(0)
	s_barrier
	s_and_saveexec_b64 s[16:17], s[12:13]
	s_cbranch_execz .LBB109_230
; %bb.227:                              ;   in Loop: Header=BB109_2 Depth=1
	s_mov_b64 s[18:19], 0
	v_mov_b32_e32 v64, v53
	v_mov_b32_e32 v65, v54
.LBB109_228:                            ;   Parent Loop BB109_2 Depth=1
                                        ; =>  This Inner Loop Header: Depth=2
	v_sub_u32_e32 v66, v65, v64
	v_lshrrev_b32_e32 v67, 31, v66
	v_add_u32_e32 v66, v66, v67
	v_ashrrev_i32_e32 v66, 1, v66
	v_add_u32_e32 v66, v66, v64
	v_not_b32_e32 v67, v66
	v_add3_u32 v67, v2, v67, v45
	ds_read_u8 v68, v66
	ds_read_u8 v67, v67
	v_add_u32_e32 v69, 1, v66
	s_waitcnt lgkmcnt(0)
	v_cmp_lt_u16_e64 s[14:15], v67, v68
	s_nop 1
	v_cndmask_b32_e64 v65, v65, v66, s[14:15]
	v_cndmask_b32_e64 v64, v69, v64, s[14:15]
	v_cmp_ge_i32_e64 s[14:15], v64, v65
	s_or_b64 s[18:19], s[14:15], s[18:19]
	s_andn2_b64 exec, exec, s[18:19]
	s_cbranch_execnz .LBB109_228
; %bb.229:                              ;   in Loop: Header=BB109_2 Depth=1
	s_or_b64 exec, exec, s[18:19]
.LBB109_230:                            ;   in Loop: Header=BB109_2 Depth=1
	s_or_b64 exec, exec, s[16:17]
	v_sub_u32_e32 v65, v55, v64
	ds_read_u8 v66, v64
	ds_read_u8 v67, v65
	v_cmp_le_i32_e64 s[16:17], v45, v64
	v_cmp_gt_i32_e64 s[14:15], s99, v65
                                        ; implicit-def: $vgpr68
                                        ; implicit-def: $vgpr69
	s_waitcnt lgkmcnt(0)
	v_cmp_lt_u16_sdwa s[0:1], v67, v66 src0_sel:BYTE_0 src1_sel:BYTE_0
	s_or_b64 s[0:1], s[16:17], s[0:1]
	s_and_b64 s[14:15], s[14:15], s[0:1]
	s_xor_b64 s[0:1], s[14:15], -1
	s_and_saveexec_b64 s[16:17], s[0:1]
	s_xor_b64 s[16:17], exec, s[16:17]
	s_cbranch_execz .LBB109_232
; %bb.231:                              ;   in Loop: Header=BB109_2 Depth=1
	ds_read_u8 v69, v64 offset:1
	v_mov_b32_e32 v68, v67
.LBB109_232:                            ;   in Loop: Header=BB109_2 Depth=1
	s_andn2_saveexec_b64 s[16:17], s[16:17]
	s_cbranch_execz .LBB109_234
; %bb.233:                              ;   in Loop: Header=BB109_2 Depth=1
	ds_read_u8 v68, v65 offset:1
	s_waitcnt lgkmcnt(1)
	v_mov_b32_e32 v69, v66
.LBB109_234:                            ;   in Loop: Header=BB109_2 Depth=1
	s_or_b64 exec, exec, s[16:17]
	v_add_u32_e32 v71, 1, v64
	v_add_u32_e32 v70, 1, v65
	v_cndmask_b32_e64 v71, v71, v64, s[14:15]
	v_cndmask_b32_e64 v70, v65, v70, s[14:15]
	v_cmp_ge_i32_e64 s[18:19], v71, v45
	s_waitcnt lgkmcnt(0)
	v_cmp_lt_u16_sdwa s[0:1], v68, v69 src0_sel:BYTE_0 src1_sel:BYTE_0
	v_cmp_gt_i32_e64 s[16:17], s99, v70
	s_or_b64 s[0:1], s[18:19], s[0:1]
	s_and_b64 s[16:17], s[16:17], s[0:1]
	s_xor_b64 s[0:1], s[16:17], -1
                                        ; implicit-def: $vgpr72
	s_and_saveexec_b64 s[18:19], s[0:1]
	s_xor_b64 s[18:19], exec, s[18:19]
	s_cbranch_execz .LBB109_236
; %bb.235:                              ;   in Loop: Header=BB109_2 Depth=1
	ds_read_u8 v72, v71 offset:1
.LBB109_236:                            ;   in Loop: Header=BB109_2 Depth=1
	s_or_saveexec_b64 s[18:19], s[18:19]
	v_mov_b32_e32 v73, v68
	s_xor_b64 exec, exec, s[18:19]
	s_cbranch_execz .LBB109_238
; %bb.237:                              ;   in Loop: Header=BB109_2 Depth=1
	ds_read_u8 v73, v70 offset:1
	s_waitcnt lgkmcnt(1)
	v_mov_b32_e32 v72, v69
.LBB109_238:                            ;   in Loop: Header=BB109_2 Depth=1
	s_or_b64 exec, exec, s[18:19]
	v_add_u32_e32 v75, 1, v71
	v_add_u32_e32 v74, 1, v70
	v_cndmask_b32_e64 v75, v75, v71, s[16:17]
	v_cndmask_b32_e64 v74, v70, v74, s[16:17]
	v_cmp_ge_i32_e64 s[20:21], v75, v45
	s_waitcnt lgkmcnt(0)
	v_cmp_lt_u16_sdwa s[0:1], v73, v72 src0_sel:BYTE_0 src1_sel:BYTE_0
	v_cmp_gt_i32_e64 s[18:19], s99, v74
	s_or_b64 s[0:1], s[20:21], s[0:1]
	s_and_b64 s[18:19], s[18:19], s[0:1]
	s_xor_b64 s[0:1], s[18:19], -1
                                        ; implicit-def: $vgpr76
	s_and_saveexec_b64 s[20:21], s[0:1]
	s_xor_b64 s[20:21], exec, s[20:21]
	s_cbranch_execz .LBB109_240
; %bb.239:                              ;   in Loop: Header=BB109_2 Depth=1
	ds_read_u8 v76, v75 offset:1
.LBB109_240:                            ;   in Loop: Header=BB109_2 Depth=1
	s_or_saveexec_b64 s[20:21], s[20:21]
	v_mov_b32_e32 v77, v73
	s_xor_b64 exec, exec, s[20:21]
	s_cbranch_execz .LBB109_242
; %bb.241:                              ;   in Loop: Header=BB109_2 Depth=1
	ds_read_u8 v77, v74 offset:1
	s_waitcnt lgkmcnt(1)
	v_mov_b32_e32 v76, v72
.LBB109_242:                            ;   in Loop: Header=BB109_2 Depth=1
	s_or_b64 exec, exec, s[20:21]
	v_add_u32_e32 v79, 1, v75
	v_add_u32_e32 v78, 1, v74
	v_cndmask_b32_e64 v79, v79, v75, s[18:19]
	v_cndmask_b32_e64 v78, v74, v78, s[18:19]
	v_cmp_ge_i32_e64 s[22:23], v79, v45
	s_waitcnt lgkmcnt(0)
	v_cmp_lt_u16_sdwa s[0:1], v77, v76 src0_sel:BYTE_0 src1_sel:BYTE_0
	v_cmp_gt_i32_e64 s[20:21], s99, v78
	s_or_b64 s[0:1], s[22:23], s[0:1]
	s_and_b64 s[20:21], s[20:21], s[0:1]
	s_xor_b64 s[0:1], s[20:21], -1
                                        ; implicit-def: $vgpr80
	s_and_saveexec_b64 s[22:23], s[0:1]
	s_xor_b64 s[22:23], exec, s[22:23]
	s_cbranch_execz .LBB109_244
; %bb.243:                              ;   in Loop: Header=BB109_2 Depth=1
	ds_read_u8 v80, v79 offset:1
.LBB109_244:                            ;   in Loop: Header=BB109_2 Depth=1
	s_or_saveexec_b64 s[22:23], s[22:23]
	v_mov_b32_e32 v81, v77
	s_xor_b64 exec, exec, s[22:23]
	s_cbranch_execz .LBB109_246
; %bb.245:                              ;   in Loop: Header=BB109_2 Depth=1
	ds_read_u8 v81, v78 offset:1
	s_waitcnt lgkmcnt(1)
	v_mov_b32_e32 v80, v76
.LBB109_246:                            ;   in Loop: Header=BB109_2 Depth=1
	s_or_b64 exec, exec, s[22:23]
	v_add_u32_e32 v83, 1, v79
	v_add_u32_e32 v82, 1, v78
	v_cndmask_b32_e64 v83, v83, v79, s[20:21]
	v_cndmask_b32_e64 v82, v78, v82, s[20:21]
	v_cmp_ge_i32_e64 s[24:25], v83, v45
	s_waitcnt lgkmcnt(0)
	v_cmp_lt_u16_sdwa s[0:1], v81, v80 src0_sel:BYTE_0 src1_sel:BYTE_0
	v_cmp_gt_i32_e64 s[22:23], s99, v82
	s_or_b64 s[0:1], s[24:25], s[0:1]
	s_and_b64 s[22:23], s[22:23], s[0:1]
	s_xor_b64 s[0:1], s[22:23], -1
                                        ; implicit-def: $vgpr84
	s_and_saveexec_b64 s[24:25], s[0:1]
	s_xor_b64 s[24:25], exec, s[24:25]
	s_cbranch_execz .LBB109_248
; %bb.247:                              ;   in Loop: Header=BB109_2 Depth=1
	ds_read_u8 v84, v83 offset:1
.LBB109_248:                            ;   in Loop: Header=BB109_2 Depth=1
	s_or_saveexec_b64 s[24:25], s[24:25]
	v_mov_b32_e32 v85, v81
	s_xor_b64 exec, exec, s[24:25]
	s_cbranch_execz .LBB109_250
; %bb.249:                              ;   in Loop: Header=BB109_2 Depth=1
	ds_read_u8 v85, v82 offset:1
	s_waitcnt lgkmcnt(1)
	v_mov_b32_e32 v84, v80
.LBB109_250:                            ;   in Loop: Header=BB109_2 Depth=1
	s_or_b64 exec, exec, s[24:25]
	v_add_u32_e32 v87, 1, v83
	v_add_u32_e32 v86, 1, v82
	v_cndmask_b32_e64 v87, v87, v83, s[22:23]
	v_cndmask_b32_e64 v86, v82, v86, s[22:23]
	v_cmp_ge_i32_e64 s[26:27], v87, v45
	s_waitcnt lgkmcnt(0)
	v_cmp_lt_u16_sdwa s[0:1], v85, v84 src0_sel:BYTE_0 src1_sel:BYTE_0
	v_cmp_gt_i32_e64 s[24:25], s99, v86
	s_or_b64 s[0:1], s[26:27], s[0:1]
	s_and_b64 s[24:25], s[24:25], s[0:1]
	s_xor_b64 s[0:1], s[24:25], -1
                                        ; implicit-def: $vgpr88
	s_and_saveexec_b64 s[26:27], s[0:1]
	s_xor_b64 s[26:27], exec, s[26:27]
	s_cbranch_execz .LBB109_252
; %bb.251:                              ;   in Loop: Header=BB109_2 Depth=1
	ds_read_u8 v88, v87 offset:1
.LBB109_252:                            ;   in Loop: Header=BB109_2 Depth=1
	s_or_saveexec_b64 s[26:27], s[26:27]
	v_mov_b32_e32 v89, v85
	s_xor_b64 exec, exec, s[26:27]
	s_cbranch_execz .LBB109_254
; %bb.253:                              ;   in Loop: Header=BB109_2 Depth=1
	ds_read_u8 v89, v86 offset:1
	s_waitcnt lgkmcnt(1)
	v_mov_b32_e32 v88, v84
.LBB109_254:                            ;   in Loop: Header=BB109_2 Depth=1
	s_or_b64 exec, exec, s[26:27]
	v_add_u32_e32 v91, 1, v87
	v_add_u32_e32 v90, 1, v86
	v_cndmask_b32_e64 v94, v91, v87, s[24:25]
	v_cndmask_b32_e64 v90, v86, v90, s[24:25]
	v_cmp_ge_i32_e64 s[28:29], v94, v45
	s_waitcnt lgkmcnt(0)
	v_cmp_lt_u16_sdwa s[0:1], v89, v88 src0_sel:BYTE_0 src1_sel:BYTE_0
	v_cmp_gt_i32_e64 s[26:27], s99, v90
	s_or_b64 s[0:1], s[28:29], s[0:1]
	s_and_b64 s[26:27], s[26:27], s[0:1]
	s_xor_b64 s[0:1], s[26:27], -1
                                        ; implicit-def: $vgpr93
                                        ; implicit-def: $vgpr92
	s_and_saveexec_b64 s[28:29], s[0:1]
	s_xor_b64 s[28:29], exec, s[28:29]
	s_cbranch_execz .LBB109_256
; %bb.255:                              ;   in Loop: Header=BB109_2 Depth=1
	ds_read_u8 v93, v94 offset:1
	v_add_u32_e32 v92, 1, v94
.LBB109_256:                            ;   in Loop: Header=BB109_2 Depth=1
	s_or_saveexec_b64 s[28:29], s[28:29]
	v_mov_b32_e32 v91, v94
	v_mov_b32_e32 v95, v89
	s_xor_b64 exec, exec, s[28:29]
	s_cbranch_execz .LBB109_1
; %bb.257:                              ;   in Loop: Header=BB109_2 Depth=1
	ds_read_u8 v95, v90 offset:1
	s_waitcnt lgkmcnt(1)
	v_add_u32_e32 v93, 1, v90
	v_mov_b32_e32 v91, v90
	v_mov_b32_e32 v92, v94
	;; [unrolled: 1-line block ×4, first 2 shown]
	s_branch .LBB109_1
.LBB109_258:
	v_readlane_b32 s0, v96, 0
	v_readlane_b32 s2, v96, 2
	;; [unrolled: 1-line block ×4, first 2 shown]
	s_add_u32 s0, s2, s33
	s_addc_u32 s1, s3, 0
	v_add_u16_e32 v2, v66, v62
	v_lshl_add_u64 v[0:1], s[0:1], 0, v[0:1]
	v_add_u16_e32 v3, v67, v63
	v_add_u16_e32 v4, v68, v65
	;; [unrolled: 1-line block ×7, first 2 shown]
	global_store_byte v[0:1], v2, off
	global_store_byte v[0:1], v3, off offset:256
	global_store_byte v[0:1], v4, off offset:512
	;; [unrolled: 1-line block ×7, first 2 shown]
	s_endpgm
	.section	.rodata,"a",@progbits
	.p2align	6, 0x0
	.amdhsa_kernel _Z17sort_pairs_kernelIhLj256ELj8EN10test_utils4lessELj10EEvPKT_PS2_T2_
		.amdhsa_group_segment_fixed_size 2049
		.amdhsa_private_segment_fixed_size 0
		.amdhsa_kernarg_size 20
		.amdhsa_user_sgpr_count 2
		.amdhsa_user_sgpr_dispatch_ptr 0
		.amdhsa_user_sgpr_queue_ptr 0
		.amdhsa_user_sgpr_kernarg_segment_ptr 1
		.amdhsa_user_sgpr_dispatch_id 0
		.amdhsa_user_sgpr_kernarg_preload_length 0
		.amdhsa_user_sgpr_kernarg_preload_offset 0
		.amdhsa_user_sgpr_private_segment_size 0
		.amdhsa_uses_dynamic_stack 0
		.amdhsa_enable_private_segment 0
		.amdhsa_system_sgpr_workgroup_id_x 1
		.amdhsa_system_sgpr_workgroup_id_y 0
		.amdhsa_system_sgpr_workgroup_id_z 0
		.amdhsa_system_sgpr_workgroup_info 0
		.amdhsa_system_vgpr_workitem_id 0
		.amdhsa_next_free_vgpr 97
		.amdhsa_next_free_sgpr 100
		.amdhsa_accum_offset 100
		.amdhsa_reserve_vcc 1
		.amdhsa_float_round_mode_32 0
		.amdhsa_float_round_mode_16_64 0
		.amdhsa_float_denorm_mode_32 3
		.amdhsa_float_denorm_mode_16_64 3
		.amdhsa_dx10_clamp 1
		.amdhsa_ieee_mode 1
		.amdhsa_fp16_overflow 0
		.amdhsa_tg_split 0
		.amdhsa_exception_fp_ieee_invalid_op 0
		.amdhsa_exception_fp_denorm_src 0
		.amdhsa_exception_fp_ieee_div_zero 0
		.amdhsa_exception_fp_ieee_overflow 0
		.amdhsa_exception_fp_ieee_underflow 0
		.amdhsa_exception_fp_ieee_inexact 0
		.amdhsa_exception_int_div_zero 0
	.end_amdhsa_kernel
	.section	.text._Z17sort_pairs_kernelIhLj256ELj8EN10test_utils4lessELj10EEvPKT_PS2_T2_,"axG",@progbits,_Z17sort_pairs_kernelIhLj256ELj8EN10test_utils4lessELj10EEvPKT_PS2_T2_,comdat
.Lfunc_end109:
	.size	_Z17sort_pairs_kernelIhLj256ELj8EN10test_utils4lessELj10EEvPKT_PS2_T2_, .Lfunc_end109-_Z17sort_pairs_kernelIhLj256ELj8EN10test_utils4lessELj10EEvPKT_PS2_T2_
                                        ; -- End function
	.section	.AMDGPU.csdata,"",@progbits
; Kernel info:
; codeLenInByte = 14076
; NumSgprs: 106
; NumVgprs: 97
; NumAgprs: 0
; TotalNumVgprs: 97
; ScratchSize: 0
; MemoryBound: 0
; FloatMode: 240
; IeeeMode: 1
; LDSByteSize: 2049 bytes/workgroup (compile time only)
; SGPRBlocks: 13
; VGPRBlocks: 12
; NumSGPRsForWavesPerEU: 106
; NumVGPRsForWavesPerEU: 97
; AccumOffset: 100
; Occupancy: 4
; WaveLimiterHint : 1
; COMPUTE_PGM_RSRC2:SCRATCH_EN: 0
; COMPUTE_PGM_RSRC2:USER_SGPR: 2
; COMPUTE_PGM_RSRC2:TRAP_HANDLER: 0
; COMPUTE_PGM_RSRC2:TGID_X_EN: 1
; COMPUTE_PGM_RSRC2:TGID_Y_EN: 0
; COMPUTE_PGM_RSRC2:TGID_Z_EN: 0
; COMPUTE_PGM_RSRC2:TIDIG_COMP_CNT: 0
; COMPUTE_PGM_RSRC3_GFX90A:ACCUM_OFFSET: 24
; COMPUTE_PGM_RSRC3_GFX90A:TG_SPLIT: 0
	.section	.text._Z16sort_keys_kernelIhLj512ELj1EN10test_utils4lessELj10EEvPKT_PS2_T2_,"axG",@progbits,_Z16sort_keys_kernelIhLj512ELj1EN10test_utils4lessELj10EEvPKT_PS2_T2_,comdat
	.protected	_Z16sort_keys_kernelIhLj512ELj1EN10test_utils4lessELj10EEvPKT_PS2_T2_ ; -- Begin function _Z16sort_keys_kernelIhLj512ELj1EN10test_utils4lessELj10EEvPKT_PS2_T2_
	.globl	_Z16sort_keys_kernelIhLj512ELj1EN10test_utils4lessELj10EEvPKT_PS2_T2_
	.p2align	8
	.type	_Z16sort_keys_kernelIhLj512ELj1EN10test_utils4lessELj10EEvPKT_PS2_T2_,@function
_Z16sort_keys_kernelIhLj512ELj1EN10test_utils4lessELj10EEvPKT_PS2_T2_: ; @_Z16sort_keys_kernelIhLj512ELj1EN10test_utils4lessELj10EEvPKT_PS2_T2_
; %bb.0:
	s_load_dwordx4 s[20:23], s[0:1], 0x0
	s_lshl_b32 s24, s2, 9
	v_and_b32_e32 v8, 0x1fc, v0
	v_and_b32_e32 v15, 0x1f8, v0
	;; [unrolled: 1-line block ×3, first 2 shown]
	s_waitcnt lgkmcnt(0)
	s_add_u32 s2, s20, s24
	s_addc_u32 s3, s21, 0
	global_load_ubyte v69, v0, s[2:3]
	v_and_b32_e32 v29, 0x1e0, v0
	v_and_b32_e32 v36, 0x1c0, v0
	v_and_b32_e32 v43, 0x180, v0
	v_and_b32_e32 v51, 0x100, v0
	v_and_b32_e32 v2, 0x1fe, v0
	v_or_b32_e32 v10, 2, v8
	v_add_u32_e32 v11, 4, v8
	v_or_b32_e32 v17, 4, v15
	v_add_u32_e32 v18, 8, v15
	;; [unrolled: 2-line block ×7, first 2 shown]
	v_and_b32_e32 v3, 1, v0
	v_or_b32_e32 v4, 1, v2
	v_and_b32_e32 v9, 3, v0
	v_sub_u32_e32 v13, v11, v10
	v_and_b32_e32 v16, 7, v0
	v_sub_u32_e32 v20, v18, v17
	;; [unrolled: 2-line block ×7, first 2 shown]
	v_sub_u32_e32 v5, v4, v2
	v_add_u32_e32 v6, -1, v3
	v_cmp_lt_i32_e32 vcc, 0, v3
	v_sub_u32_e32 v12, v10, v8
	v_sub_u32_e32 v14, v9, v13
	v_cmp_ge_i32_e64 s[0:1], v9, v13
	v_sub_u32_e32 v19, v17, v15
	v_sub_u32_e32 v21, v16, v20
	v_cmp_ge_i32_e64 s[2:3], v16, v20
	;; [unrolled: 3-line block ×6, first 2 shown]
	v_mov_b32_e32 v50, 0x100
	v_sub_u32_e32 v55, v53, v51
	v_sub_u32_e32 v57, v52, v56
	v_cmp_ge_i32_e64 s[12:13], v52, v56
	v_cndmask_b32_e32 v6, 0, v6, vcc
	v_min_i32_e32 v7, v3, v5
	v_cndmask_b32_e64 v13, 0, v14, s[0:1]
	v_min_i32_e32 v14, v9, v12
	v_cndmask_b32_e64 v20, 0, v21, s[2:3]
	;; [unrolled: 2-line block ×7, first 2 shown]
	v_min_i32_e32 v57, v52, v55
	v_sub_u32_e64 v58, v0, v50 clamp
	v_min_i32_e32 v59, 0x100, v0
	s_mov_b32 s25, 0
	v_mov_b32_e32 v1, 0
	v_cmp_lt_i32_e32 vcc, v6, v7
	v_cmp_lt_i32_e64 s[0:1], v13, v14
	v_cmp_lt_i32_e64 s[2:3], v20, v21
	;; [unrolled: 1-line block ×8, first 2 shown]
	s_movk_i32 s26, 0x200
	v_add_u32_e32 v60, v4, v3
	v_add_u32_e32 v61, v10, v9
	;; [unrolled: 1-line block ×9, first 2 shown]
	s_branch .LBB110_2
.LBB110_1:                              ;   in Loop: Header=BB110_2 Depth=1
	s_or_b64 exec, exec, s[18:19]
	v_sub_u32_e32 v70, v68, v69
	ds_read_u8 v71, v69
	ds_read_u8 v72, v70
	v_cmp_ge_i32_e64 s[16:17], v69, v50
	v_cmp_gt_i32_e64 s[18:19], s26, v70
	s_add_i32 s25, s25, 1
	s_waitcnt lgkmcnt(0)
	v_cmp_lt_u16_sdwa s[20:21], v72, v71 src0_sel:BYTE_0 src1_sel:BYTE_0
	s_or_b64 s[16:17], s[16:17], s[20:21]
	s_and_b64 s[16:17], s[18:19], s[16:17]
	s_cmp_eq_u32 s25, 10
	v_cndmask_b32_e64 v69, v71, v72, s[16:17]
	s_cbranch_scc1 .LBB110_38
.LBB110_2:                              ; =>This Loop Header: Depth=1
                                        ;     Child Loop BB110_4 Depth 2
                                        ;     Child Loop BB110_8 Depth 2
	;; [unrolled: 1-line block ×9, first 2 shown]
	s_barrier
	s_waitcnt vmcnt(0)
	ds_write_b8 v0, v69
	v_mov_b32_e32 v69, v6
	s_waitcnt lgkmcnt(0)
	s_barrier
	s_and_saveexec_b64 s[18:19], vcc
	s_cbranch_execz .LBB110_6
; %bb.3:                                ;   in Loop: Header=BB110_2 Depth=1
	s_mov_b64 s[20:21], 0
	v_mov_b32_e32 v69, v6
	v_mov_b32_e32 v70, v7
.LBB110_4:                              ;   Parent Loop BB110_2 Depth=1
                                        ; =>  This Inner Loop Header: Depth=2
	v_sub_u32_e32 v71, v70, v69
	v_lshrrev_b32_e32 v72, 31, v71
	v_add_u32_e32 v71, v71, v72
	v_ashrrev_i32_e32 v71, 1, v71
	v_add_u32_e32 v71, v71, v69
	v_not_b32_e32 v73, v71
	v_add_u32_e32 v72, v2, v71
	v_add3_u32 v73, v3, v73, v4
	ds_read_u8 v72, v72
	ds_read_u8 v73, v73
	v_add_u32_e32 v74, 1, v71
	s_waitcnt lgkmcnt(0)
	v_cmp_lt_u16_e64 s[16:17], v73, v72
	s_nop 1
	v_cndmask_b32_e64 v70, v70, v71, s[16:17]
	v_cndmask_b32_e64 v69, v74, v69, s[16:17]
	v_cmp_ge_i32_e64 s[16:17], v69, v70
	s_or_b64 s[20:21], s[16:17], s[20:21]
	s_andn2_b64 exec, exec, s[20:21]
	s_cbranch_execnz .LBB110_4
; %bb.5:                                ;   in Loop: Header=BB110_2 Depth=1
	s_or_b64 exec, exec, s[20:21]
.LBB110_6:                              ;   in Loop: Header=BB110_2 Depth=1
	s_or_b64 exec, exec, s[18:19]
	v_add_u32_e32 v71, v2, v69
	v_sub_u32_e32 v70, v60, v69
	ds_read_u8 v71, v71
	ds_read_u8 v72, v70
	v_cmp_ge_i32_e64 s[16:17], v69, v5
	v_cmp_ge_i32_e64 s[18:19], v4, v70
	s_waitcnt lgkmcnt(0)
	s_barrier
	v_cmp_lt_u16_sdwa s[20:21], v72, v71 src0_sel:BYTE_0 src1_sel:BYTE_0
	s_or_b64 s[16:17], s[16:17], s[20:21]
	s_and_b64 s[16:17], s[18:19], s[16:17]
	v_cndmask_b32_e64 v69, v71, v72, s[16:17]
	ds_write_b8 v0, v69
	v_mov_b32_e32 v69, v13
	s_waitcnt lgkmcnt(0)
	s_barrier
	s_and_saveexec_b64 s[18:19], s[0:1]
	s_cbranch_execz .LBB110_10
; %bb.7:                                ;   in Loop: Header=BB110_2 Depth=1
	s_mov_b64 s[20:21], 0
	v_mov_b32_e32 v69, v13
	v_mov_b32_e32 v70, v14
.LBB110_8:                              ;   Parent Loop BB110_2 Depth=1
                                        ; =>  This Inner Loop Header: Depth=2
	v_sub_u32_e32 v71, v70, v69
	v_lshrrev_b32_e32 v72, 31, v71
	v_add_u32_e32 v71, v71, v72
	v_ashrrev_i32_e32 v71, 1, v71
	v_add_u32_e32 v71, v71, v69
	v_not_b32_e32 v73, v71
	v_add_u32_e32 v72, v8, v71
	v_add3_u32 v73, v9, v73, v10
	ds_read_u8 v72, v72
	ds_read_u8 v73, v73
	v_add_u32_e32 v74, 1, v71
	s_waitcnt lgkmcnt(0)
	v_cmp_lt_u16_e64 s[16:17], v73, v72
	s_nop 1
	v_cndmask_b32_e64 v70, v70, v71, s[16:17]
	v_cndmask_b32_e64 v69, v74, v69, s[16:17]
	v_cmp_ge_i32_e64 s[16:17], v69, v70
	s_or_b64 s[20:21], s[16:17], s[20:21]
	s_andn2_b64 exec, exec, s[20:21]
	s_cbranch_execnz .LBB110_8
; %bb.9:                                ;   in Loop: Header=BB110_2 Depth=1
	s_or_b64 exec, exec, s[20:21]
.LBB110_10:                             ;   in Loop: Header=BB110_2 Depth=1
	s_or_b64 exec, exec, s[18:19]
	v_add_u32_e32 v71, v8, v69
	v_sub_u32_e32 v70, v61, v69
	ds_read_u8 v71, v71
	ds_read_u8 v72, v70
	v_cmp_ge_i32_e64 s[16:17], v69, v12
	v_cmp_gt_i32_e64 s[18:19], v11, v70
	s_waitcnt lgkmcnt(0)
	s_barrier
	v_cmp_lt_u16_sdwa s[20:21], v72, v71 src0_sel:BYTE_0 src1_sel:BYTE_0
	s_or_b64 s[16:17], s[16:17], s[20:21]
	s_and_b64 s[16:17], s[18:19], s[16:17]
	v_cndmask_b32_e64 v69, v71, v72, s[16:17]
	ds_write_b8 v0, v69
	v_mov_b32_e32 v69, v20
	s_waitcnt lgkmcnt(0)
	s_barrier
	s_and_saveexec_b64 s[18:19], s[2:3]
	s_cbranch_execz .LBB110_14
; %bb.11:                               ;   in Loop: Header=BB110_2 Depth=1
	s_mov_b64 s[20:21], 0
	v_mov_b32_e32 v69, v20
	v_mov_b32_e32 v70, v21
.LBB110_12:                             ;   Parent Loop BB110_2 Depth=1
                                        ; =>  This Inner Loop Header: Depth=2
	v_sub_u32_e32 v71, v70, v69
	v_lshrrev_b32_e32 v72, 31, v71
	v_add_u32_e32 v71, v71, v72
	v_ashrrev_i32_e32 v71, 1, v71
	v_add_u32_e32 v71, v71, v69
	v_not_b32_e32 v73, v71
	v_add_u32_e32 v72, v15, v71
	v_add3_u32 v73, v16, v73, v17
	ds_read_u8 v72, v72
	ds_read_u8 v73, v73
	v_add_u32_e32 v74, 1, v71
	s_waitcnt lgkmcnt(0)
	v_cmp_lt_u16_e64 s[16:17], v73, v72
	s_nop 1
	v_cndmask_b32_e64 v70, v70, v71, s[16:17]
	v_cndmask_b32_e64 v69, v74, v69, s[16:17]
	v_cmp_ge_i32_e64 s[16:17], v69, v70
	s_or_b64 s[20:21], s[16:17], s[20:21]
	s_andn2_b64 exec, exec, s[20:21]
	s_cbranch_execnz .LBB110_12
; %bb.13:                               ;   in Loop: Header=BB110_2 Depth=1
	s_or_b64 exec, exec, s[20:21]
.LBB110_14:                             ;   in Loop: Header=BB110_2 Depth=1
	s_or_b64 exec, exec, s[18:19]
	v_add_u32_e32 v71, v15, v69
	v_sub_u32_e32 v70, v62, v69
	ds_read_u8 v71, v71
	ds_read_u8 v72, v70
	v_cmp_ge_i32_e64 s[16:17], v69, v19
	v_cmp_gt_i32_e64 s[18:19], v18, v70
	s_waitcnt lgkmcnt(0)
	s_barrier
	v_cmp_lt_u16_sdwa s[20:21], v72, v71 src0_sel:BYTE_0 src1_sel:BYTE_0
	s_or_b64 s[16:17], s[16:17], s[20:21]
	s_and_b64 s[16:17], s[18:19], s[16:17]
	v_cndmask_b32_e64 v69, v71, v72, s[16:17]
	ds_write_b8 v0, v69
	v_mov_b32_e32 v69, v27
	s_waitcnt lgkmcnt(0)
	s_barrier
	s_and_saveexec_b64 s[18:19], s[4:5]
	s_cbranch_execz .LBB110_18
; %bb.15:                               ;   in Loop: Header=BB110_2 Depth=1
	s_mov_b64 s[20:21], 0
	v_mov_b32_e32 v69, v27
	v_mov_b32_e32 v70, v28
.LBB110_16:                             ;   Parent Loop BB110_2 Depth=1
                                        ; =>  This Inner Loop Header: Depth=2
	v_sub_u32_e32 v71, v70, v69
	v_lshrrev_b32_e32 v72, 31, v71
	v_add_u32_e32 v71, v71, v72
	v_ashrrev_i32_e32 v71, 1, v71
	v_add_u32_e32 v71, v71, v69
	v_not_b32_e32 v73, v71
	v_add_u32_e32 v72, v22, v71
	v_add3_u32 v73, v23, v73, v24
	ds_read_u8 v72, v72
	ds_read_u8 v73, v73
	v_add_u32_e32 v74, 1, v71
	s_waitcnt lgkmcnt(0)
	v_cmp_lt_u16_e64 s[16:17], v73, v72
	s_nop 1
	v_cndmask_b32_e64 v70, v70, v71, s[16:17]
	v_cndmask_b32_e64 v69, v74, v69, s[16:17]
	v_cmp_ge_i32_e64 s[16:17], v69, v70
	s_or_b64 s[20:21], s[16:17], s[20:21]
	s_andn2_b64 exec, exec, s[20:21]
	s_cbranch_execnz .LBB110_16
; %bb.17:                               ;   in Loop: Header=BB110_2 Depth=1
	s_or_b64 exec, exec, s[20:21]
.LBB110_18:                             ;   in Loop: Header=BB110_2 Depth=1
	;; [unrolled: 48-line block ×6, first 2 shown]
	s_or_b64 exec, exec, s[18:19]
	v_add_u32_e32 v71, v51, v69
	v_sub_u32_e32 v70, v67, v69
	ds_read_u8 v71, v71
	ds_read_u8 v72, v70
	v_cmp_ge_i32_e64 s[16:17], v69, v55
	v_cmp_gt_i32_e64 s[18:19], v54, v70
	s_waitcnt lgkmcnt(0)
	s_barrier
	v_cmp_lt_u16_sdwa s[20:21], v72, v71 src0_sel:BYTE_0 src1_sel:BYTE_0
	s_or_b64 s[16:17], s[16:17], s[20:21]
	s_and_b64 s[16:17], s[18:19], s[16:17]
	v_cndmask_b32_e64 v69, v71, v72, s[16:17]
	ds_write_b8 v0, v69
	v_mov_b32_e32 v69, v58
	s_waitcnt lgkmcnt(0)
	s_barrier
	s_and_saveexec_b64 s[18:19], s[14:15]
	s_cbranch_execz .LBB110_1
; %bb.35:                               ;   in Loop: Header=BB110_2 Depth=1
	s_mov_b64 s[20:21], 0
	v_mov_b32_e32 v69, v58
	v_mov_b32_e32 v70, v59
.LBB110_36:                             ;   Parent Loop BB110_2 Depth=1
                                        ; =>  This Inner Loop Header: Depth=2
	v_sub_u32_e32 v71, v70, v69
	v_lshrrev_b32_e32 v72, 31, v71
	v_add_u32_e32 v71, v71, v72
	v_ashrrev_i32_e32 v71, 1, v71
	v_add_u32_e32 v71, v71, v69
	v_not_b32_e32 v72, v71
	v_add3_u32 v72, v0, v72, v50
	ds_read_u8 v73, v71
	ds_read_u8 v72, v72
	v_add_u32_e32 v74, 1, v71
	s_waitcnt lgkmcnt(0)
	v_cmp_lt_u16_e64 s[16:17], v72, v73
	s_nop 1
	v_cndmask_b32_e64 v70, v70, v71, s[16:17]
	v_cndmask_b32_e64 v69, v74, v69, s[16:17]
	v_cmp_ge_i32_e64 s[16:17], v69, v70
	s_or_b64 s[20:21], s[16:17], s[20:21]
	s_andn2_b64 exec, exec, s[20:21]
	s_cbranch_execnz .LBB110_36
; %bb.37:                               ;   in Loop: Header=BB110_2 Depth=1
	s_or_b64 exec, exec, s[20:21]
	s_branch .LBB110_1
.LBB110_38:
	s_add_u32 s0, s22, s24
	s_addc_u32 s1, s23, 0
	v_lshl_add_u64 v[0:1], s[0:1], 0, v[0:1]
	global_store_byte v[0:1], v69, off
	s_endpgm
	.section	.rodata,"a",@progbits
	.p2align	6, 0x0
	.amdhsa_kernel _Z16sort_keys_kernelIhLj512ELj1EN10test_utils4lessELj10EEvPKT_PS2_T2_
		.amdhsa_group_segment_fixed_size 513
		.amdhsa_private_segment_fixed_size 0
		.amdhsa_kernarg_size 20
		.amdhsa_user_sgpr_count 2
		.amdhsa_user_sgpr_dispatch_ptr 0
		.amdhsa_user_sgpr_queue_ptr 0
		.amdhsa_user_sgpr_kernarg_segment_ptr 1
		.amdhsa_user_sgpr_dispatch_id 0
		.amdhsa_user_sgpr_kernarg_preload_length 0
		.amdhsa_user_sgpr_kernarg_preload_offset 0
		.amdhsa_user_sgpr_private_segment_size 0
		.amdhsa_uses_dynamic_stack 0
		.amdhsa_enable_private_segment 0
		.amdhsa_system_sgpr_workgroup_id_x 1
		.amdhsa_system_sgpr_workgroup_id_y 0
		.amdhsa_system_sgpr_workgroup_id_z 0
		.amdhsa_system_sgpr_workgroup_info 0
		.amdhsa_system_vgpr_workitem_id 0
		.amdhsa_next_free_vgpr 75
		.amdhsa_next_free_sgpr 27
		.amdhsa_accum_offset 76
		.amdhsa_reserve_vcc 1
		.amdhsa_float_round_mode_32 0
		.amdhsa_float_round_mode_16_64 0
		.amdhsa_float_denorm_mode_32 3
		.amdhsa_float_denorm_mode_16_64 3
		.amdhsa_dx10_clamp 1
		.amdhsa_ieee_mode 1
		.amdhsa_fp16_overflow 0
		.amdhsa_tg_split 0
		.amdhsa_exception_fp_ieee_invalid_op 0
		.amdhsa_exception_fp_denorm_src 0
		.amdhsa_exception_fp_ieee_div_zero 0
		.amdhsa_exception_fp_ieee_overflow 0
		.amdhsa_exception_fp_ieee_underflow 0
		.amdhsa_exception_fp_ieee_inexact 0
		.amdhsa_exception_int_div_zero 0
	.end_amdhsa_kernel
	.section	.text._Z16sort_keys_kernelIhLj512ELj1EN10test_utils4lessELj10EEvPKT_PS2_T2_,"axG",@progbits,_Z16sort_keys_kernelIhLj512ELj1EN10test_utils4lessELj10EEvPKT_PS2_T2_,comdat
.Lfunc_end110:
	.size	_Z16sort_keys_kernelIhLj512ELj1EN10test_utils4lessELj10EEvPKT_PS2_T2_, .Lfunc_end110-_Z16sort_keys_kernelIhLj512ELj1EN10test_utils4lessELj10EEvPKT_PS2_T2_
                                        ; -- End function
	.section	.AMDGPU.csdata,"",@progbits
; Kernel info:
; codeLenInByte = 2692
; NumSgprs: 33
; NumVgprs: 75
; NumAgprs: 0
; TotalNumVgprs: 75
; ScratchSize: 0
; MemoryBound: 0
; FloatMode: 240
; IeeeMode: 1
; LDSByteSize: 513 bytes/workgroup (compile time only)
; SGPRBlocks: 4
; VGPRBlocks: 9
; NumSGPRsForWavesPerEU: 33
; NumVGPRsForWavesPerEU: 75
; AccumOffset: 76
; Occupancy: 6
; WaveLimiterHint : 0
; COMPUTE_PGM_RSRC2:SCRATCH_EN: 0
; COMPUTE_PGM_RSRC2:USER_SGPR: 2
; COMPUTE_PGM_RSRC2:TRAP_HANDLER: 0
; COMPUTE_PGM_RSRC2:TGID_X_EN: 1
; COMPUTE_PGM_RSRC2:TGID_Y_EN: 0
; COMPUTE_PGM_RSRC2:TGID_Z_EN: 0
; COMPUTE_PGM_RSRC2:TIDIG_COMP_CNT: 0
; COMPUTE_PGM_RSRC3_GFX90A:ACCUM_OFFSET: 18
; COMPUTE_PGM_RSRC3_GFX90A:TG_SPLIT: 0
	.section	.text._Z17sort_pairs_kernelIhLj512ELj1EN10test_utils4lessELj10EEvPKT_PS2_T2_,"axG",@progbits,_Z17sort_pairs_kernelIhLj512ELj1EN10test_utils4lessELj10EEvPKT_PS2_T2_,comdat
	.protected	_Z17sort_pairs_kernelIhLj512ELj1EN10test_utils4lessELj10EEvPKT_PS2_T2_ ; -- Begin function _Z17sort_pairs_kernelIhLj512ELj1EN10test_utils4lessELj10EEvPKT_PS2_T2_
	.globl	_Z17sort_pairs_kernelIhLj512ELj1EN10test_utils4lessELj10EEvPKT_PS2_T2_
	.p2align	8
	.type	_Z17sort_pairs_kernelIhLj512ELj1EN10test_utils4lessELj10EEvPKT_PS2_T2_,@function
_Z17sort_pairs_kernelIhLj512ELj1EN10test_utils4lessELj10EEvPKT_PS2_T2_: ; @_Z17sort_pairs_kernelIhLj512ELj1EN10test_utils4lessELj10EEvPKT_PS2_T2_
; %bb.0:
	s_load_dwordx4 s[20:23], s[0:1], 0x0
	s_lshl_b32 s24, s2, 9
	v_and_b32_e32 v4, 0x1fc, v0
	v_and_b32_e32 v6, 0x1f8, v0
	v_or_b32_e32 v17, 2, v4
	s_waitcnt lgkmcnt(0)
	s_add_u32 s0, s20, s24
	s_addc_u32 s1, s21, 0
	global_load_ubyte v61, v0, s[0:1]
	v_add_u32_e32 v18, 4, v4
	v_and_b32_e32 v5, 3, v0
	v_and_b32_e32 v8, 0x1f0, v0
	v_or_b32_e32 v19, 4, v6
	v_add_u32_e32 v20, 8, v6
	v_sub_u32_e32 v42, v18, v17
	v_and_b32_e32 v7, 7, v0
	v_and_b32_e32 v10, 0x1e0, v0
	v_or_b32_e32 v21, 8, v8
	v_add_u32_e32 v22, 16, v8
	v_sub_u32_e32 v43, v20, v19
	v_sub_u32_e32 v49, v5, v42
	v_cmp_ge_i32_e64 s[0:1], v5, v42
	v_and_b32_e32 v9, 15, v0
	v_and_b32_e32 v12, 0x1c0, v0
	v_or_b32_e32 v23, 16, v10
	v_add_u32_e32 v24, 32, v10
	v_sub_u32_e32 v44, v22, v21
	v_sub_u32_e32 v50, v7, v43
	v_cndmask_b32_e64 v42, 0, v49, s[0:1]
	v_cmp_ge_i32_e64 s[0:1], v7, v43
	v_and_b32_e32 v11, 31, v0
	v_and_b32_e32 v14, 0x180, v0
	v_or_b32_e32 v25, 32, v12
	v_add_u32_e32 v26, 64, v12
	v_sub_u32_e32 v45, v24, v23
	v_sub_u32_e32 v51, v9, v44
	v_cndmask_b32_e64 v43, 0, v50, s[0:1]
	v_cmp_ge_i32_e64 s[0:1], v9, v44
	v_and_b32_e32 v13, 63, v0
	v_or_b32_e32 v27, 64, v14
	v_add_u32_e32 v28, 0x80, v14
	v_sub_u32_e32 v46, v26, v25
	v_sub_u32_e32 v52, v11, v45
	v_cndmask_b32_e64 v44, 0, v51, s[0:1]
	v_cmp_ge_i32_e64 s[0:1], v11, v45
	v_and_b32_e32 v15, 0x7f, v0
	v_sub_u32_e32 v47, v28, v27
	v_sub_u32_e32 v53, v13, v46
	v_cndmask_b32_e64 v45, 0, v52, s[0:1]
	v_cmp_ge_i32_e64 s[0:1], v13, v46
	v_and_b32_e32 v50, 0x100, v0
	v_and_b32_e32 v2, 0x1fe, v0
	v_sub_u32_e32 v54, v15, v47
	v_cndmask_b32_e64 v46, 0, v53, s[0:1]
	v_cmp_ge_i32_e64 s[10:11], v15, v47
	v_or_b32_e32 v52, 0x80, v50
	v_add_u32_e32 v53, 0x100, v50
	v_and_b32_e32 v3, 1, v0
	v_or_b32_e32 v16, 1, v2
	v_cndmask_b32_e64 v47, 0, v54, s[10:11]
	v_and_b32_e32 v51, 0xff, v0
	v_sub_u32_e32 v54, v53, v52
	v_add_u32_e32 v29, -1, v3
	v_sub_u32_e32 v36, v16, v2
	v_cmp_lt_i32_e32 vcc, 0, v3
	v_sub_u32_e32 v37, v17, v4
	v_sub_u32_e32 v38, v19, v6
	;; [unrolled: 1-line block ×6, first 2 shown]
	v_mov_b32_e32 v49, 0x100
	v_sub_u32_e32 v55, v52, v50
	v_sub_u32_e32 v56, v51, v54
	v_cmp_ge_i32_e64 s[12:13], v51, v54
	v_cndmask_b32_e32 v29, 0, v29, vcc
	v_min_i32_e32 v36, v3, v36
	v_min_i32_e32 v37, v5, v37
	;; [unrolled: 1-line block ×7, first 2 shown]
	v_cndmask_b32_e64 v54, 0, v56, s[12:13]
	v_min_i32_e32 v55, v51, v55
	v_sub_u32_e64 v56, v0, v49 clamp
	v_min_i32_e32 v57, 0x100, v0
	s_mov_b32 s25, 0
	v_mov_b32_e32 v1, 0
	v_add_u32_e32 v30, v16, v3
	v_add_u32_e32 v31, v17, v5
	;; [unrolled: 1-line block ×6, first 2 shown]
	v_cmp_lt_i32_e32 vcc, v29, v36
	v_cmp_lt_i32_e64 s[0:1], v42, v37
	v_cmp_lt_i32_e64 s[2:3], v43, v38
	v_cmp_lt_i32_e64 s[4:5], v44, v39
	v_cmp_lt_i32_e64 s[6:7], v45, v40
	v_cmp_lt_i32_e64 s[8:9], v46, v41
	s_waitcnt vmcnt(0)
	v_add_u16_e32 v62, 1, v61
	v_cmp_lt_i32_e64 s[10:11], v47, v48
	v_cmp_lt_i32_e64 s[12:13], v54, v55
	;; [unrolled: 1-line block ×3, first 2 shown]
	s_movk_i32 s26, 0x200
	v_add_u32_e32 v58, v27, v15
	v_add_u32_e32 v59, v52, v51
	;; [unrolled: 1-line block ×3, first 2 shown]
	s_branch .LBB111_2
.LBB111_1:                              ;   in Loop: Header=BB111_2 Depth=1
	s_or_b64 exec, exec, s[18:19]
	v_sub_u32_e32 v64, v60, v63
	ds_read_u8 v61, v63
	ds_read_u8 v65, v64
	v_cmp_le_i32_e64 s[16:17], v49, v63
	v_cmp_gt_i32_e64 s[18:19], s26, v64
	s_waitcnt lgkmcnt(0)
	s_barrier
	v_cmp_lt_u16_sdwa s[20:21], v65, v61 src0_sel:BYTE_0 src1_sel:BYTE_0
	s_or_b64 s[16:17], s[16:17], s[20:21]
	s_and_b64 s[16:17], s[18:19], s[16:17]
	v_cndmask_b32_e64 v63, v63, v64, s[16:17]
	ds_write_b8 v0, v62
	s_waitcnt lgkmcnt(0)
	s_barrier
	ds_read_u8 v62, v63
	s_add_i32 s25, s25, 1
	v_cndmask_b32_e64 v61, v61, v65, s[16:17]
	s_cmp_lg_u32 s25, 10
	s_cbranch_scc0 .LBB111_38
.LBB111_2:                              ; =>This Loop Header: Depth=1
                                        ;     Child Loop BB111_4 Depth 2
                                        ;     Child Loop BB111_8 Depth 2
	;; [unrolled: 1-line block ×9, first 2 shown]
	s_barrier
	ds_write_b8 v0, v61
	v_mov_b32_e32 v61, v29
	s_waitcnt lgkmcnt(0)
	s_barrier
	s_and_saveexec_b64 s[18:19], vcc
	s_cbranch_execz .LBB111_6
; %bb.3:                                ;   in Loop: Header=BB111_2 Depth=1
	s_mov_b64 s[20:21], 0
	v_mov_b32_e32 v61, v29
	v_mov_b32_e32 v63, v36
.LBB111_4:                              ;   Parent Loop BB111_2 Depth=1
                                        ; =>  This Inner Loop Header: Depth=2
	v_sub_u32_e32 v64, v63, v61
	v_lshrrev_b32_e32 v65, 31, v64
	v_add_u32_e32 v64, v64, v65
	v_ashrrev_i32_e32 v64, 1, v64
	v_add_u32_e32 v64, v64, v61
	v_not_b32_e32 v66, v64
	v_add_u32_e32 v65, v2, v64
	v_add3_u32 v66, v3, v66, v16
	ds_read_u8 v65, v65
	ds_read_u8 v66, v66
	v_add_u32_e32 v67, 1, v64
	s_waitcnt lgkmcnt(0)
	v_cmp_lt_u16_e64 s[16:17], v66, v65
	s_nop 1
	v_cndmask_b32_e64 v63, v63, v64, s[16:17]
	v_cndmask_b32_e64 v61, v67, v61, s[16:17]
	v_cmp_ge_i32_e64 s[16:17], v61, v63
	s_or_b64 s[20:21], s[16:17], s[20:21]
	s_andn2_b64 exec, exec, s[20:21]
	s_cbranch_execnz .LBB111_4
; %bb.5:                                ;   in Loop: Header=BB111_2 Depth=1
	s_or_b64 exec, exec, s[20:21]
.LBB111_6:                              ;   in Loop: Header=BB111_2 Depth=1
	s_or_b64 exec, exec, s[18:19]
	v_add_u32_e32 v63, v61, v2
	v_sub_u32_e32 v61, v30, v61
	ds_read_u8 v64, v63
	ds_read_u8 v65, v61
	v_cmp_le_i32_e64 s[18:19], v16, v63
	v_cmp_ge_i32_e64 s[16:17], v16, v61
	s_waitcnt lgkmcnt(0)
	s_barrier
	v_cmp_lt_u16_sdwa s[20:21], v65, v64 src0_sel:BYTE_0 src1_sel:BYTE_0
	s_or_b64 s[18:19], s[18:19], s[20:21]
	s_and_b64 s[16:17], s[16:17], s[18:19]
	v_cndmask_b32_e64 v61, v63, v61, s[16:17]
	ds_write_b8 v0, v62
	s_waitcnt lgkmcnt(0)
	s_barrier
	ds_read_u8 v61, v61
	v_cndmask_b32_e64 v64, v64, v65, s[16:17]
	v_mov_b32_e32 v62, v42
	s_waitcnt lgkmcnt(0)
	s_barrier
	ds_write_b8 v0, v64
	s_waitcnt lgkmcnt(0)
	s_barrier
	s_and_saveexec_b64 s[18:19], s[0:1]
	s_cbranch_execz .LBB111_10
; %bb.7:                                ;   in Loop: Header=BB111_2 Depth=1
	s_mov_b64 s[20:21], 0
	v_mov_b32_e32 v62, v42
	v_mov_b32_e32 v63, v37
.LBB111_8:                              ;   Parent Loop BB111_2 Depth=1
                                        ; =>  This Inner Loop Header: Depth=2
	v_sub_u32_e32 v64, v63, v62
	v_lshrrev_b32_e32 v65, 31, v64
	v_add_u32_e32 v64, v64, v65
	v_ashrrev_i32_e32 v64, 1, v64
	v_add_u32_e32 v64, v64, v62
	v_not_b32_e32 v66, v64
	v_add_u32_e32 v65, v4, v64
	v_add3_u32 v66, v5, v66, v17
	ds_read_u8 v65, v65
	ds_read_u8 v66, v66
	v_add_u32_e32 v67, 1, v64
	s_waitcnt lgkmcnt(0)
	v_cmp_lt_u16_e64 s[16:17], v66, v65
	s_nop 1
	v_cndmask_b32_e64 v63, v63, v64, s[16:17]
	v_cndmask_b32_e64 v62, v67, v62, s[16:17]
	v_cmp_ge_i32_e64 s[16:17], v62, v63
	s_or_b64 s[20:21], s[16:17], s[20:21]
	s_andn2_b64 exec, exec, s[20:21]
	s_cbranch_execnz .LBB111_8
; %bb.9:                                ;   in Loop: Header=BB111_2 Depth=1
	s_or_b64 exec, exec, s[20:21]
.LBB111_10:                             ;   in Loop: Header=BB111_2 Depth=1
	s_or_b64 exec, exec, s[18:19]
	v_add_u32_e32 v63, v62, v4
	v_sub_u32_e32 v62, v31, v62
	ds_read_u8 v64, v63
	ds_read_u8 v65, v62
	v_cmp_le_i32_e64 s[18:19], v17, v63
	v_cmp_gt_i32_e64 s[16:17], v18, v62
	s_waitcnt lgkmcnt(0)
	s_barrier
	v_cmp_lt_u16_sdwa s[20:21], v65, v64 src0_sel:BYTE_0 src1_sel:BYTE_0
	s_or_b64 s[18:19], s[18:19], s[20:21]
	s_and_b64 s[16:17], s[16:17], s[18:19]
	v_cndmask_b32_e64 v62, v63, v62, s[16:17]
	ds_write_b8 v0, v61
	s_waitcnt lgkmcnt(0)
	s_barrier
	ds_read_u8 v61, v62
	v_cndmask_b32_e64 v64, v64, v65, s[16:17]
	v_mov_b32_e32 v62, v43
	s_waitcnt lgkmcnt(0)
	s_barrier
	ds_write_b8 v0, v64
	s_waitcnt lgkmcnt(0)
	s_barrier
	s_and_saveexec_b64 s[18:19], s[2:3]
	s_cbranch_execz .LBB111_14
; %bb.11:                               ;   in Loop: Header=BB111_2 Depth=1
	s_mov_b64 s[20:21], 0
	v_mov_b32_e32 v62, v43
	v_mov_b32_e32 v63, v38
.LBB111_12:                             ;   Parent Loop BB111_2 Depth=1
                                        ; =>  This Inner Loop Header: Depth=2
	v_sub_u32_e32 v64, v63, v62
	v_lshrrev_b32_e32 v65, 31, v64
	v_add_u32_e32 v64, v64, v65
	v_ashrrev_i32_e32 v64, 1, v64
	v_add_u32_e32 v64, v64, v62
	v_not_b32_e32 v66, v64
	v_add_u32_e32 v65, v6, v64
	v_add3_u32 v66, v7, v66, v19
	ds_read_u8 v65, v65
	ds_read_u8 v66, v66
	v_add_u32_e32 v67, 1, v64
	s_waitcnt lgkmcnt(0)
	v_cmp_lt_u16_e64 s[16:17], v66, v65
	s_nop 1
	v_cndmask_b32_e64 v63, v63, v64, s[16:17]
	v_cndmask_b32_e64 v62, v67, v62, s[16:17]
	v_cmp_ge_i32_e64 s[16:17], v62, v63
	s_or_b64 s[20:21], s[16:17], s[20:21]
	s_andn2_b64 exec, exec, s[20:21]
	s_cbranch_execnz .LBB111_12
; %bb.13:                               ;   in Loop: Header=BB111_2 Depth=1
	s_or_b64 exec, exec, s[20:21]
.LBB111_14:                             ;   in Loop: Header=BB111_2 Depth=1
	s_or_b64 exec, exec, s[18:19]
	v_add_u32_e32 v63, v62, v6
	v_sub_u32_e32 v62, v32, v62
	ds_read_u8 v64, v63
	ds_read_u8 v65, v62
	v_cmp_le_i32_e64 s[18:19], v19, v63
	v_cmp_gt_i32_e64 s[16:17], v20, v62
	s_waitcnt lgkmcnt(0)
	s_barrier
	v_cmp_lt_u16_sdwa s[20:21], v65, v64 src0_sel:BYTE_0 src1_sel:BYTE_0
	s_or_b64 s[18:19], s[18:19], s[20:21]
	s_and_b64 s[16:17], s[16:17], s[18:19]
	v_cndmask_b32_e64 v62, v63, v62, s[16:17]
	ds_write_b8 v0, v61
	s_waitcnt lgkmcnt(0)
	s_barrier
	ds_read_u8 v61, v62
	v_cndmask_b32_e64 v64, v64, v65, s[16:17]
	v_mov_b32_e32 v62, v44
	s_waitcnt lgkmcnt(0)
	s_barrier
	ds_write_b8 v0, v64
	s_waitcnt lgkmcnt(0)
	s_barrier
	s_and_saveexec_b64 s[18:19], s[4:5]
	s_cbranch_execz .LBB111_18
; %bb.15:                               ;   in Loop: Header=BB111_2 Depth=1
	s_mov_b64 s[20:21], 0
	v_mov_b32_e32 v62, v44
	v_mov_b32_e32 v63, v39
.LBB111_16:                             ;   Parent Loop BB111_2 Depth=1
                                        ; =>  This Inner Loop Header: Depth=2
	v_sub_u32_e32 v64, v63, v62
	v_lshrrev_b32_e32 v65, 31, v64
	v_add_u32_e32 v64, v64, v65
	v_ashrrev_i32_e32 v64, 1, v64
	v_add_u32_e32 v64, v64, v62
	v_not_b32_e32 v66, v64
	v_add_u32_e32 v65, v8, v64
	v_add3_u32 v66, v9, v66, v21
	ds_read_u8 v65, v65
	ds_read_u8 v66, v66
	v_add_u32_e32 v67, 1, v64
	s_waitcnt lgkmcnt(0)
	v_cmp_lt_u16_e64 s[16:17], v66, v65
	s_nop 1
	v_cndmask_b32_e64 v63, v63, v64, s[16:17]
	v_cndmask_b32_e64 v62, v67, v62, s[16:17]
	v_cmp_ge_i32_e64 s[16:17], v62, v63
	s_or_b64 s[20:21], s[16:17], s[20:21]
	s_andn2_b64 exec, exec, s[20:21]
	s_cbranch_execnz .LBB111_16
; %bb.17:                               ;   in Loop: Header=BB111_2 Depth=1
	s_or_b64 exec, exec, s[20:21]
.LBB111_18:                             ;   in Loop: Header=BB111_2 Depth=1
	;; [unrolled: 55-line block ×6, first 2 shown]
	s_or_b64 exec, exec, s[18:19]
	v_add_u32_e32 v63, v62, v50
	v_sub_u32_e32 v62, v59, v62
	ds_read_u8 v64, v63
	ds_read_u8 v65, v62
	v_cmp_le_i32_e64 s[18:19], v52, v63
	v_cmp_gt_i32_e64 s[16:17], v53, v62
	s_waitcnt lgkmcnt(0)
	s_barrier
	v_cmp_lt_u16_sdwa s[20:21], v65, v64 src0_sel:BYTE_0 src1_sel:BYTE_0
	s_or_b64 s[18:19], s[18:19], s[20:21]
	s_and_b64 s[16:17], s[16:17], s[18:19]
	v_cndmask_b32_e64 v62, v63, v62, s[16:17]
	ds_write_b8 v0, v61
	s_waitcnt lgkmcnt(0)
	s_barrier
	ds_read_u8 v62, v62
	v_cndmask_b32_e64 v64, v64, v65, s[16:17]
	v_mov_b32_e32 v63, v56
	s_waitcnt lgkmcnt(0)
	s_barrier
	ds_write_b8 v0, v64
	s_waitcnt lgkmcnt(0)
	s_barrier
	s_and_saveexec_b64 s[18:19], s[14:15]
	s_cbranch_execz .LBB111_1
; %bb.35:                               ;   in Loop: Header=BB111_2 Depth=1
	s_mov_b64 s[20:21], 0
	v_mov_b32_e32 v63, v56
	v_mov_b32_e32 v61, v57
.LBB111_36:                             ;   Parent Loop BB111_2 Depth=1
                                        ; =>  This Inner Loop Header: Depth=2
	v_sub_u32_e32 v64, v61, v63
	v_lshrrev_b32_e32 v65, 31, v64
	v_add_u32_e32 v64, v64, v65
	v_ashrrev_i32_e32 v64, 1, v64
	v_add_u32_e32 v64, v64, v63
	v_not_b32_e32 v65, v64
	v_add3_u32 v65, v0, v65, v49
	ds_read_u8 v66, v64
	ds_read_u8 v65, v65
	v_add_u32_e32 v67, 1, v64
	s_waitcnt lgkmcnt(0)
	v_cmp_lt_u16_e64 s[16:17], v65, v66
	s_nop 1
	v_cndmask_b32_e64 v61, v61, v64, s[16:17]
	v_cndmask_b32_e64 v63, v67, v63, s[16:17]
	v_cmp_ge_i32_e64 s[16:17], v63, v61
	s_or_b64 s[20:21], s[16:17], s[20:21]
	s_andn2_b64 exec, exec, s[20:21]
	s_cbranch_execnz .LBB111_36
; %bb.37:                               ;   in Loop: Header=BB111_2 Depth=1
	s_or_b64 exec, exec, s[20:21]
	s_branch .LBB111_1
.LBB111_38:
	s_add_u32 s0, s22, s24
	s_addc_u32 s1, s23, 0
	s_waitcnt lgkmcnt(0)
	v_add_u16_e32 v2, v61, v62
	v_lshl_add_u64 v[0:1], s[0:1], 0, v[0:1]
	global_store_byte v[0:1], v2, off
	s_endpgm
	.section	.rodata,"a",@progbits
	.p2align	6, 0x0
	.amdhsa_kernel _Z17sort_pairs_kernelIhLj512ELj1EN10test_utils4lessELj10EEvPKT_PS2_T2_
		.amdhsa_group_segment_fixed_size 513
		.amdhsa_private_segment_fixed_size 0
		.amdhsa_kernarg_size 20
		.amdhsa_user_sgpr_count 2
		.amdhsa_user_sgpr_dispatch_ptr 0
		.amdhsa_user_sgpr_queue_ptr 0
		.amdhsa_user_sgpr_kernarg_segment_ptr 1
		.amdhsa_user_sgpr_dispatch_id 0
		.amdhsa_user_sgpr_kernarg_preload_length 0
		.amdhsa_user_sgpr_kernarg_preload_offset 0
		.amdhsa_user_sgpr_private_segment_size 0
		.amdhsa_uses_dynamic_stack 0
		.amdhsa_enable_private_segment 0
		.amdhsa_system_sgpr_workgroup_id_x 1
		.amdhsa_system_sgpr_workgroup_id_y 0
		.amdhsa_system_sgpr_workgroup_id_z 0
		.amdhsa_system_sgpr_workgroup_info 0
		.amdhsa_system_vgpr_workitem_id 0
		.amdhsa_next_free_vgpr 68
		.amdhsa_next_free_sgpr 27
		.amdhsa_accum_offset 68
		.amdhsa_reserve_vcc 1
		.amdhsa_float_round_mode_32 0
		.amdhsa_float_round_mode_16_64 0
		.amdhsa_float_denorm_mode_32 3
		.amdhsa_float_denorm_mode_16_64 3
		.amdhsa_dx10_clamp 1
		.amdhsa_ieee_mode 1
		.amdhsa_fp16_overflow 0
		.amdhsa_tg_split 0
		.amdhsa_exception_fp_ieee_invalid_op 0
		.amdhsa_exception_fp_denorm_src 0
		.amdhsa_exception_fp_ieee_div_zero 0
		.amdhsa_exception_fp_ieee_overflow 0
		.amdhsa_exception_fp_ieee_underflow 0
		.amdhsa_exception_fp_ieee_inexact 0
		.amdhsa_exception_int_div_zero 0
	.end_amdhsa_kernel
	.section	.text._Z17sort_pairs_kernelIhLj512ELj1EN10test_utils4lessELj10EEvPKT_PS2_T2_,"axG",@progbits,_Z17sort_pairs_kernelIhLj512ELj1EN10test_utils4lessELj10EEvPKT_PS2_T2_,comdat
.Lfunc_end111:
	.size	_Z17sort_pairs_kernelIhLj512ELj1EN10test_utils4lessELj10EEvPKT_PS2_T2_, .Lfunc_end111-_Z17sort_pairs_kernelIhLj512ELj1EN10test_utils4lessELj10EEvPKT_PS2_T2_
                                        ; -- End function
	.section	.AMDGPU.csdata,"",@progbits
; Kernel info:
; codeLenInByte = 3060
; NumSgprs: 33
; NumVgprs: 68
; NumAgprs: 0
; TotalNumVgprs: 68
; ScratchSize: 0
; MemoryBound: 0
; FloatMode: 240
; IeeeMode: 1
; LDSByteSize: 513 bytes/workgroup (compile time only)
; SGPRBlocks: 4
; VGPRBlocks: 8
; NumSGPRsForWavesPerEU: 33
; NumVGPRsForWavesPerEU: 68
; AccumOffset: 68
; Occupancy: 7
; WaveLimiterHint : 0
; COMPUTE_PGM_RSRC2:SCRATCH_EN: 0
; COMPUTE_PGM_RSRC2:USER_SGPR: 2
; COMPUTE_PGM_RSRC2:TRAP_HANDLER: 0
; COMPUTE_PGM_RSRC2:TGID_X_EN: 1
; COMPUTE_PGM_RSRC2:TGID_Y_EN: 0
; COMPUTE_PGM_RSRC2:TGID_Z_EN: 0
; COMPUTE_PGM_RSRC2:TIDIG_COMP_CNT: 0
; COMPUTE_PGM_RSRC3_GFX90A:ACCUM_OFFSET: 16
; COMPUTE_PGM_RSRC3_GFX90A:TG_SPLIT: 0
	.section	.text._Z16sort_keys_kernelIhLj512ELj2EN10test_utils4lessELj10EEvPKT_PS2_T2_,"axG",@progbits,_Z16sort_keys_kernelIhLj512ELj2EN10test_utils4lessELj10EEvPKT_PS2_T2_,comdat
	.protected	_Z16sort_keys_kernelIhLj512ELj2EN10test_utils4lessELj10EEvPKT_PS2_T2_ ; -- Begin function _Z16sort_keys_kernelIhLj512ELj2EN10test_utils4lessELj10EEvPKT_PS2_T2_
	.globl	_Z16sort_keys_kernelIhLj512ELj2EN10test_utils4lessELj10EEvPKT_PS2_T2_
	.p2align	8
	.type	_Z16sort_keys_kernelIhLj512ELj2EN10test_utils4lessELj10EEvPKT_PS2_T2_,@function
_Z16sort_keys_kernelIhLj512ELj2EN10test_utils4lessELj10EEvPKT_PS2_T2_: ; @_Z16sort_keys_kernelIhLj512ELj2EN10test_utils4lessELj10EEvPKT_PS2_T2_
; %bb.0:
	s_load_dwordx4 s[20:23], s[0:1], 0x0
	s_lshl_b32 s24, s2, 10
	v_lshlrev_b32_e32 v2, 1, v0
	v_and_b32_e32 v3, 0x3fc, v2
	v_and_b32_e32 v5, 0x3f8, v2
	s_waitcnt lgkmcnt(0)
	s_add_u32 s0, s20, s24
	s_addc_u32 s1, s21, 0
	global_load_ubyte v48, v0, s[0:1]
	global_load_ubyte v49, v0, s[0:1] offset:512
	v_or_b32_e32 v17, 2, v3
	v_add_u32_e32 v18, 4, v3
	v_and_b32_e32 v4, 2, v2
	v_and_b32_e32 v7, 0x3f0, v2
	v_or_b32_e32 v19, 4, v5
	v_add_u32_e32 v20, 8, v5
	v_sub_u32_e32 v42, v18, v17
	v_and_b32_e32 v6, 6, v2
	v_and_b32_e32 v9, 0x3e0, v2
	v_or_b32_e32 v21, 8, v7
	v_add_u32_e32 v22, 16, v7
	v_sub_u32_e32 v43, v20, v19
	v_sub_u32_e32 v51, v4, v42
	v_cmp_ge_i32_e32 vcc, v4, v42
	v_and_b32_e32 v8, 14, v2
	v_and_b32_e32 v11, 0x3c0, v2
	v_or_b32_e32 v23, 16, v9
	v_add_u32_e32 v24, 32, v9
	v_sub_u32_e32 v44, v22, v21
	v_sub_u32_e32 v52, v6, v43
	v_cndmask_b32_e32 v42, 0, v51, vcc
	v_cmp_ge_i32_e32 vcc, v6, v43
	v_and_b32_e32 v10, 30, v2
	v_and_b32_e32 v13, 0x380, v2
	;; [unrolled: 1-line block ×3, first 2 shown]
	v_or_b32_e32 v25, 32, v11
	v_add_u32_e32 v26, 64, v11
	v_sub_u32_e32 v45, v24, v23
	v_sub_u32_e32 v53, v8, v44
	v_cndmask_b32_e32 v43, 0, v52, vcc
	v_cmp_ge_i32_e32 vcc, v8, v44
	v_and_b32_e32 v12, 62, v2
	v_or_b32_e32 v27, 64, v13
	v_add_u32_e32 v28, 0x80, v13
	v_or_b32_e32 v29, 0x80, v15
	v_add_u32_e32 v30, 0x100, v15
	v_sub_u32_e32 v46, v26, v25
	v_sub_u32_e32 v54, v10, v45
	v_cndmask_b32_e32 v44, 0, v53, vcc
	v_cmp_ge_i32_e32 vcc, v10, v45
	v_and_b32_e32 v51, 0x200, v2
	v_and_b32_e32 v14, 0x7e, v2
	;; [unrolled: 1-line block ×3, first 2 shown]
	v_sub_u32_e32 v47, v28, v27
	v_sub_u32_e32 v55, v12, v46
	v_cndmask_b32_e32 v45, 0, v54, vcc
	v_cmp_ge_i32_e32 vcc, v12, v46
	v_or_b32_e32 v53, 0x100, v51
	v_add_u32_e32 v54, 0x200, v51
	v_sub_u32_e32 v50, v29, v15
	v_sub_u32_e32 v56, v14, v47
	v_cndmask_b32_e32 v46, 0, v55, vcc
	v_cmp_ge_i32_e32 vcc, v14, v47
	v_and_b32_e32 v52, 0x1fe, v2
	v_sub_u32_e32 v55, v54, v53
	v_sub_u32_e32 v36, v17, v3
	;; [unrolled: 1-line block ×7, first 2 shown]
	v_cndmask_b32_e32 v47, 0, v56, vcc
	v_sub_u32_e32 v56, v53, v51
	v_sub_u32_e32 v57, v52, v55
	v_cmp_ge_i32_e64 s[12:13], v52, v55
	v_min_i32_e32 v36, v4, v36
	v_min_i32_e32 v37, v6, v37
	;; [unrolled: 1-line block ×6, first 2 shown]
	v_cndmask_b32_e64 v55, 0, v57, s[12:13]
	v_min_i32_e32 v56, v52, v56
	v_min_i32_e32 v58, 0x200, v2
	s_mov_b32 s25, 0
	v_mov_b32_e32 v1, 0
	v_add_u32_e32 v31, v17, v4
	v_add_u32_e32 v32, v19, v6
	v_add_u32_e32 v33, v21, v8
	s_waitcnt vmcnt(0)
	v_lshlrev_b16_e32 v49, 8, v49
	v_or_b32_e32 v48, v48, v49
	v_and_b32_e32 v63, 0xffff, v48
	v_sub_u32_e32 v48, v30, v29
	v_sub_u32_e32 v49, v16, v48
	v_cmp_ge_i32_e64 s[10:11], v16, v48
	v_add_u32_e32 v34, v23, v10
	v_add_u32_e32 v35, v25, v12
	v_cndmask_b32_e64 v48, 0, v49, s[10:11]
	v_min_i32_e32 v49, v16, v50
	v_mov_b32_e32 v50, 0x200
	v_sub_u32_e64 v57, v2, v50 clamp
	v_cmp_lt_i32_e32 vcc, v42, v36
	v_cmp_lt_i32_e64 s[0:1], v43, v37
	v_cmp_lt_i32_e64 s[2:3], v44, v38
	;; [unrolled: 1-line block ×8, first 2 shown]
	s_mov_b32 s26, 0xc0c0001
	s_movk_i32 s27, 0x400
	v_add_u32_e32 v59, v27, v14
	v_add_u32_e32 v60, v29, v16
	;; [unrolled: 1-line block ×4, first 2 shown]
	s_branch .LBB112_2
.LBB112_1:                              ;   in Loop: Header=BB112_2 Depth=1
	s_or_b64 exec, exec, s[18:19]
	v_cmp_ge_i32_e64 s[18:19], v69, v50
	s_waitcnt lgkmcnt(0)
	v_cmp_lt_u16_sdwa s[20:21], v67, v68 src0_sel:BYTE_0 src1_sel:BYTE_0
	v_cndmask_b32_e64 v64, v64, v66, s[16:17]
	v_cmp_gt_i32_e64 s[16:17], s27, v65
	s_or_b64 s[18:19], s[18:19], s[20:21]
	s_and_b64 s[16:17], s[16:17], s[18:19]
	v_cndmask_b32_e64 v65, v68, v67, s[16:17]
	v_lshlrev_b16_e32 v63, 8, v65
	v_or_b32_sdwa v63, v64, v63 dst_sel:DWORD dst_unused:UNUSED_PAD src0_sel:BYTE_0 src1_sel:DWORD
	s_add_i32 s25, s25, 1
	s_cmp_eq_u32 s25, 10
	v_and_b32_e32 v63, 0xffff, v63
	s_cbranch_scc1 .LBB112_74
.LBB112_2:                              ; =>This Loop Header: Depth=1
                                        ;     Child Loop BB112_4 Depth 2
                                        ;     Child Loop BB112_12 Depth 2
	;; [unrolled: 1-line block ×9, first 2 shown]
	v_perm_b32 v64, 0, v63, s26
	v_cmp_lt_u16_sdwa s[16:17], v63, v63 src0_sel:BYTE_1 src1_sel:BYTE_0
	s_barrier
	s_nop 0
	v_cndmask_b32_e64 v63, v63, v64, s[16:17]
	ds_write_b8 v2, v63
	v_lshrrev_b16_e32 v63, 8, v63
	v_mov_b32_e32 v64, v42
	ds_write_b8 v2, v63 offset:1
	s_waitcnt lgkmcnt(0)
	s_barrier
	s_and_saveexec_b64 s[18:19], vcc
	s_cbranch_execz .LBB112_6
; %bb.3:                                ;   in Loop: Header=BB112_2 Depth=1
	s_mov_b64 s[20:21], 0
	v_mov_b32_e32 v64, v42
	v_mov_b32_e32 v63, v36
.LBB112_4:                              ;   Parent Loop BB112_2 Depth=1
                                        ; =>  This Inner Loop Header: Depth=2
	v_sub_u32_e32 v65, v63, v64
	v_lshrrev_b32_e32 v66, 31, v65
	v_add_u32_e32 v65, v65, v66
	v_ashrrev_i32_e32 v65, 1, v65
	v_add_u32_e32 v65, v65, v64
	v_not_b32_e32 v67, v65
	v_add_u32_e32 v66, v3, v65
	v_add3_u32 v67, v4, v67, v17
	ds_read_u8 v66, v66
	ds_read_u8 v67, v67
	v_add_u32_e32 v68, 1, v65
	s_waitcnt lgkmcnt(0)
	v_cmp_lt_u16_e64 s[16:17], v67, v66
	s_nop 1
	v_cndmask_b32_e64 v63, v63, v65, s[16:17]
	v_cndmask_b32_e64 v64, v68, v64, s[16:17]
	v_cmp_ge_i32_e64 s[16:17], v64, v63
	s_or_b64 s[20:21], s[16:17], s[20:21]
	s_andn2_b64 exec, exec, s[20:21]
	s_cbranch_execnz .LBB112_4
; %bb.5:                                ;   in Loop: Header=BB112_2 Depth=1
	s_or_b64 exec, exec, s[20:21]
.LBB112_6:                              ;   in Loop: Header=BB112_2 Depth=1
	s_or_b64 exec, exec, s[18:19]
	v_add_u32_e32 v63, v64, v3
	v_sub_u32_e32 v64, v31, v64
	ds_read_u8 v65, v63
	ds_read_u8 v66, v64
	v_cmp_le_i32_e64 s[18:19], v17, v63
	v_cmp_gt_i32_e64 s[16:17], v18, v64
                                        ; implicit-def: $vgpr67
                                        ; implicit-def: $vgpr68
	s_waitcnt lgkmcnt(0)
	v_cmp_lt_u16_sdwa s[20:21], v66, v65 src0_sel:BYTE_0 src1_sel:BYTE_0
	s_or_b64 s[18:19], s[18:19], s[20:21]
	s_and_b64 s[16:17], s[16:17], s[18:19]
	s_xor_b64 s[18:19], s[16:17], -1
	s_and_saveexec_b64 s[20:21], s[18:19]
	s_xor_b64 s[18:19], exec, s[20:21]
	s_cbranch_execz .LBB112_8
; %bb.7:                                ;   in Loop: Header=BB112_2 Depth=1
	ds_read_u8 v68, v63 offset:1
	v_mov_b32_e32 v67, v66
.LBB112_8:                              ;   in Loop: Header=BB112_2 Depth=1
	s_andn2_saveexec_b64 s[18:19], s[18:19]
	s_cbranch_execz .LBB112_10
; %bb.9:                                ;   in Loop: Header=BB112_2 Depth=1
	ds_read_u8 v67, v64 offset:1
	s_waitcnt lgkmcnt(1)
	v_mov_b32_e32 v68, v65
.LBB112_10:                             ;   in Loop: Header=BB112_2 Depth=1
	s_or_b64 exec, exec, s[18:19]
	v_add_u32_e32 v69, 1, v63
	v_cndmask_b32_e64 v65, v65, v66, s[16:17]
	v_add_u32_e32 v66, 1, v64
	v_cndmask_b32_e64 v63, v69, v63, s[16:17]
	v_cndmask_b32_e64 v64, v64, v66, s[16:17]
	v_cmp_ge_i32_e64 s[18:19], v63, v17
	s_waitcnt lgkmcnt(0)
	v_cmp_lt_u16_sdwa s[20:21], v67, v68 src0_sel:BYTE_0 src1_sel:BYTE_0
	v_cmp_lt_i32_e64 s[16:17], v64, v18
	s_or_b64 s[18:19], s[18:19], s[20:21]
	s_and_b64 s[16:17], s[16:17], s[18:19]
	v_cndmask_b32_e64 v63, v68, v67, s[16:17]
	s_barrier
	ds_write_b8 v2, v65
	ds_write_b8 v2, v63 offset:1
	v_mov_b32_e32 v63, v43
	s_waitcnt lgkmcnt(0)
	s_barrier
	s_and_saveexec_b64 s[18:19], s[0:1]
	s_cbranch_execz .LBB112_14
; %bb.11:                               ;   in Loop: Header=BB112_2 Depth=1
	s_mov_b64 s[20:21], 0
	v_mov_b32_e32 v63, v43
	v_mov_b32_e32 v64, v37
.LBB112_12:                             ;   Parent Loop BB112_2 Depth=1
                                        ; =>  This Inner Loop Header: Depth=2
	v_sub_u32_e32 v65, v64, v63
	v_lshrrev_b32_e32 v66, 31, v65
	v_add_u32_e32 v65, v65, v66
	v_ashrrev_i32_e32 v65, 1, v65
	v_add_u32_e32 v65, v65, v63
	v_not_b32_e32 v67, v65
	v_add_u32_e32 v66, v5, v65
	v_add3_u32 v67, v6, v67, v19
	ds_read_u8 v66, v66
	ds_read_u8 v67, v67
	v_add_u32_e32 v68, 1, v65
	s_waitcnt lgkmcnt(0)
	v_cmp_lt_u16_e64 s[16:17], v67, v66
	s_nop 1
	v_cndmask_b32_e64 v64, v64, v65, s[16:17]
	v_cndmask_b32_e64 v63, v68, v63, s[16:17]
	v_cmp_ge_i32_e64 s[16:17], v63, v64
	s_or_b64 s[20:21], s[16:17], s[20:21]
	s_andn2_b64 exec, exec, s[20:21]
	s_cbranch_execnz .LBB112_12
; %bb.13:                               ;   in Loop: Header=BB112_2 Depth=1
	s_or_b64 exec, exec, s[20:21]
.LBB112_14:                             ;   in Loop: Header=BB112_2 Depth=1
	s_or_b64 exec, exec, s[18:19]
	v_add_u32_e32 v64, v63, v5
	v_sub_u32_e32 v63, v32, v63
	ds_read_u8 v65, v64
	ds_read_u8 v66, v63
	v_cmp_le_i32_e64 s[18:19], v19, v64
	v_cmp_gt_i32_e64 s[16:17], v20, v63
                                        ; implicit-def: $vgpr67
                                        ; implicit-def: $vgpr68
	s_waitcnt lgkmcnt(0)
	v_cmp_lt_u16_sdwa s[20:21], v66, v65 src0_sel:BYTE_0 src1_sel:BYTE_0
	s_or_b64 s[18:19], s[18:19], s[20:21]
	s_and_b64 s[16:17], s[16:17], s[18:19]
	s_xor_b64 s[18:19], s[16:17], -1
	s_and_saveexec_b64 s[20:21], s[18:19]
	s_xor_b64 s[18:19], exec, s[20:21]
	s_cbranch_execz .LBB112_16
; %bb.15:                               ;   in Loop: Header=BB112_2 Depth=1
	ds_read_u8 v68, v64 offset:1
	v_mov_b32_e32 v67, v66
.LBB112_16:                             ;   in Loop: Header=BB112_2 Depth=1
	s_andn2_saveexec_b64 s[18:19], s[18:19]
	s_cbranch_execz .LBB112_18
; %bb.17:                               ;   in Loop: Header=BB112_2 Depth=1
	ds_read_u8 v67, v63 offset:1
	s_waitcnt lgkmcnt(1)
	v_mov_b32_e32 v68, v65
.LBB112_18:                             ;   in Loop: Header=BB112_2 Depth=1
	s_or_b64 exec, exec, s[18:19]
	v_add_u32_e32 v69, 1, v64
	v_cndmask_b32_e64 v65, v65, v66, s[16:17]
	v_add_u32_e32 v66, 1, v63
	v_cndmask_b32_e64 v64, v69, v64, s[16:17]
	v_cndmask_b32_e64 v63, v63, v66, s[16:17]
	v_cmp_ge_i32_e64 s[18:19], v64, v19
	s_waitcnt lgkmcnt(0)
	v_cmp_lt_u16_sdwa s[20:21], v67, v68 src0_sel:BYTE_0 src1_sel:BYTE_0
	v_cmp_lt_i32_e64 s[16:17], v63, v20
	s_or_b64 s[18:19], s[18:19], s[20:21]
	s_and_b64 s[16:17], s[16:17], s[18:19]
	v_cndmask_b32_e64 v63, v68, v67, s[16:17]
	s_barrier
	ds_write_b8 v2, v65
	ds_write_b8 v2, v63 offset:1
	v_mov_b32_e32 v63, v44
	s_waitcnt lgkmcnt(0)
	s_barrier
	s_and_saveexec_b64 s[18:19], s[2:3]
	s_cbranch_execz .LBB112_22
; %bb.19:                               ;   in Loop: Header=BB112_2 Depth=1
	s_mov_b64 s[20:21], 0
	v_mov_b32_e32 v63, v44
	v_mov_b32_e32 v64, v38
.LBB112_20:                             ;   Parent Loop BB112_2 Depth=1
                                        ; =>  This Inner Loop Header: Depth=2
	v_sub_u32_e32 v65, v64, v63
	v_lshrrev_b32_e32 v66, 31, v65
	v_add_u32_e32 v65, v65, v66
	v_ashrrev_i32_e32 v65, 1, v65
	v_add_u32_e32 v65, v65, v63
	v_not_b32_e32 v67, v65
	v_add_u32_e32 v66, v7, v65
	v_add3_u32 v67, v8, v67, v21
	ds_read_u8 v66, v66
	ds_read_u8 v67, v67
	v_add_u32_e32 v68, 1, v65
	s_waitcnt lgkmcnt(0)
	v_cmp_lt_u16_e64 s[16:17], v67, v66
	s_nop 1
	v_cndmask_b32_e64 v64, v64, v65, s[16:17]
	v_cndmask_b32_e64 v63, v68, v63, s[16:17]
	v_cmp_ge_i32_e64 s[16:17], v63, v64
	s_or_b64 s[20:21], s[16:17], s[20:21]
	s_andn2_b64 exec, exec, s[20:21]
	s_cbranch_execnz .LBB112_20
; %bb.21:                               ;   in Loop: Header=BB112_2 Depth=1
	s_or_b64 exec, exec, s[20:21]
.LBB112_22:                             ;   in Loop: Header=BB112_2 Depth=1
	s_or_b64 exec, exec, s[18:19]
	v_add_u32_e32 v64, v63, v7
	v_sub_u32_e32 v63, v33, v63
	ds_read_u8 v65, v64
	ds_read_u8 v66, v63
	v_cmp_le_i32_e64 s[18:19], v21, v64
	v_cmp_gt_i32_e64 s[16:17], v22, v63
                                        ; implicit-def: $vgpr67
                                        ; implicit-def: $vgpr68
	s_waitcnt lgkmcnt(0)
	v_cmp_lt_u16_sdwa s[20:21], v66, v65 src0_sel:BYTE_0 src1_sel:BYTE_0
	s_or_b64 s[18:19], s[18:19], s[20:21]
	s_and_b64 s[16:17], s[16:17], s[18:19]
	s_xor_b64 s[18:19], s[16:17], -1
	s_and_saveexec_b64 s[20:21], s[18:19]
	s_xor_b64 s[18:19], exec, s[20:21]
	s_cbranch_execz .LBB112_24
; %bb.23:                               ;   in Loop: Header=BB112_2 Depth=1
	ds_read_u8 v68, v64 offset:1
	v_mov_b32_e32 v67, v66
.LBB112_24:                             ;   in Loop: Header=BB112_2 Depth=1
	s_andn2_saveexec_b64 s[18:19], s[18:19]
	s_cbranch_execz .LBB112_26
; %bb.25:                               ;   in Loop: Header=BB112_2 Depth=1
	ds_read_u8 v67, v63 offset:1
	s_waitcnt lgkmcnt(1)
	v_mov_b32_e32 v68, v65
.LBB112_26:                             ;   in Loop: Header=BB112_2 Depth=1
	s_or_b64 exec, exec, s[18:19]
	v_add_u32_e32 v69, 1, v64
	v_cndmask_b32_e64 v65, v65, v66, s[16:17]
	v_add_u32_e32 v66, 1, v63
	v_cndmask_b32_e64 v64, v69, v64, s[16:17]
	v_cndmask_b32_e64 v63, v63, v66, s[16:17]
	v_cmp_ge_i32_e64 s[18:19], v64, v21
	s_waitcnt lgkmcnt(0)
	v_cmp_lt_u16_sdwa s[20:21], v67, v68 src0_sel:BYTE_0 src1_sel:BYTE_0
	v_cmp_lt_i32_e64 s[16:17], v63, v22
	s_or_b64 s[18:19], s[18:19], s[20:21]
	s_and_b64 s[16:17], s[16:17], s[18:19]
	v_cndmask_b32_e64 v63, v68, v67, s[16:17]
	s_barrier
	ds_write_b8 v2, v65
	ds_write_b8 v2, v63 offset:1
	v_mov_b32_e32 v63, v45
	s_waitcnt lgkmcnt(0)
	s_barrier
	s_and_saveexec_b64 s[18:19], s[4:5]
	s_cbranch_execz .LBB112_30
; %bb.27:                               ;   in Loop: Header=BB112_2 Depth=1
	s_mov_b64 s[20:21], 0
	v_mov_b32_e32 v63, v45
	v_mov_b32_e32 v64, v39
.LBB112_28:                             ;   Parent Loop BB112_2 Depth=1
                                        ; =>  This Inner Loop Header: Depth=2
	v_sub_u32_e32 v65, v64, v63
	v_lshrrev_b32_e32 v66, 31, v65
	v_add_u32_e32 v65, v65, v66
	v_ashrrev_i32_e32 v65, 1, v65
	v_add_u32_e32 v65, v65, v63
	v_not_b32_e32 v67, v65
	v_add_u32_e32 v66, v9, v65
	v_add3_u32 v67, v10, v67, v23
	ds_read_u8 v66, v66
	ds_read_u8 v67, v67
	v_add_u32_e32 v68, 1, v65
	s_waitcnt lgkmcnt(0)
	v_cmp_lt_u16_e64 s[16:17], v67, v66
	s_nop 1
	v_cndmask_b32_e64 v64, v64, v65, s[16:17]
	v_cndmask_b32_e64 v63, v68, v63, s[16:17]
	v_cmp_ge_i32_e64 s[16:17], v63, v64
	s_or_b64 s[20:21], s[16:17], s[20:21]
	s_andn2_b64 exec, exec, s[20:21]
	s_cbranch_execnz .LBB112_28
; %bb.29:                               ;   in Loop: Header=BB112_2 Depth=1
	s_or_b64 exec, exec, s[20:21]
.LBB112_30:                             ;   in Loop: Header=BB112_2 Depth=1
	s_or_b64 exec, exec, s[18:19]
	v_add_u32_e32 v64, v63, v9
	v_sub_u32_e32 v63, v34, v63
	ds_read_u8 v65, v64
	ds_read_u8 v66, v63
	v_cmp_le_i32_e64 s[18:19], v23, v64
	v_cmp_gt_i32_e64 s[16:17], v24, v63
                                        ; implicit-def: $vgpr67
                                        ; implicit-def: $vgpr68
	s_waitcnt lgkmcnt(0)
	v_cmp_lt_u16_sdwa s[20:21], v66, v65 src0_sel:BYTE_0 src1_sel:BYTE_0
	s_or_b64 s[18:19], s[18:19], s[20:21]
	s_and_b64 s[16:17], s[16:17], s[18:19]
	s_xor_b64 s[18:19], s[16:17], -1
	s_and_saveexec_b64 s[20:21], s[18:19]
	s_xor_b64 s[18:19], exec, s[20:21]
	s_cbranch_execz .LBB112_32
; %bb.31:                               ;   in Loop: Header=BB112_2 Depth=1
	ds_read_u8 v68, v64 offset:1
	v_mov_b32_e32 v67, v66
.LBB112_32:                             ;   in Loop: Header=BB112_2 Depth=1
	s_andn2_saveexec_b64 s[18:19], s[18:19]
	s_cbranch_execz .LBB112_34
; %bb.33:                               ;   in Loop: Header=BB112_2 Depth=1
	ds_read_u8 v67, v63 offset:1
	s_waitcnt lgkmcnt(1)
	v_mov_b32_e32 v68, v65
.LBB112_34:                             ;   in Loop: Header=BB112_2 Depth=1
	s_or_b64 exec, exec, s[18:19]
	v_add_u32_e32 v69, 1, v64
	v_cndmask_b32_e64 v65, v65, v66, s[16:17]
	v_add_u32_e32 v66, 1, v63
	v_cndmask_b32_e64 v64, v69, v64, s[16:17]
	v_cndmask_b32_e64 v63, v63, v66, s[16:17]
	v_cmp_ge_i32_e64 s[18:19], v64, v23
	s_waitcnt lgkmcnt(0)
	v_cmp_lt_u16_sdwa s[20:21], v67, v68 src0_sel:BYTE_0 src1_sel:BYTE_0
	v_cmp_lt_i32_e64 s[16:17], v63, v24
	s_or_b64 s[18:19], s[18:19], s[20:21]
	s_and_b64 s[16:17], s[16:17], s[18:19]
	v_cndmask_b32_e64 v63, v68, v67, s[16:17]
	s_barrier
	ds_write_b8 v2, v65
	ds_write_b8 v2, v63 offset:1
	v_mov_b32_e32 v63, v46
	s_waitcnt lgkmcnt(0)
	s_barrier
	s_and_saveexec_b64 s[18:19], s[6:7]
	s_cbranch_execz .LBB112_38
; %bb.35:                               ;   in Loop: Header=BB112_2 Depth=1
	s_mov_b64 s[20:21], 0
	v_mov_b32_e32 v63, v46
	v_mov_b32_e32 v64, v40
.LBB112_36:                             ;   Parent Loop BB112_2 Depth=1
                                        ; =>  This Inner Loop Header: Depth=2
	v_sub_u32_e32 v65, v64, v63
	v_lshrrev_b32_e32 v66, 31, v65
	v_add_u32_e32 v65, v65, v66
	v_ashrrev_i32_e32 v65, 1, v65
	v_add_u32_e32 v65, v65, v63
	v_not_b32_e32 v67, v65
	v_add_u32_e32 v66, v11, v65
	v_add3_u32 v67, v12, v67, v25
	ds_read_u8 v66, v66
	ds_read_u8 v67, v67
	v_add_u32_e32 v68, 1, v65
	s_waitcnt lgkmcnt(0)
	v_cmp_lt_u16_e64 s[16:17], v67, v66
	s_nop 1
	v_cndmask_b32_e64 v64, v64, v65, s[16:17]
	v_cndmask_b32_e64 v63, v68, v63, s[16:17]
	v_cmp_ge_i32_e64 s[16:17], v63, v64
	s_or_b64 s[20:21], s[16:17], s[20:21]
	s_andn2_b64 exec, exec, s[20:21]
	s_cbranch_execnz .LBB112_36
; %bb.37:                               ;   in Loop: Header=BB112_2 Depth=1
	s_or_b64 exec, exec, s[20:21]
.LBB112_38:                             ;   in Loop: Header=BB112_2 Depth=1
	s_or_b64 exec, exec, s[18:19]
	v_add_u32_e32 v64, v63, v11
	v_sub_u32_e32 v63, v35, v63
	ds_read_u8 v65, v64
	ds_read_u8 v66, v63
	v_cmp_le_i32_e64 s[18:19], v25, v64
	v_cmp_gt_i32_e64 s[16:17], v26, v63
                                        ; implicit-def: $vgpr67
                                        ; implicit-def: $vgpr68
	s_waitcnt lgkmcnt(0)
	v_cmp_lt_u16_sdwa s[20:21], v66, v65 src0_sel:BYTE_0 src1_sel:BYTE_0
	s_or_b64 s[18:19], s[18:19], s[20:21]
	s_and_b64 s[16:17], s[16:17], s[18:19]
	s_xor_b64 s[18:19], s[16:17], -1
	s_and_saveexec_b64 s[20:21], s[18:19]
	s_xor_b64 s[18:19], exec, s[20:21]
	s_cbranch_execz .LBB112_40
; %bb.39:                               ;   in Loop: Header=BB112_2 Depth=1
	ds_read_u8 v68, v64 offset:1
	v_mov_b32_e32 v67, v66
.LBB112_40:                             ;   in Loop: Header=BB112_2 Depth=1
	s_andn2_saveexec_b64 s[18:19], s[18:19]
	s_cbranch_execz .LBB112_42
; %bb.41:                               ;   in Loop: Header=BB112_2 Depth=1
	ds_read_u8 v67, v63 offset:1
	s_waitcnt lgkmcnt(1)
	v_mov_b32_e32 v68, v65
.LBB112_42:                             ;   in Loop: Header=BB112_2 Depth=1
	s_or_b64 exec, exec, s[18:19]
	v_add_u32_e32 v69, 1, v64
	v_cndmask_b32_e64 v65, v65, v66, s[16:17]
	v_add_u32_e32 v66, 1, v63
	v_cndmask_b32_e64 v64, v69, v64, s[16:17]
	v_cndmask_b32_e64 v63, v63, v66, s[16:17]
	v_cmp_ge_i32_e64 s[18:19], v64, v25
	s_waitcnt lgkmcnt(0)
	v_cmp_lt_u16_sdwa s[20:21], v67, v68 src0_sel:BYTE_0 src1_sel:BYTE_0
	v_cmp_lt_i32_e64 s[16:17], v63, v26
	s_or_b64 s[18:19], s[18:19], s[20:21]
	s_and_b64 s[16:17], s[16:17], s[18:19]
	v_cndmask_b32_e64 v63, v68, v67, s[16:17]
	s_barrier
	ds_write_b8 v2, v65
	ds_write_b8 v2, v63 offset:1
	v_mov_b32_e32 v63, v47
	s_waitcnt lgkmcnt(0)
	s_barrier
	s_and_saveexec_b64 s[18:19], s[8:9]
	s_cbranch_execz .LBB112_46
; %bb.43:                               ;   in Loop: Header=BB112_2 Depth=1
	s_mov_b64 s[20:21], 0
	v_mov_b32_e32 v63, v47
	v_mov_b32_e32 v64, v41
.LBB112_44:                             ;   Parent Loop BB112_2 Depth=1
                                        ; =>  This Inner Loop Header: Depth=2
	v_sub_u32_e32 v65, v64, v63
	v_lshrrev_b32_e32 v66, 31, v65
	v_add_u32_e32 v65, v65, v66
	v_ashrrev_i32_e32 v65, 1, v65
	v_add_u32_e32 v65, v65, v63
	v_not_b32_e32 v67, v65
	v_add_u32_e32 v66, v13, v65
	v_add3_u32 v67, v14, v67, v27
	ds_read_u8 v66, v66
	ds_read_u8 v67, v67
	v_add_u32_e32 v68, 1, v65
	s_waitcnt lgkmcnt(0)
	v_cmp_lt_u16_e64 s[16:17], v67, v66
	s_nop 1
	v_cndmask_b32_e64 v64, v64, v65, s[16:17]
	v_cndmask_b32_e64 v63, v68, v63, s[16:17]
	v_cmp_ge_i32_e64 s[16:17], v63, v64
	s_or_b64 s[20:21], s[16:17], s[20:21]
	s_andn2_b64 exec, exec, s[20:21]
	s_cbranch_execnz .LBB112_44
; %bb.45:                               ;   in Loop: Header=BB112_2 Depth=1
	s_or_b64 exec, exec, s[20:21]
.LBB112_46:                             ;   in Loop: Header=BB112_2 Depth=1
	s_or_b64 exec, exec, s[18:19]
	v_add_u32_e32 v64, v63, v13
	v_sub_u32_e32 v63, v59, v63
	ds_read_u8 v65, v64
	ds_read_u8 v66, v63
	v_cmp_le_i32_e64 s[18:19], v27, v64
	v_cmp_gt_i32_e64 s[16:17], v28, v63
                                        ; implicit-def: $vgpr67
                                        ; implicit-def: $vgpr68
	s_waitcnt lgkmcnt(0)
	v_cmp_lt_u16_sdwa s[20:21], v66, v65 src0_sel:BYTE_0 src1_sel:BYTE_0
	s_or_b64 s[18:19], s[18:19], s[20:21]
	s_and_b64 s[16:17], s[16:17], s[18:19]
	s_xor_b64 s[18:19], s[16:17], -1
	s_and_saveexec_b64 s[20:21], s[18:19]
	s_xor_b64 s[18:19], exec, s[20:21]
	s_cbranch_execz .LBB112_48
; %bb.47:                               ;   in Loop: Header=BB112_2 Depth=1
	ds_read_u8 v68, v64 offset:1
	v_mov_b32_e32 v67, v66
.LBB112_48:                             ;   in Loop: Header=BB112_2 Depth=1
	s_andn2_saveexec_b64 s[18:19], s[18:19]
	s_cbranch_execz .LBB112_50
; %bb.49:                               ;   in Loop: Header=BB112_2 Depth=1
	ds_read_u8 v67, v63 offset:1
	s_waitcnt lgkmcnt(1)
	v_mov_b32_e32 v68, v65
.LBB112_50:                             ;   in Loop: Header=BB112_2 Depth=1
	s_or_b64 exec, exec, s[18:19]
	v_add_u32_e32 v69, 1, v64
	v_cndmask_b32_e64 v65, v65, v66, s[16:17]
	v_add_u32_e32 v66, 1, v63
	v_cndmask_b32_e64 v64, v69, v64, s[16:17]
	v_cndmask_b32_e64 v63, v63, v66, s[16:17]
	v_cmp_ge_i32_e64 s[18:19], v64, v27
	s_waitcnt lgkmcnt(0)
	v_cmp_lt_u16_sdwa s[20:21], v67, v68 src0_sel:BYTE_0 src1_sel:BYTE_0
	v_cmp_lt_i32_e64 s[16:17], v63, v28
	s_or_b64 s[18:19], s[18:19], s[20:21]
	s_and_b64 s[16:17], s[16:17], s[18:19]
	v_cndmask_b32_e64 v63, v68, v67, s[16:17]
	s_barrier
	ds_write_b8 v2, v65
	ds_write_b8 v2, v63 offset:1
	v_mov_b32_e32 v63, v48
	s_waitcnt lgkmcnt(0)
	s_barrier
	s_and_saveexec_b64 s[18:19], s[10:11]
	s_cbranch_execz .LBB112_54
; %bb.51:                               ;   in Loop: Header=BB112_2 Depth=1
	s_mov_b64 s[20:21], 0
	v_mov_b32_e32 v63, v48
	v_mov_b32_e32 v64, v49
.LBB112_52:                             ;   Parent Loop BB112_2 Depth=1
                                        ; =>  This Inner Loop Header: Depth=2
	v_sub_u32_e32 v65, v64, v63
	v_lshrrev_b32_e32 v66, 31, v65
	v_add_u32_e32 v65, v65, v66
	v_ashrrev_i32_e32 v65, 1, v65
	v_add_u32_e32 v65, v65, v63
	v_not_b32_e32 v67, v65
	v_add_u32_e32 v66, v15, v65
	v_add3_u32 v67, v16, v67, v29
	ds_read_u8 v66, v66
	ds_read_u8 v67, v67
	v_add_u32_e32 v68, 1, v65
	s_waitcnt lgkmcnt(0)
	v_cmp_lt_u16_e64 s[16:17], v67, v66
	s_nop 1
	v_cndmask_b32_e64 v64, v64, v65, s[16:17]
	v_cndmask_b32_e64 v63, v68, v63, s[16:17]
	v_cmp_ge_i32_e64 s[16:17], v63, v64
	s_or_b64 s[20:21], s[16:17], s[20:21]
	s_andn2_b64 exec, exec, s[20:21]
	s_cbranch_execnz .LBB112_52
; %bb.53:                               ;   in Loop: Header=BB112_2 Depth=1
	s_or_b64 exec, exec, s[20:21]
.LBB112_54:                             ;   in Loop: Header=BB112_2 Depth=1
	s_or_b64 exec, exec, s[18:19]
	v_add_u32_e32 v64, v63, v15
	v_sub_u32_e32 v63, v60, v63
	ds_read_u8 v65, v64
	ds_read_u8 v66, v63
	v_cmp_le_i32_e64 s[18:19], v29, v64
	v_cmp_gt_i32_e64 s[16:17], v30, v63
                                        ; implicit-def: $vgpr67
                                        ; implicit-def: $vgpr68
	s_waitcnt lgkmcnt(0)
	v_cmp_lt_u16_sdwa s[20:21], v66, v65 src0_sel:BYTE_0 src1_sel:BYTE_0
	s_or_b64 s[18:19], s[18:19], s[20:21]
	s_and_b64 s[16:17], s[16:17], s[18:19]
	s_xor_b64 s[18:19], s[16:17], -1
	s_and_saveexec_b64 s[20:21], s[18:19]
	s_xor_b64 s[18:19], exec, s[20:21]
	s_cbranch_execz .LBB112_56
; %bb.55:                               ;   in Loop: Header=BB112_2 Depth=1
	ds_read_u8 v68, v64 offset:1
	v_mov_b32_e32 v67, v66
.LBB112_56:                             ;   in Loop: Header=BB112_2 Depth=1
	s_andn2_saveexec_b64 s[18:19], s[18:19]
	s_cbranch_execz .LBB112_58
; %bb.57:                               ;   in Loop: Header=BB112_2 Depth=1
	ds_read_u8 v67, v63 offset:1
	s_waitcnt lgkmcnt(1)
	v_mov_b32_e32 v68, v65
.LBB112_58:                             ;   in Loop: Header=BB112_2 Depth=1
	s_or_b64 exec, exec, s[18:19]
	v_add_u32_e32 v69, 1, v64
	v_cndmask_b32_e64 v65, v65, v66, s[16:17]
	v_add_u32_e32 v66, 1, v63
	v_cndmask_b32_e64 v64, v69, v64, s[16:17]
	v_cndmask_b32_e64 v63, v63, v66, s[16:17]
	v_cmp_ge_i32_e64 s[18:19], v64, v29
	s_waitcnt lgkmcnt(0)
	v_cmp_lt_u16_sdwa s[20:21], v67, v68 src0_sel:BYTE_0 src1_sel:BYTE_0
	v_cmp_lt_i32_e64 s[16:17], v63, v30
	s_or_b64 s[18:19], s[18:19], s[20:21]
	s_and_b64 s[16:17], s[16:17], s[18:19]
	v_cndmask_b32_e64 v63, v68, v67, s[16:17]
	s_barrier
	ds_write_b8 v2, v65
	ds_write_b8 v2, v63 offset:1
	v_mov_b32_e32 v63, v55
	s_waitcnt lgkmcnt(0)
	s_barrier
	s_and_saveexec_b64 s[18:19], s[12:13]
	s_cbranch_execz .LBB112_62
; %bb.59:                               ;   in Loop: Header=BB112_2 Depth=1
	s_mov_b64 s[20:21], 0
	v_mov_b32_e32 v63, v55
	v_mov_b32_e32 v64, v56
.LBB112_60:                             ;   Parent Loop BB112_2 Depth=1
                                        ; =>  This Inner Loop Header: Depth=2
	v_sub_u32_e32 v65, v64, v63
	v_lshrrev_b32_e32 v66, 31, v65
	v_add_u32_e32 v65, v65, v66
	v_ashrrev_i32_e32 v65, 1, v65
	v_add_u32_e32 v65, v65, v63
	v_not_b32_e32 v67, v65
	v_add_u32_e32 v66, v51, v65
	v_add3_u32 v67, v52, v67, v53
	ds_read_u8 v66, v66
	ds_read_u8 v67, v67
	v_add_u32_e32 v68, 1, v65
	s_waitcnt lgkmcnt(0)
	v_cmp_lt_u16_e64 s[16:17], v67, v66
	s_nop 1
	v_cndmask_b32_e64 v64, v64, v65, s[16:17]
	v_cndmask_b32_e64 v63, v68, v63, s[16:17]
	v_cmp_ge_i32_e64 s[16:17], v63, v64
	s_or_b64 s[20:21], s[16:17], s[20:21]
	s_andn2_b64 exec, exec, s[20:21]
	s_cbranch_execnz .LBB112_60
; %bb.61:                               ;   in Loop: Header=BB112_2 Depth=1
	s_or_b64 exec, exec, s[20:21]
.LBB112_62:                             ;   in Loop: Header=BB112_2 Depth=1
	s_or_b64 exec, exec, s[18:19]
	v_add_u32_e32 v64, v63, v51
	v_sub_u32_e32 v63, v61, v63
	ds_read_u8 v65, v64
	ds_read_u8 v66, v63
	v_cmp_le_i32_e64 s[18:19], v53, v64
	v_cmp_gt_i32_e64 s[16:17], v54, v63
                                        ; implicit-def: $vgpr67
                                        ; implicit-def: $vgpr68
	s_waitcnt lgkmcnt(0)
	v_cmp_lt_u16_sdwa s[20:21], v66, v65 src0_sel:BYTE_0 src1_sel:BYTE_0
	s_or_b64 s[18:19], s[18:19], s[20:21]
	s_and_b64 s[16:17], s[16:17], s[18:19]
	s_xor_b64 s[18:19], s[16:17], -1
	s_and_saveexec_b64 s[20:21], s[18:19]
	s_xor_b64 s[18:19], exec, s[20:21]
	s_cbranch_execz .LBB112_64
; %bb.63:                               ;   in Loop: Header=BB112_2 Depth=1
	ds_read_u8 v68, v64 offset:1
	v_mov_b32_e32 v67, v66
.LBB112_64:                             ;   in Loop: Header=BB112_2 Depth=1
	s_andn2_saveexec_b64 s[18:19], s[18:19]
	s_cbranch_execz .LBB112_66
; %bb.65:                               ;   in Loop: Header=BB112_2 Depth=1
	ds_read_u8 v67, v63 offset:1
	s_waitcnt lgkmcnt(1)
	v_mov_b32_e32 v68, v65
.LBB112_66:                             ;   in Loop: Header=BB112_2 Depth=1
	s_or_b64 exec, exec, s[18:19]
	v_add_u32_e32 v69, 1, v64
	v_cndmask_b32_e64 v65, v65, v66, s[16:17]
	v_add_u32_e32 v66, 1, v63
	v_cndmask_b32_e64 v64, v69, v64, s[16:17]
	v_cndmask_b32_e64 v63, v63, v66, s[16:17]
	v_cmp_ge_i32_e64 s[18:19], v64, v53
	s_waitcnt lgkmcnt(0)
	v_cmp_lt_u16_sdwa s[20:21], v67, v68 src0_sel:BYTE_0 src1_sel:BYTE_0
	v_cmp_lt_i32_e64 s[16:17], v63, v54
	s_or_b64 s[18:19], s[18:19], s[20:21]
	s_and_b64 s[16:17], s[16:17], s[18:19]
	v_cndmask_b32_e64 v63, v68, v67, s[16:17]
	s_barrier
	ds_write_b8 v2, v65
	ds_write_b8 v2, v63 offset:1
	v_mov_b32_e32 v63, v57
	s_waitcnt lgkmcnt(0)
	s_barrier
	s_and_saveexec_b64 s[18:19], s[14:15]
	s_cbranch_execz .LBB112_70
; %bb.67:                               ;   in Loop: Header=BB112_2 Depth=1
	s_mov_b64 s[20:21], 0
	v_mov_b32_e32 v63, v57
	v_mov_b32_e32 v64, v58
.LBB112_68:                             ;   Parent Loop BB112_2 Depth=1
                                        ; =>  This Inner Loop Header: Depth=2
	v_sub_u32_e32 v65, v64, v63
	v_lshrrev_b32_e32 v66, 31, v65
	v_add_u32_e32 v65, v65, v66
	v_ashrrev_i32_e32 v65, 1, v65
	v_add_u32_e32 v65, v65, v63
	v_not_b32_e32 v66, v65
	v_add3_u32 v66, v2, v66, v50
	ds_read_u8 v67, v65
	ds_read_u8 v66, v66
	v_add_u32_e32 v68, 1, v65
	s_waitcnt lgkmcnt(0)
	v_cmp_lt_u16_e64 s[16:17], v66, v67
	s_nop 1
	v_cndmask_b32_e64 v64, v64, v65, s[16:17]
	v_cndmask_b32_e64 v63, v68, v63, s[16:17]
	v_cmp_ge_i32_e64 s[16:17], v63, v64
	s_or_b64 s[20:21], s[16:17], s[20:21]
	s_andn2_b64 exec, exec, s[20:21]
	s_cbranch_execnz .LBB112_68
; %bb.69:                               ;   in Loop: Header=BB112_2 Depth=1
	s_or_b64 exec, exec, s[20:21]
.LBB112_70:                             ;   in Loop: Header=BB112_2 Depth=1
	s_or_b64 exec, exec, s[18:19]
	v_sub_u32_e32 v65, v62, v63
	ds_read_u8 v64, v63
	ds_read_u8 v66, v65
	v_cmp_le_i32_e64 s[18:19], v50, v63
	v_cmp_gt_i32_e64 s[16:17], s27, v65
                                        ; implicit-def: $vgpr67
                                        ; implicit-def: $vgpr68
                                        ; implicit-def: $vgpr69
	s_waitcnt lgkmcnt(0)
	v_cmp_lt_u16_sdwa s[20:21], v66, v64 src0_sel:BYTE_0 src1_sel:BYTE_0
	s_or_b64 s[18:19], s[18:19], s[20:21]
	s_and_b64 s[16:17], s[16:17], s[18:19]
	s_xor_b64 s[18:19], s[16:17], -1
	s_and_saveexec_b64 s[20:21], s[18:19]
	s_xor_b64 s[18:19], exec, s[20:21]
	s_cbranch_execz .LBB112_72
; %bb.71:                               ;   in Loop: Header=BB112_2 Depth=1
	ds_read_u8 v68, v63 offset:1
	v_add_u32_e32 v69, 1, v63
	v_mov_b32_e32 v67, v66
                                        ; implicit-def: $vgpr63
.LBB112_72:                             ;   in Loop: Header=BB112_2 Depth=1
	s_andn2_saveexec_b64 s[18:19], s[18:19]
	s_cbranch_execz .LBB112_1
; %bb.73:                               ;   in Loop: Header=BB112_2 Depth=1
	ds_read_u8 v67, v65 offset:1
	v_add_u32_e32 v65, 1, v65
	v_mov_b32_e32 v69, v63
	s_waitcnt lgkmcnt(1)
	v_mov_b32_e32 v68, v64
	s_branch .LBB112_1
.LBB112_74:
	s_add_u32 s0, s22, s24
	s_addc_u32 s1, s23, 0
	v_lshl_add_u64 v[0:1], s[0:1], 0, v[0:1]
	global_store_byte v[0:1], v64, off
	global_store_byte v[0:1], v65, off offset:512
	s_endpgm
	.section	.rodata,"a",@progbits
	.p2align	6, 0x0
	.amdhsa_kernel _Z16sort_keys_kernelIhLj512ELj2EN10test_utils4lessELj10EEvPKT_PS2_T2_
		.amdhsa_group_segment_fixed_size 1025
		.amdhsa_private_segment_fixed_size 0
		.amdhsa_kernarg_size 20
		.amdhsa_user_sgpr_count 2
		.amdhsa_user_sgpr_dispatch_ptr 0
		.amdhsa_user_sgpr_queue_ptr 0
		.amdhsa_user_sgpr_kernarg_segment_ptr 1
		.amdhsa_user_sgpr_dispatch_id 0
		.amdhsa_user_sgpr_kernarg_preload_length 0
		.amdhsa_user_sgpr_kernarg_preload_offset 0
		.amdhsa_user_sgpr_private_segment_size 0
		.amdhsa_uses_dynamic_stack 0
		.amdhsa_enable_private_segment 0
		.amdhsa_system_sgpr_workgroup_id_x 1
		.amdhsa_system_sgpr_workgroup_id_y 0
		.amdhsa_system_sgpr_workgroup_id_z 0
		.amdhsa_system_sgpr_workgroup_info 0
		.amdhsa_system_vgpr_workitem_id 0
		.amdhsa_next_free_vgpr 70
		.amdhsa_next_free_sgpr 28
		.amdhsa_accum_offset 72
		.amdhsa_reserve_vcc 1
		.amdhsa_float_round_mode_32 0
		.amdhsa_float_round_mode_16_64 0
		.amdhsa_float_denorm_mode_32 3
		.amdhsa_float_denorm_mode_16_64 3
		.amdhsa_dx10_clamp 1
		.amdhsa_ieee_mode 1
		.amdhsa_fp16_overflow 0
		.amdhsa_tg_split 0
		.amdhsa_exception_fp_ieee_invalid_op 0
		.amdhsa_exception_fp_denorm_src 0
		.amdhsa_exception_fp_ieee_div_zero 0
		.amdhsa_exception_fp_ieee_overflow 0
		.amdhsa_exception_fp_ieee_underflow 0
		.amdhsa_exception_fp_ieee_inexact 0
		.amdhsa_exception_int_div_zero 0
	.end_amdhsa_kernel
	.section	.text._Z16sort_keys_kernelIhLj512ELj2EN10test_utils4lessELj10EEvPKT_PS2_T2_,"axG",@progbits,_Z16sort_keys_kernelIhLj512ELj2EN10test_utils4lessELj10EEvPKT_PS2_T2_,comdat
.Lfunc_end112:
	.size	_Z16sort_keys_kernelIhLj512ELj2EN10test_utils4lessELj10EEvPKT_PS2_T2_, .Lfunc_end112-_Z16sort_keys_kernelIhLj512ELj2EN10test_utils4lessELj10EEvPKT_PS2_T2_
                                        ; -- End function
	.section	.AMDGPU.csdata,"",@progbits
; Kernel info:
; codeLenInByte = 3944
; NumSgprs: 34
; NumVgprs: 70
; NumAgprs: 0
; TotalNumVgprs: 70
; ScratchSize: 0
; MemoryBound: 0
; FloatMode: 240
; IeeeMode: 1
; LDSByteSize: 1025 bytes/workgroup (compile time only)
; SGPRBlocks: 4
; VGPRBlocks: 8
; NumSGPRsForWavesPerEU: 34
; NumVGPRsForWavesPerEU: 70
; AccumOffset: 72
; Occupancy: 7
; WaveLimiterHint : 1
; COMPUTE_PGM_RSRC2:SCRATCH_EN: 0
; COMPUTE_PGM_RSRC2:USER_SGPR: 2
; COMPUTE_PGM_RSRC2:TRAP_HANDLER: 0
; COMPUTE_PGM_RSRC2:TGID_X_EN: 1
; COMPUTE_PGM_RSRC2:TGID_Y_EN: 0
; COMPUTE_PGM_RSRC2:TGID_Z_EN: 0
; COMPUTE_PGM_RSRC2:TIDIG_COMP_CNT: 0
; COMPUTE_PGM_RSRC3_GFX90A:ACCUM_OFFSET: 17
; COMPUTE_PGM_RSRC3_GFX90A:TG_SPLIT: 0
	.section	.text._Z17sort_pairs_kernelIhLj512ELj2EN10test_utils4lessELj10EEvPKT_PS2_T2_,"axG",@progbits,_Z17sort_pairs_kernelIhLj512ELj2EN10test_utils4lessELj10EEvPKT_PS2_T2_,comdat
	.protected	_Z17sort_pairs_kernelIhLj512ELj2EN10test_utils4lessELj10EEvPKT_PS2_T2_ ; -- Begin function _Z17sort_pairs_kernelIhLj512ELj2EN10test_utils4lessELj10EEvPKT_PS2_T2_
	.globl	_Z17sort_pairs_kernelIhLj512ELj2EN10test_utils4lessELj10EEvPKT_PS2_T2_
	.p2align	8
	.type	_Z17sort_pairs_kernelIhLj512ELj2EN10test_utils4lessELj10EEvPKT_PS2_T2_,@function
_Z17sort_pairs_kernelIhLj512ELj2EN10test_utils4lessELj10EEvPKT_PS2_T2_: ; @_Z17sort_pairs_kernelIhLj512ELj2EN10test_utils4lessELj10EEvPKT_PS2_T2_
; %bb.0:
	s_load_dwordx4 s[20:23], s[0:1], 0x0
	s_lshl_b32 s26, s2, 10
	v_lshlrev_b32_e32 v5, 1, v0
	v_and_b32_e32 v6, 0x3fc, v5
	v_and_b32_e32 v8, 0x3f8, v5
	s_waitcnt lgkmcnt(0)
	s_add_u32 s0, s20, s26
	s_addc_u32 s1, s21, 0
	global_load_ubyte v2, v0, s[0:1] offset:512
	global_load_ubyte v3, v0, s[0:1]
	v_or_b32_e32 v20, 2, v6
	v_add_u32_e32 v21, 4, v6
	v_and_b32_e32 v7, 2, v5
	v_and_b32_e32 v10, 0x3f0, v5
	v_or_b32_e32 v22, 4, v8
	v_add_u32_e32 v23, 8, v8
	v_sub_u32_e32 v43, v21, v20
	v_and_b32_e32 v9, 6, v5
	v_and_b32_e32 v12, 0x3e0, v5
	v_or_b32_e32 v24, 8, v10
	v_add_u32_e32 v25, 16, v10
	v_sub_u32_e32 v4, v20, v6
	v_sub_u32_e32 v44, v23, v22
	;; [unrolled: 1-line block ×3, first 2 shown]
	v_cmp_ge_i32_e32 vcc, v7, v43
	v_and_b32_e32 v11, 14, v5
	v_and_b32_e32 v14, 0x3c0, v5
	v_or_b32_e32 v26, 16, v12
	v_add_u32_e32 v27, 32, v12
	v_sub_u32_e32 v45, v25, v24
	v_min_i32_e32 v37, v7, v4
	v_sub_u32_e32 v4, v9, v44
	v_cndmask_b32_e32 v43, 0, v49, vcc
	v_cmp_ge_i32_e32 vcc, v9, v44
	v_and_b32_e32 v13, 30, v5
	v_and_b32_e32 v16, 0x380, v5
	v_or_b32_e32 v28, 32, v14
	v_add_u32_e32 v29, 64, v14
	v_sub_u32_e32 v46, v27, v26
	v_sub_u32_e32 v50, v11, v45
	v_cndmask_b32_e32 v44, 0, v4, vcc
	v_cmp_ge_i32_e32 vcc, v11, v45
	v_and_b32_e32 v15, 62, v5
	v_or_b32_e32 v30, 64, v16
	v_add_u32_e32 v31, 0x80, v16
	v_sub_u32_e32 v47, v29, v28
	v_sub_u32_e32 v51, v13, v46
	v_cndmask_b32_e32 v45, 0, v50, vcc
	v_cmp_ge_i32_e32 vcc, v13, v46
	v_and_b32_e32 v17, 0x7e, v5
	v_sub_u32_e32 v48, v31, v30
	v_sub_u32_e32 v52, v15, v47
	v_cndmask_b32_e32 v46, 0, v51, vcc
	v_cmp_ge_i32_e32 vcc, v15, v47
	v_and_b32_e32 v18, 0x300, v5
	v_sub_u32_e32 v53, v17, v48
	v_cndmask_b32_e32 v47, 0, v52, vcc
	v_cmp_ge_i32_e32 vcc, v17, v48
	v_or_b32_e32 v32, 0x80, v18
	v_add_u32_e32 v49, 0x100, v18
	v_cndmask_b32_e32 v48, 0, v53, vcc
	v_and_b32_e32 v53, 0x200, v5
	v_and_b32_e32 v19, 0xfe, v5
	v_sub_u32_e32 v50, v49, v32
	v_or_b32_e32 v55, 0x100, v53
	v_add_u32_e32 v56, 0x200, v53
	v_sub_u32_e32 v51, v19, v50
	v_cmp_ge_i32_e64 s[10:11], v19, v50
	v_and_b32_e32 v54, 0x1fe, v5
	v_sub_u32_e32 v57, v56, v55
	v_sub_u32_e32 v38, v22, v8
	;; [unrolled: 1-line block ×6, first 2 shown]
	v_cndmask_b32_e64 v50, 0, v51, s[10:11]
	v_mov_b32_e32 v52, 0x200
	v_sub_u32_e32 v58, v54, v57
	v_cmp_ge_i32_e64 s[12:13], v54, v57
	v_min_i32_e32 v38, v9, v38
	v_min_i32_e32 v39, v11, v39
	;; [unrolled: 1-line block ×5, first 2 shown]
	v_cndmask_b32_e64 v57, 0, v58, s[12:13]
	v_sub_u32_e64 v59, v5, v52 clamp
	v_min_i32_e32 v60, 0x200, v5
	s_mov_b32 s27, 0
	s_waitcnt vmcnt(1)
	v_lshlrev_b16_e32 v2, 8, v2
	s_waitcnt vmcnt(0)
	v_add_u16_e32 v4, 1, v3
	v_or_b32_e32 v3, v3, v2
	v_or_b32_sdwa v2, v2, v4 dst_sel:DWORD dst_unused:UNUSED_PAD src0_sel:DWORD src1_sel:BYTE_0
	v_sub_u32_e32 v4, v32, v18
	v_min_i32_e32 v51, v19, v4
	v_sub_u32_e32 v4, v55, v53
	v_min_i32_e32 v58, v54, v4
	v_mov_b32_e32 v1, 0
	v_add_u32_e32 v33, v20, v7
	v_add_u32_e32 v34, v22, v9
	v_add_u32_e32 v35, v24, v11
	v_add_u32_e32 v36, v26, v13
	v_cmp_lt_i32_e32 vcc, v43, v37
	v_cmp_lt_i32_e64 s[0:1], v44, v38
	v_cmp_lt_i32_e64 s[2:3], v45, v39
	;; [unrolled: 1-line block ×5, first 2 shown]
	v_and_b32_e32 v3, 0xffff, v3
	v_add_u16_e32 v2, 0x100, v2
	v_cmp_lt_i32_e64 s[10:11], v50, v51
	v_cmp_lt_i32_e64 s[12:13], v57, v58
	;; [unrolled: 1-line block ×3, first 2 shown]
	s_mov_b32 s28, 0xc0c0001
	s_movk_i32 s29, 0x400
	v_add_u32_e32 v61, v28, v15
	v_add_u32_e32 v62, v30, v17
	;; [unrolled: 1-line block ×5, first 2 shown]
	s_branch .LBB113_2
.LBB113_1:                              ;   in Loop: Header=BB113_2 Depth=1
	s_or_b64 exec, exec, s[18:19]
	v_cmp_ge_i32_e64 s[20:21], v70, v52
	s_waitcnt lgkmcnt(0)
	v_cmp_lt_u16_sdwa s[24:25], v71, v3 src0_sel:BYTE_0 src1_sel:BYTE_0
	v_cmp_gt_i32_e64 s[18:19], s29, v4
	s_or_b64 s[20:21], s[20:21], s[24:25]
	s_and_b64 s[18:19], s[18:19], s[20:21]
	v_cndmask_b32_e64 v71, v3, v71, s[18:19]
	v_cndmask_b32_e64 v3, v70, v4, s[18:19]
	s_barrier
	ds_write_b8 v5, v66
	ds_write_b8 v5, v67 offset:1
	s_waitcnt lgkmcnt(0)
	s_barrier
	ds_read_u8 v4, v2
	ds_read_u8 v66, v3
	v_cndmask_b32_e64 v67, v68, v69, s[16:17]
	v_lshlrev_b16_e32 v2, 8, v71
	v_or_b32_sdwa v2, v67, v2 dst_sel:DWORD dst_unused:UNUSED_PAD src0_sel:BYTE_0 src1_sel:DWORD
	v_and_b32_e32 v3, 0xffff, v2
	s_waitcnt lgkmcnt(0)
	v_lshlrev_b16_e32 v2, 8, v66
	v_or_b32_e32 v2, v4, v2
	s_add_i32 s27, s27, 1
	s_cmp_eq_u32 s27, 10
	v_and_b32_e32 v2, 0xffff, v2
	s_cbranch_scc1 .LBB113_74
.LBB113_2:                              ; =>This Loop Header: Depth=1
                                        ;     Child Loop BB113_4 Depth 2
                                        ;     Child Loop BB113_12 Depth 2
	;; [unrolled: 1-line block ×9, first 2 shown]
	v_perm_b32 v4, 0, v3, s28
	v_cmp_lt_u16_sdwa s[16:17], v3, v3 src0_sel:BYTE_1 src1_sel:BYTE_0
	s_barrier
	s_nop 0
	v_cndmask_b32_e64 v3, v3, v4, s[16:17]
	ds_write_b8 v5, v3
	v_lshrrev_b16_e32 v3, 8, v3
	v_mov_b32_e32 v4, v43
	ds_write_b8 v5, v3 offset:1
	s_waitcnt lgkmcnt(0)
	s_barrier
	s_and_saveexec_b64 s[20:21], vcc
	s_cbranch_execz .LBB113_6
; %bb.3:                                ;   in Loop: Header=BB113_2 Depth=1
	s_mov_b64 s[24:25], 0
	v_mov_b32_e32 v4, v43
	v_mov_b32_e32 v3, v37
.LBB113_4:                              ;   Parent Loop BB113_2 Depth=1
                                        ; =>  This Inner Loop Header: Depth=2
	v_sub_u32_e32 v66, v3, v4
	v_lshrrev_b32_e32 v67, 31, v66
	v_add_u32_e32 v66, v66, v67
	v_ashrrev_i32_e32 v66, 1, v66
	v_add_u32_e32 v66, v66, v4
	v_not_b32_e32 v68, v66
	v_add_u32_e32 v67, v6, v66
	v_add3_u32 v68, v7, v68, v20
	ds_read_u8 v67, v67
	ds_read_u8 v68, v68
	v_add_u32_e32 v69, 1, v66
	s_waitcnt lgkmcnt(0)
	v_cmp_lt_u16_e64 s[18:19], v68, v67
	s_nop 1
	v_cndmask_b32_e64 v3, v3, v66, s[18:19]
	v_cndmask_b32_e64 v4, v69, v4, s[18:19]
	v_cmp_ge_i32_e64 s[18:19], v4, v3
	s_or_b64 s[24:25], s[18:19], s[24:25]
	s_andn2_b64 exec, exec, s[24:25]
	s_cbranch_execnz .LBB113_4
; %bb.5:                                ;   in Loop: Header=BB113_2 Depth=1
	s_or_b64 exec, exec, s[24:25]
.LBB113_6:                              ;   in Loop: Header=BB113_2 Depth=1
	s_or_b64 exec, exec, s[20:21]
	v_add_u32_e32 v3, v4, v6
	v_sub_u32_e32 v4, v33, v4
	ds_read_u8 v66, v3
	ds_read_u8 v67, v4
	v_cmp_le_i32_e64 s[20:21], v20, v3
	v_cmp_gt_i32_e64 s[18:19], v21, v4
                                        ; implicit-def: $vgpr68
                                        ; implicit-def: $vgpr69
	s_waitcnt lgkmcnt(0)
	v_cmp_lt_u16_sdwa s[24:25], v67, v66 src0_sel:BYTE_0 src1_sel:BYTE_0
	s_or_b64 s[20:21], s[20:21], s[24:25]
	s_and_b64 s[18:19], s[18:19], s[20:21]
	s_xor_b64 s[20:21], s[18:19], -1
	s_and_saveexec_b64 s[24:25], s[20:21]
	s_xor_b64 s[20:21], exec, s[24:25]
	s_cbranch_execz .LBB113_8
; %bb.7:                                ;   in Loop: Header=BB113_2 Depth=1
	ds_read_u8 v69, v3 offset:1
	v_mov_b32_e32 v68, v67
.LBB113_8:                              ;   in Loop: Header=BB113_2 Depth=1
	s_andn2_saveexec_b64 s[20:21], s[20:21]
	s_cbranch_execz .LBB113_10
; %bb.9:                                ;   in Loop: Header=BB113_2 Depth=1
	ds_read_u8 v68, v4 offset:1
	s_waitcnt lgkmcnt(1)
	v_mov_b32_e32 v69, v66
.LBB113_10:                             ;   in Loop: Header=BB113_2 Depth=1
	s_or_b64 exec, exec, s[20:21]
	v_add_u32_e32 v71, 1, v3
	v_cndmask_b32_e64 v66, v66, v67, s[18:19]
	v_add_u32_e32 v67, 1, v4
	v_cndmask_b32_e64 v71, v71, v3, s[18:19]
	v_perm_b32 v70, 0, v2, s28
	v_cndmask_b32_e64 v67, v4, v67, s[18:19]
	v_cndmask_b32_e64 v3, v3, v4, s[18:19]
	v_cmp_ge_i32_e64 s[18:19], v71, v20
	s_waitcnt lgkmcnt(0)
	v_cmp_lt_u16_sdwa s[20:21], v68, v69 src0_sel:BYTE_0 src1_sel:BYTE_0
	v_cndmask_b32_e64 v2, v2, v70, s[16:17]
	v_cmp_lt_i32_e64 s[16:17], v67, v21
	s_or_b64 s[18:19], s[18:19], s[20:21]
	s_and_b64 s[16:17], s[16:17], s[18:19]
	s_barrier
	ds_write_b8 v5, v2
	v_lshrrev_b16_e32 v2, 8, v2
	v_cndmask_b32_e64 v67, v71, v67, s[16:17]
	ds_write_b8 v5, v2 offset:1
	s_waitcnt lgkmcnt(0)
	s_barrier
	ds_read_u8 v2, v3
	ds_read_u8 v3, v67
	v_cndmask_b32_e64 v4, v69, v68, s[16:17]
	s_waitcnt lgkmcnt(0)
	s_barrier
	ds_write_b8 v5, v66
	ds_write_b8 v5, v4 offset:1
	v_mov_b32_e32 v66, v44
	s_waitcnt lgkmcnt(0)
	s_barrier
	s_and_saveexec_b64 s[18:19], s[0:1]
	s_cbranch_execz .LBB113_14
; %bb.11:                               ;   in Loop: Header=BB113_2 Depth=1
	s_mov_b64 s[20:21], 0
	v_mov_b32_e32 v66, v44
	v_mov_b32_e32 v4, v38
.LBB113_12:                             ;   Parent Loop BB113_2 Depth=1
                                        ; =>  This Inner Loop Header: Depth=2
	v_sub_u32_e32 v67, v4, v66
	v_lshrrev_b32_e32 v68, 31, v67
	v_add_u32_e32 v67, v67, v68
	v_ashrrev_i32_e32 v67, 1, v67
	v_add_u32_e32 v67, v67, v66
	v_not_b32_e32 v69, v67
	v_add_u32_e32 v68, v8, v67
	v_add3_u32 v69, v9, v69, v22
	ds_read_u8 v68, v68
	ds_read_u8 v69, v69
	v_add_u32_e32 v70, 1, v67
	s_waitcnt lgkmcnt(0)
	v_cmp_lt_u16_e64 s[16:17], v69, v68
	s_nop 1
	v_cndmask_b32_e64 v4, v4, v67, s[16:17]
	v_cndmask_b32_e64 v66, v70, v66, s[16:17]
	v_cmp_ge_i32_e64 s[16:17], v66, v4
	s_or_b64 s[20:21], s[16:17], s[20:21]
	s_andn2_b64 exec, exec, s[20:21]
	s_cbranch_execnz .LBB113_12
; %bb.13:                               ;   in Loop: Header=BB113_2 Depth=1
	s_or_b64 exec, exec, s[20:21]
.LBB113_14:                             ;   in Loop: Header=BB113_2 Depth=1
	s_or_b64 exec, exec, s[18:19]
	v_add_u32_e32 v4, v66, v8
	v_sub_u32_e32 v66, v34, v66
	ds_read_u8 v67, v4
	ds_read_u8 v68, v66
	v_cmp_le_i32_e64 s[18:19], v22, v4
	v_cmp_gt_i32_e64 s[16:17], v23, v66
                                        ; implicit-def: $vgpr69
                                        ; implicit-def: $vgpr70
	s_waitcnt lgkmcnt(0)
	v_cmp_lt_u16_sdwa s[20:21], v68, v67 src0_sel:BYTE_0 src1_sel:BYTE_0
	s_or_b64 s[18:19], s[18:19], s[20:21]
	s_and_b64 s[16:17], s[16:17], s[18:19]
	s_xor_b64 s[18:19], s[16:17], -1
	s_and_saveexec_b64 s[20:21], s[18:19]
	s_xor_b64 s[18:19], exec, s[20:21]
	s_cbranch_execz .LBB113_16
; %bb.15:                               ;   in Loop: Header=BB113_2 Depth=1
	ds_read_u8 v70, v4 offset:1
	v_mov_b32_e32 v69, v68
.LBB113_16:                             ;   in Loop: Header=BB113_2 Depth=1
	s_andn2_saveexec_b64 s[18:19], s[18:19]
	s_cbranch_execz .LBB113_18
; %bb.17:                               ;   in Loop: Header=BB113_2 Depth=1
	ds_read_u8 v69, v66 offset:1
	s_waitcnt lgkmcnt(1)
	v_mov_b32_e32 v70, v67
.LBB113_18:                             ;   in Loop: Header=BB113_2 Depth=1
	s_or_b64 exec, exec, s[18:19]
	v_add_u32_e32 v71, 1, v4
	v_cndmask_b32_e64 v67, v67, v68, s[16:17]
	v_add_u32_e32 v68, 1, v66
	v_cndmask_b32_e64 v71, v71, v4, s[16:17]
	v_cndmask_b32_e64 v68, v66, v68, s[16:17]
	v_cmp_ge_i32_e64 s[18:19], v71, v22
	s_waitcnt lgkmcnt(0)
	v_cmp_lt_u16_sdwa s[20:21], v69, v70 src0_sel:BYTE_0 src1_sel:BYTE_0
	v_cndmask_b32_e64 v4, v4, v66, s[16:17]
	v_cmp_lt_i32_e64 s[16:17], v68, v23
	s_or_b64 s[18:19], s[18:19], s[20:21]
	s_and_b64 s[16:17], s[16:17], s[18:19]
	v_cndmask_b32_e64 v68, v71, v68, s[16:17]
	s_barrier
	ds_write_b8 v5, v2
	ds_write_b8 v5, v3 offset:1
	s_waitcnt lgkmcnt(0)
	s_barrier
	ds_read_u8 v2, v4
	ds_read_u8 v3, v68
	v_cndmask_b32_e64 v66, v70, v69, s[16:17]
	s_waitcnt lgkmcnt(0)
	s_barrier
	ds_write_b8 v5, v67
	ds_write_b8 v5, v66 offset:1
	v_mov_b32_e32 v66, v45
	s_waitcnt lgkmcnt(0)
	s_barrier
	s_and_saveexec_b64 s[18:19], s[2:3]
	s_cbranch_execz .LBB113_22
; %bb.19:                               ;   in Loop: Header=BB113_2 Depth=1
	s_mov_b64 s[20:21], 0
	v_mov_b32_e32 v66, v45
	v_mov_b32_e32 v4, v39
.LBB113_20:                             ;   Parent Loop BB113_2 Depth=1
                                        ; =>  This Inner Loop Header: Depth=2
	v_sub_u32_e32 v67, v4, v66
	v_lshrrev_b32_e32 v68, 31, v67
	v_add_u32_e32 v67, v67, v68
	v_ashrrev_i32_e32 v67, 1, v67
	v_add_u32_e32 v67, v67, v66
	v_not_b32_e32 v69, v67
	v_add_u32_e32 v68, v10, v67
	v_add3_u32 v69, v11, v69, v24
	ds_read_u8 v68, v68
	ds_read_u8 v69, v69
	v_add_u32_e32 v70, 1, v67
	s_waitcnt lgkmcnt(0)
	v_cmp_lt_u16_e64 s[16:17], v69, v68
	s_nop 1
	v_cndmask_b32_e64 v4, v4, v67, s[16:17]
	v_cndmask_b32_e64 v66, v70, v66, s[16:17]
	v_cmp_ge_i32_e64 s[16:17], v66, v4
	s_or_b64 s[20:21], s[16:17], s[20:21]
	s_andn2_b64 exec, exec, s[20:21]
	s_cbranch_execnz .LBB113_20
; %bb.21:                               ;   in Loop: Header=BB113_2 Depth=1
	s_or_b64 exec, exec, s[20:21]
.LBB113_22:                             ;   in Loop: Header=BB113_2 Depth=1
	s_or_b64 exec, exec, s[18:19]
	v_add_u32_e32 v4, v66, v10
	v_sub_u32_e32 v66, v35, v66
	ds_read_u8 v67, v4
	ds_read_u8 v68, v66
	v_cmp_le_i32_e64 s[18:19], v24, v4
	v_cmp_gt_i32_e64 s[16:17], v25, v66
                                        ; implicit-def: $vgpr69
                                        ; implicit-def: $vgpr70
	s_waitcnt lgkmcnt(0)
	v_cmp_lt_u16_sdwa s[20:21], v68, v67 src0_sel:BYTE_0 src1_sel:BYTE_0
	s_or_b64 s[18:19], s[18:19], s[20:21]
	s_and_b64 s[16:17], s[16:17], s[18:19]
	s_xor_b64 s[18:19], s[16:17], -1
	s_and_saveexec_b64 s[20:21], s[18:19]
	s_xor_b64 s[18:19], exec, s[20:21]
	s_cbranch_execz .LBB113_24
; %bb.23:                               ;   in Loop: Header=BB113_2 Depth=1
	ds_read_u8 v70, v4 offset:1
	v_mov_b32_e32 v69, v68
.LBB113_24:                             ;   in Loop: Header=BB113_2 Depth=1
	s_andn2_saveexec_b64 s[18:19], s[18:19]
	s_cbranch_execz .LBB113_26
; %bb.25:                               ;   in Loop: Header=BB113_2 Depth=1
	ds_read_u8 v69, v66 offset:1
	s_waitcnt lgkmcnt(1)
	v_mov_b32_e32 v70, v67
.LBB113_26:                             ;   in Loop: Header=BB113_2 Depth=1
	s_or_b64 exec, exec, s[18:19]
	v_add_u32_e32 v71, 1, v4
	v_cndmask_b32_e64 v67, v67, v68, s[16:17]
	v_add_u32_e32 v68, 1, v66
	v_cndmask_b32_e64 v71, v71, v4, s[16:17]
	v_cndmask_b32_e64 v68, v66, v68, s[16:17]
	v_cmp_ge_i32_e64 s[18:19], v71, v24
	s_waitcnt lgkmcnt(0)
	v_cmp_lt_u16_sdwa s[20:21], v69, v70 src0_sel:BYTE_0 src1_sel:BYTE_0
	v_cndmask_b32_e64 v4, v4, v66, s[16:17]
	v_cmp_lt_i32_e64 s[16:17], v68, v25
	s_or_b64 s[18:19], s[18:19], s[20:21]
	s_and_b64 s[16:17], s[16:17], s[18:19]
	v_cndmask_b32_e64 v68, v71, v68, s[16:17]
	s_barrier
	ds_write_b8 v5, v2
	ds_write_b8 v5, v3 offset:1
	s_waitcnt lgkmcnt(0)
	s_barrier
	ds_read_u8 v2, v4
	ds_read_u8 v3, v68
	v_cndmask_b32_e64 v66, v70, v69, s[16:17]
	s_waitcnt lgkmcnt(0)
	s_barrier
	ds_write_b8 v5, v67
	ds_write_b8 v5, v66 offset:1
	v_mov_b32_e32 v66, v46
	s_waitcnt lgkmcnt(0)
	s_barrier
	s_and_saveexec_b64 s[18:19], s[4:5]
	s_cbranch_execz .LBB113_30
; %bb.27:                               ;   in Loop: Header=BB113_2 Depth=1
	s_mov_b64 s[20:21], 0
	v_mov_b32_e32 v66, v46
	v_mov_b32_e32 v4, v40
.LBB113_28:                             ;   Parent Loop BB113_2 Depth=1
                                        ; =>  This Inner Loop Header: Depth=2
	v_sub_u32_e32 v67, v4, v66
	v_lshrrev_b32_e32 v68, 31, v67
	v_add_u32_e32 v67, v67, v68
	v_ashrrev_i32_e32 v67, 1, v67
	v_add_u32_e32 v67, v67, v66
	v_not_b32_e32 v69, v67
	v_add_u32_e32 v68, v12, v67
	v_add3_u32 v69, v13, v69, v26
	ds_read_u8 v68, v68
	ds_read_u8 v69, v69
	v_add_u32_e32 v70, 1, v67
	s_waitcnt lgkmcnt(0)
	v_cmp_lt_u16_e64 s[16:17], v69, v68
	s_nop 1
	v_cndmask_b32_e64 v4, v4, v67, s[16:17]
	v_cndmask_b32_e64 v66, v70, v66, s[16:17]
	v_cmp_ge_i32_e64 s[16:17], v66, v4
	s_or_b64 s[20:21], s[16:17], s[20:21]
	s_andn2_b64 exec, exec, s[20:21]
	s_cbranch_execnz .LBB113_28
; %bb.29:                               ;   in Loop: Header=BB113_2 Depth=1
	s_or_b64 exec, exec, s[20:21]
.LBB113_30:                             ;   in Loop: Header=BB113_2 Depth=1
	s_or_b64 exec, exec, s[18:19]
	v_add_u32_e32 v4, v66, v12
	v_sub_u32_e32 v66, v36, v66
	ds_read_u8 v67, v4
	ds_read_u8 v68, v66
	v_cmp_le_i32_e64 s[18:19], v26, v4
	v_cmp_gt_i32_e64 s[16:17], v27, v66
                                        ; implicit-def: $vgpr69
                                        ; implicit-def: $vgpr70
	s_waitcnt lgkmcnt(0)
	v_cmp_lt_u16_sdwa s[20:21], v68, v67 src0_sel:BYTE_0 src1_sel:BYTE_0
	s_or_b64 s[18:19], s[18:19], s[20:21]
	s_and_b64 s[16:17], s[16:17], s[18:19]
	s_xor_b64 s[18:19], s[16:17], -1
	s_and_saveexec_b64 s[20:21], s[18:19]
	s_xor_b64 s[18:19], exec, s[20:21]
	s_cbranch_execz .LBB113_32
; %bb.31:                               ;   in Loop: Header=BB113_2 Depth=1
	ds_read_u8 v70, v4 offset:1
	v_mov_b32_e32 v69, v68
.LBB113_32:                             ;   in Loop: Header=BB113_2 Depth=1
	s_andn2_saveexec_b64 s[18:19], s[18:19]
	s_cbranch_execz .LBB113_34
; %bb.33:                               ;   in Loop: Header=BB113_2 Depth=1
	ds_read_u8 v69, v66 offset:1
	s_waitcnt lgkmcnt(1)
	v_mov_b32_e32 v70, v67
.LBB113_34:                             ;   in Loop: Header=BB113_2 Depth=1
	s_or_b64 exec, exec, s[18:19]
	v_add_u32_e32 v71, 1, v4
	v_cndmask_b32_e64 v67, v67, v68, s[16:17]
	v_add_u32_e32 v68, 1, v66
	v_cndmask_b32_e64 v71, v71, v4, s[16:17]
	v_cndmask_b32_e64 v68, v66, v68, s[16:17]
	v_cmp_ge_i32_e64 s[18:19], v71, v26
	s_waitcnt lgkmcnt(0)
	v_cmp_lt_u16_sdwa s[20:21], v69, v70 src0_sel:BYTE_0 src1_sel:BYTE_0
	v_cndmask_b32_e64 v4, v4, v66, s[16:17]
	v_cmp_lt_i32_e64 s[16:17], v68, v27
	s_or_b64 s[18:19], s[18:19], s[20:21]
	s_and_b64 s[16:17], s[16:17], s[18:19]
	v_cndmask_b32_e64 v68, v71, v68, s[16:17]
	s_barrier
	ds_write_b8 v5, v2
	ds_write_b8 v5, v3 offset:1
	s_waitcnt lgkmcnt(0)
	s_barrier
	ds_read_u8 v2, v4
	ds_read_u8 v3, v68
	v_cndmask_b32_e64 v66, v70, v69, s[16:17]
	s_waitcnt lgkmcnt(0)
	s_barrier
	ds_write_b8 v5, v67
	ds_write_b8 v5, v66 offset:1
	v_mov_b32_e32 v66, v47
	s_waitcnt lgkmcnt(0)
	s_barrier
	s_and_saveexec_b64 s[18:19], s[6:7]
	s_cbranch_execz .LBB113_38
; %bb.35:                               ;   in Loop: Header=BB113_2 Depth=1
	s_mov_b64 s[20:21], 0
	v_mov_b32_e32 v66, v47
	v_mov_b32_e32 v4, v41
.LBB113_36:                             ;   Parent Loop BB113_2 Depth=1
                                        ; =>  This Inner Loop Header: Depth=2
	v_sub_u32_e32 v67, v4, v66
	v_lshrrev_b32_e32 v68, 31, v67
	v_add_u32_e32 v67, v67, v68
	v_ashrrev_i32_e32 v67, 1, v67
	v_add_u32_e32 v67, v67, v66
	v_not_b32_e32 v69, v67
	v_add_u32_e32 v68, v14, v67
	v_add3_u32 v69, v15, v69, v28
	ds_read_u8 v68, v68
	ds_read_u8 v69, v69
	v_add_u32_e32 v70, 1, v67
	s_waitcnt lgkmcnt(0)
	v_cmp_lt_u16_e64 s[16:17], v69, v68
	s_nop 1
	v_cndmask_b32_e64 v4, v4, v67, s[16:17]
	v_cndmask_b32_e64 v66, v70, v66, s[16:17]
	v_cmp_ge_i32_e64 s[16:17], v66, v4
	s_or_b64 s[20:21], s[16:17], s[20:21]
	s_andn2_b64 exec, exec, s[20:21]
	s_cbranch_execnz .LBB113_36
; %bb.37:                               ;   in Loop: Header=BB113_2 Depth=1
	s_or_b64 exec, exec, s[20:21]
.LBB113_38:                             ;   in Loop: Header=BB113_2 Depth=1
	s_or_b64 exec, exec, s[18:19]
	v_add_u32_e32 v4, v66, v14
	v_sub_u32_e32 v66, v61, v66
	ds_read_u8 v67, v4
	ds_read_u8 v68, v66
	v_cmp_le_i32_e64 s[18:19], v28, v4
	v_cmp_gt_i32_e64 s[16:17], v29, v66
                                        ; implicit-def: $vgpr69
                                        ; implicit-def: $vgpr70
	s_waitcnt lgkmcnt(0)
	v_cmp_lt_u16_sdwa s[20:21], v68, v67 src0_sel:BYTE_0 src1_sel:BYTE_0
	s_or_b64 s[18:19], s[18:19], s[20:21]
	s_and_b64 s[16:17], s[16:17], s[18:19]
	s_xor_b64 s[18:19], s[16:17], -1
	s_and_saveexec_b64 s[20:21], s[18:19]
	s_xor_b64 s[18:19], exec, s[20:21]
	s_cbranch_execz .LBB113_40
; %bb.39:                               ;   in Loop: Header=BB113_2 Depth=1
	ds_read_u8 v70, v4 offset:1
	v_mov_b32_e32 v69, v68
.LBB113_40:                             ;   in Loop: Header=BB113_2 Depth=1
	s_andn2_saveexec_b64 s[18:19], s[18:19]
	s_cbranch_execz .LBB113_42
; %bb.41:                               ;   in Loop: Header=BB113_2 Depth=1
	ds_read_u8 v69, v66 offset:1
	s_waitcnt lgkmcnt(1)
	v_mov_b32_e32 v70, v67
.LBB113_42:                             ;   in Loop: Header=BB113_2 Depth=1
	s_or_b64 exec, exec, s[18:19]
	v_add_u32_e32 v71, 1, v4
	v_cndmask_b32_e64 v67, v67, v68, s[16:17]
	v_add_u32_e32 v68, 1, v66
	v_cndmask_b32_e64 v71, v71, v4, s[16:17]
	v_cndmask_b32_e64 v68, v66, v68, s[16:17]
	v_cmp_ge_i32_e64 s[18:19], v71, v28
	s_waitcnt lgkmcnt(0)
	v_cmp_lt_u16_sdwa s[20:21], v69, v70 src0_sel:BYTE_0 src1_sel:BYTE_0
	v_cndmask_b32_e64 v4, v4, v66, s[16:17]
	v_cmp_lt_i32_e64 s[16:17], v68, v29
	s_or_b64 s[18:19], s[18:19], s[20:21]
	s_and_b64 s[16:17], s[16:17], s[18:19]
	v_cndmask_b32_e64 v68, v71, v68, s[16:17]
	s_barrier
	ds_write_b8 v5, v2
	ds_write_b8 v5, v3 offset:1
	s_waitcnt lgkmcnt(0)
	s_barrier
	ds_read_u8 v2, v4
	ds_read_u8 v3, v68
	v_cndmask_b32_e64 v66, v70, v69, s[16:17]
	s_waitcnt lgkmcnt(0)
	s_barrier
	ds_write_b8 v5, v67
	ds_write_b8 v5, v66 offset:1
	v_mov_b32_e32 v66, v48
	s_waitcnt lgkmcnt(0)
	s_barrier
	s_and_saveexec_b64 s[18:19], s[8:9]
	s_cbranch_execz .LBB113_46
; %bb.43:                               ;   in Loop: Header=BB113_2 Depth=1
	s_mov_b64 s[20:21], 0
	v_mov_b32_e32 v66, v48
	v_mov_b32_e32 v4, v42
.LBB113_44:                             ;   Parent Loop BB113_2 Depth=1
                                        ; =>  This Inner Loop Header: Depth=2
	v_sub_u32_e32 v67, v4, v66
	v_lshrrev_b32_e32 v68, 31, v67
	v_add_u32_e32 v67, v67, v68
	v_ashrrev_i32_e32 v67, 1, v67
	v_add_u32_e32 v67, v67, v66
	v_not_b32_e32 v69, v67
	v_add_u32_e32 v68, v16, v67
	v_add3_u32 v69, v17, v69, v30
	ds_read_u8 v68, v68
	ds_read_u8 v69, v69
	v_add_u32_e32 v70, 1, v67
	s_waitcnt lgkmcnt(0)
	v_cmp_lt_u16_e64 s[16:17], v69, v68
	s_nop 1
	v_cndmask_b32_e64 v4, v4, v67, s[16:17]
	v_cndmask_b32_e64 v66, v70, v66, s[16:17]
	v_cmp_ge_i32_e64 s[16:17], v66, v4
	s_or_b64 s[20:21], s[16:17], s[20:21]
	s_andn2_b64 exec, exec, s[20:21]
	s_cbranch_execnz .LBB113_44
; %bb.45:                               ;   in Loop: Header=BB113_2 Depth=1
	s_or_b64 exec, exec, s[20:21]
.LBB113_46:                             ;   in Loop: Header=BB113_2 Depth=1
	s_or_b64 exec, exec, s[18:19]
	v_add_u32_e32 v4, v66, v16
	v_sub_u32_e32 v66, v62, v66
	ds_read_u8 v67, v4
	ds_read_u8 v68, v66
	v_cmp_le_i32_e64 s[18:19], v30, v4
	v_cmp_gt_i32_e64 s[16:17], v31, v66
                                        ; implicit-def: $vgpr69
                                        ; implicit-def: $vgpr70
	s_waitcnt lgkmcnt(0)
	v_cmp_lt_u16_sdwa s[20:21], v68, v67 src0_sel:BYTE_0 src1_sel:BYTE_0
	s_or_b64 s[18:19], s[18:19], s[20:21]
	s_and_b64 s[16:17], s[16:17], s[18:19]
	s_xor_b64 s[18:19], s[16:17], -1
	s_and_saveexec_b64 s[20:21], s[18:19]
	s_xor_b64 s[18:19], exec, s[20:21]
	s_cbranch_execz .LBB113_48
; %bb.47:                               ;   in Loop: Header=BB113_2 Depth=1
	ds_read_u8 v70, v4 offset:1
	v_mov_b32_e32 v69, v68
.LBB113_48:                             ;   in Loop: Header=BB113_2 Depth=1
	s_andn2_saveexec_b64 s[18:19], s[18:19]
	s_cbranch_execz .LBB113_50
; %bb.49:                               ;   in Loop: Header=BB113_2 Depth=1
	ds_read_u8 v69, v66 offset:1
	s_waitcnt lgkmcnt(1)
	v_mov_b32_e32 v70, v67
.LBB113_50:                             ;   in Loop: Header=BB113_2 Depth=1
	s_or_b64 exec, exec, s[18:19]
	v_add_u32_e32 v71, 1, v4
	v_cndmask_b32_e64 v67, v67, v68, s[16:17]
	v_add_u32_e32 v68, 1, v66
	v_cndmask_b32_e64 v71, v71, v4, s[16:17]
	v_cndmask_b32_e64 v68, v66, v68, s[16:17]
	v_cmp_ge_i32_e64 s[18:19], v71, v30
	s_waitcnt lgkmcnt(0)
	v_cmp_lt_u16_sdwa s[20:21], v69, v70 src0_sel:BYTE_0 src1_sel:BYTE_0
	v_cndmask_b32_e64 v4, v4, v66, s[16:17]
	v_cmp_lt_i32_e64 s[16:17], v68, v31
	s_or_b64 s[18:19], s[18:19], s[20:21]
	s_and_b64 s[16:17], s[16:17], s[18:19]
	v_cndmask_b32_e64 v68, v71, v68, s[16:17]
	s_barrier
	ds_write_b8 v5, v2
	ds_write_b8 v5, v3 offset:1
	s_waitcnt lgkmcnt(0)
	s_barrier
	ds_read_u8 v2, v4
	ds_read_u8 v3, v68
	v_cndmask_b32_e64 v66, v70, v69, s[16:17]
	s_waitcnt lgkmcnt(0)
	s_barrier
	ds_write_b8 v5, v67
	ds_write_b8 v5, v66 offset:1
	v_mov_b32_e32 v66, v50
	s_waitcnt lgkmcnt(0)
	s_barrier
	s_and_saveexec_b64 s[18:19], s[10:11]
	s_cbranch_execz .LBB113_54
; %bb.51:                               ;   in Loop: Header=BB113_2 Depth=1
	s_mov_b64 s[20:21], 0
	v_mov_b32_e32 v66, v50
	v_mov_b32_e32 v4, v51
.LBB113_52:                             ;   Parent Loop BB113_2 Depth=1
                                        ; =>  This Inner Loop Header: Depth=2
	v_sub_u32_e32 v67, v4, v66
	v_lshrrev_b32_e32 v68, 31, v67
	v_add_u32_e32 v67, v67, v68
	v_ashrrev_i32_e32 v67, 1, v67
	v_add_u32_e32 v67, v67, v66
	v_not_b32_e32 v69, v67
	v_add_u32_e32 v68, v18, v67
	v_add3_u32 v69, v19, v69, v32
	ds_read_u8 v68, v68
	ds_read_u8 v69, v69
	v_add_u32_e32 v70, 1, v67
	s_waitcnt lgkmcnt(0)
	v_cmp_lt_u16_e64 s[16:17], v69, v68
	s_nop 1
	v_cndmask_b32_e64 v4, v4, v67, s[16:17]
	v_cndmask_b32_e64 v66, v70, v66, s[16:17]
	v_cmp_ge_i32_e64 s[16:17], v66, v4
	s_or_b64 s[20:21], s[16:17], s[20:21]
	s_andn2_b64 exec, exec, s[20:21]
	s_cbranch_execnz .LBB113_52
; %bb.53:                               ;   in Loop: Header=BB113_2 Depth=1
	s_or_b64 exec, exec, s[20:21]
.LBB113_54:                             ;   in Loop: Header=BB113_2 Depth=1
	s_or_b64 exec, exec, s[18:19]
	v_add_u32_e32 v4, v66, v18
	v_sub_u32_e32 v66, v63, v66
	ds_read_u8 v67, v4
	ds_read_u8 v68, v66
	v_cmp_le_i32_e64 s[18:19], v32, v4
	v_cmp_gt_i32_e64 s[16:17], v49, v66
                                        ; implicit-def: $vgpr69
                                        ; implicit-def: $vgpr70
	s_waitcnt lgkmcnt(0)
	v_cmp_lt_u16_sdwa s[20:21], v68, v67 src0_sel:BYTE_0 src1_sel:BYTE_0
	s_or_b64 s[18:19], s[18:19], s[20:21]
	s_and_b64 s[16:17], s[16:17], s[18:19]
	s_xor_b64 s[18:19], s[16:17], -1
	s_and_saveexec_b64 s[20:21], s[18:19]
	s_xor_b64 s[18:19], exec, s[20:21]
	s_cbranch_execz .LBB113_56
; %bb.55:                               ;   in Loop: Header=BB113_2 Depth=1
	ds_read_u8 v70, v4 offset:1
	v_mov_b32_e32 v69, v68
.LBB113_56:                             ;   in Loop: Header=BB113_2 Depth=1
	s_andn2_saveexec_b64 s[18:19], s[18:19]
	s_cbranch_execz .LBB113_58
; %bb.57:                               ;   in Loop: Header=BB113_2 Depth=1
	ds_read_u8 v69, v66 offset:1
	s_waitcnt lgkmcnt(1)
	v_mov_b32_e32 v70, v67
.LBB113_58:                             ;   in Loop: Header=BB113_2 Depth=1
	s_or_b64 exec, exec, s[18:19]
	v_add_u32_e32 v71, 1, v4
	v_cndmask_b32_e64 v67, v67, v68, s[16:17]
	v_add_u32_e32 v68, 1, v66
	v_cndmask_b32_e64 v71, v71, v4, s[16:17]
	v_cndmask_b32_e64 v68, v66, v68, s[16:17]
	v_cmp_ge_i32_e64 s[18:19], v71, v32
	s_waitcnt lgkmcnt(0)
	v_cmp_lt_u16_sdwa s[20:21], v69, v70 src0_sel:BYTE_0 src1_sel:BYTE_0
	v_cndmask_b32_e64 v4, v4, v66, s[16:17]
	v_cmp_lt_i32_e64 s[16:17], v68, v49
	s_or_b64 s[18:19], s[18:19], s[20:21]
	s_and_b64 s[16:17], s[16:17], s[18:19]
	v_cndmask_b32_e64 v68, v71, v68, s[16:17]
	s_barrier
	ds_write_b8 v5, v2
	ds_write_b8 v5, v3 offset:1
	s_waitcnt lgkmcnt(0)
	s_barrier
	ds_read_u8 v2, v4
	ds_read_u8 v3, v68
	v_cndmask_b32_e64 v66, v70, v69, s[16:17]
	s_waitcnt lgkmcnt(0)
	s_barrier
	ds_write_b8 v5, v67
	ds_write_b8 v5, v66 offset:1
	v_mov_b32_e32 v66, v57
	s_waitcnt lgkmcnt(0)
	s_barrier
	s_and_saveexec_b64 s[18:19], s[12:13]
	s_cbranch_execz .LBB113_62
; %bb.59:                               ;   in Loop: Header=BB113_2 Depth=1
	s_mov_b64 s[20:21], 0
	v_mov_b32_e32 v66, v57
	v_mov_b32_e32 v4, v58
.LBB113_60:                             ;   Parent Loop BB113_2 Depth=1
                                        ; =>  This Inner Loop Header: Depth=2
	v_sub_u32_e32 v67, v4, v66
	v_lshrrev_b32_e32 v68, 31, v67
	v_add_u32_e32 v67, v67, v68
	v_ashrrev_i32_e32 v67, 1, v67
	v_add_u32_e32 v67, v67, v66
	v_not_b32_e32 v69, v67
	v_add_u32_e32 v68, v53, v67
	v_add3_u32 v69, v54, v69, v55
	ds_read_u8 v68, v68
	ds_read_u8 v69, v69
	v_add_u32_e32 v70, 1, v67
	s_waitcnt lgkmcnt(0)
	v_cmp_lt_u16_e64 s[16:17], v69, v68
	s_nop 1
	v_cndmask_b32_e64 v4, v4, v67, s[16:17]
	v_cndmask_b32_e64 v66, v70, v66, s[16:17]
	v_cmp_ge_i32_e64 s[16:17], v66, v4
	s_or_b64 s[20:21], s[16:17], s[20:21]
	s_andn2_b64 exec, exec, s[20:21]
	s_cbranch_execnz .LBB113_60
; %bb.61:                               ;   in Loop: Header=BB113_2 Depth=1
	s_or_b64 exec, exec, s[20:21]
.LBB113_62:                             ;   in Loop: Header=BB113_2 Depth=1
	s_or_b64 exec, exec, s[18:19]
	v_add_u32_e32 v4, v66, v53
	v_sub_u32_e32 v66, v64, v66
	ds_read_u8 v67, v4
	ds_read_u8 v68, v66
	v_cmp_le_i32_e64 s[18:19], v55, v4
	v_cmp_gt_i32_e64 s[16:17], v56, v66
                                        ; implicit-def: $vgpr69
                                        ; implicit-def: $vgpr70
	s_waitcnt lgkmcnt(0)
	v_cmp_lt_u16_sdwa s[20:21], v68, v67 src0_sel:BYTE_0 src1_sel:BYTE_0
	s_or_b64 s[18:19], s[18:19], s[20:21]
	s_and_b64 s[16:17], s[16:17], s[18:19]
	s_xor_b64 s[18:19], s[16:17], -1
	s_and_saveexec_b64 s[20:21], s[18:19]
	s_xor_b64 s[18:19], exec, s[20:21]
	s_cbranch_execz .LBB113_64
; %bb.63:                               ;   in Loop: Header=BB113_2 Depth=1
	ds_read_u8 v70, v4 offset:1
	v_mov_b32_e32 v69, v68
.LBB113_64:                             ;   in Loop: Header=BB113_2 Depth=1
	s_andn2_saveexec_b64 s[18:19], s[18:19]
	s_cbranch_execz .LBB113_66
; %bb.65:                               ;   in Loop: Header=BB113_2 Depth=1
	ds_read_u8 v69, v66 offset:1
	s_waitcnt lgkmcnt(1)
	v_mov_b32_e32 v70, v67
.LBB113_66:                             ;   in Loop: Header=BB113_2 Depth=1
	s_or_b64 exec, exec, s[18:19]
	v_add_u32_e32 v71, 1, v4
	v_cndmask_b32_e64 v68, v67, v68, s[16:17]
	v_add_u32_e32 v67, 1, v66
	v_cndmask_b32_e64 v71, v71, v4, s[16:17]
	v_cndmask_b32_e64 v67, v66, v67, s[16:17]
	v_cmp_ge_i32_e64 s[18:19], v71, v55
	s_waitcnt lgkmcnt(0)
	v_cmp_lt_u16_sdwa s[20:21], v69, v70 src0_sel:BYTE_0 src1_sel:BYTE_0
	v_cndmask_b32_e64 v4, v4, v66, s[16:17]
	v_cmp_lt_i32_e64 s[16:17], v67, v56
	s_or_b64 s[18:19], s[18:19], s[20:21]
	s_and_b64 s[16:17], s[16:17], s[18:19]
	v_cndmask_b32_e64 v67, v71, v67, s[16:17]
	s_barrier
	ds_write_b8 v5, v2
	ds_write_b8 v5, v3 offset:1
	s_waitcnt lgkmcnt(0)
	s_barrier
	ds_read_u8 v66, v4
	ds_read_u8 v67, v67
	v_mov_b32_e32 v2, v59
	v_cndmask_b32_e64 v69, v70, v69, s[16:17]
	s_waitcnt lgkmcnt(0)
	s_barrier
	ds_write_b8 v5, v68
	ds_write_b8 v5, v69 offset:1
	s_waitcnt lgkmcnt(0)
	s_barrier
	s_and_saveexec_b64 s[18:19], s[14:15]
	s_cbranch_execz .LBB113_70
; %bb.67:                               ;   in Loop: Header=BB113_2 Depth=1
	s_mov_b64 s[20:21], 0
	v_mov_b32_e32 v2, v59
	v_mov_b32_e32 v3, v60
.LBB113_68:                             ;   Parent Loop BB113_2 Depth=1
                                        ; =>  This Inner Loop Header: Depth=2
	v_sub_u32_e32 v4, v3, v2
	v_lshrrev_b32_e32 v68, 31, v4
	v_add_u32_e32 v4, v4, v68
	v_ashrrev_i32_e32 v4, 1, v4
	v_add_u32_e32 v4, v4, v2
	v_not_b32_e32 v68, v4
	v_add3_u32 v68, v5, v68, v52
	ds_read_u8 v69, v4
	ds_read_u8 v68, v68
	v_add_u32_e32 v70, 1, v4
	s_waitcnt lgkmcnt(0)
	v_cmp_lt_u16_e64 s[16:17], v68, v69
	s_nop 1
	v_cndmask_b32_e64 v3, v3, v4, s[16:17]
	v_cndmask_b32_e64 v2, v70, v2, s[16:17]
	v_cmp_ge_i32_e64 s[16:17], v2, v3
	s_or_b64 s[20:21], s[16:17], s[20:21]
	s_andn2_b64 exec, exec, s[20:21]
	s_cbranch_execnz .LBB113_68
; %bb.69:                               ;   in Loop: Header=BB113_2 Depth=1
	s_or_b64 exec, exec, s[20:21]
.LBB113_70:                             ;   in Loop: Header=BB113_2 Depth=1
	s_or_b64 exec, exec, s[18:19]
	v_sub_u32_e32 v4, v65, v2
	ds_read_u8 v68, v2
	ds_read_u8 v69, v4
	v_cmp_le_i32_e64 s[18:19], v52, v2
	v_cmp_gt_i32_e64 s[16:17], s29, v4
                                        ; implicit-def: $vgpr71
                                        ; implicit-def: $vgpr3
                                        ; implicit-def: $vgpr70
	s_waitcnt lgkmcnt(0)
	v_cmp_lt_u16_sdwa s[20:21], v69, v68 src0_sel:BYTE_0 src1_sel:BYTE_0
	s_or_b64 s[18:19], s[18:19], s[20:21]
	s_and_b64 s[16:17], s[16:17], s[18:19]
	s_xor_b64 s[18:19], s[16:17], -1
	s_and_saveexec_b64 s[20:21], s[18:19]
	s_xor_b64 s[18:19], exec, s[20:21]
	s_cbranch_execz .LBB113_72
; %bb.71:                               ;   in Loop: Header=BB113_2 Depth=1
	ds_read_u8 v3, v2 offset:1
	v_add_u32_e32 v70, 1, v2
	v_mov_b32_e32 v71, v69
.LBB113_72:                             ;   in Loop: Header=BB113_2 Depth=1
	s_andn2_saveexec_b64 s[18:19], s[18:19]
	s_cbranch_execz .LBB113_1
; %bb.73:                               ;   in Loop: Header=BB113_2 Depth=1
	ds_read_u8 v71, v4 offset:1
	v_mov_b32_e32 v70, v2
	v_add_u32_e32 v72, 1, v4
	s_waitcnt lgkmcnt(1)
	v_mov_b64_e32 v[2:3], v[4:5]
	v_mov_b32_e32 v4, v72
	v_mov_b32_e32 v3, v68
	s_branch .LBB113_1
.LBB113_74:
	s_add_u32 s0, s22, s26
	s_addc_u32 s1, s23, 0
	v_add_u16_e32 v2, v67, v4
	v_lshl_add_u64 v[0:1], s[0:1], 0, v[0:1]
	v_add_u16_e32 v3, v71, v66
	global_store_byte v[0:1], v2, off
	global_store_byte v[0:1], v3, off offset:512
	s_endpgm
	.section	.rodata,"a",@progbits
	.p2align	6, 0x0
	.amdhsa_kernel _Z17sort_pairs_kernelIhLj512ELj2EN10test_utils4lessELj10EEvPKT_PS2_T2_
		.amdhsa_group_segment_fixed_size 1025
		.amdhsa_private_segment_fixed_size 0
		.amdhsa_kernarg_size 20
		.amdhsa_user_sgpr_count 2
		.amdhsa_user_sgpr_dispatch_ptr 0
		.amdhsa_user_sgpr_queue_ptr 0
		.amdhsa_user_sgpr_kernarg_segment_ptr 1
		.amdhsa_user_sgpr_dispatch_id 0
		.amdhsa_user_sgpr_kernarg_preload_length 0
		.amdhsa_user_sgpr_kernarg_preload_offset 0
		.amdhsa_user_sgpr_private_segment_size 0
		.amdhsa_uses_dynamic_stack 0
		.amdhsa_enable_private_segment 0
		.amdhsa_system_sgpr_workgroup_id_x 1
		.amdhsa_system_sgpr_workgroup_id_y 0
		.amdhsa_system_sgpr_workgroup_id_z 0
		.amdhsa_system_sgpr_workgroup_info 0
		.amdhsa_system_vgpr_workitem_id 0
		.amdhsa_next_free_vgpr 73
		.amdhsa_next_free_sgpr 30
		.amdhsa_accum_offset 76
		.amdhsa_reserve_vcc 1
		.amdhsa_float_round_mode_32 0
		.amdhsa_float_round_mode_16_64 0
		.amdhsa_float_denorm_mode_32 3
		.amdhsa_float_denorm_mode_16_64 3
		.amdhsa_dx10_clamp 1
		.amdhsa_ieee_mode 1
		.amdhsa_fp16_overflow 0
		.amdhsa_tg_split 0
		.amdhsa_exception_fp_ieee_invalid_op 0
		.amdhsa_exception_fp_denorm_src 0
		.amdhsa_exception_fp_ieee_div_zero 0
		.amdhsa_exception_fp_ieee_overflow 0
		.amdhsa_exception_fp_ieee_underflow 0
		.amdhsa_exception_fp_ieee_inexact 0
		.amdhsa_exception_int_div_zero 0
	.end_amdhsa_kernel
	.section	.text._Z17sort_pairs_kernelIhLj512ELj2EN10test_utils4lessELj10EEvPKT_PS2_T2_,"axG",@progbits,_Z17sort_pairs_kernelIhLj512ELj2EN10test_utils4lessELj10EEvPKT_PS2_T2_,comdat
.Lfunc_end113:
	.size	_Z17sort_pairs_kernelIhLj512ELj2EN10test_utils4lessELj10EEvPKT_PS2_T2_, .Lfunc_end113-_Z17sort_pairs_kernelIhLj512ELj2EN10test_utils4lessELj10EEvPKT_PS2_T2_
                                        ; -- End function
	.section	.AMDGPU.csdata,"",@progbits
; Kernel info:
; codeLenInByte = 4588
; NumSgprs: 36
; NumVgprs: 73
; NumAgprs: 0
; TotalNumVgprs: 73
; ScratchSize: 0
; MemoryBound: 0
; FloatMode: 240
; IeeeMode: 1
; LDSByteSize: 1025 bytes/workgroup (compile time only)
; SGPRBlocks: 4
; VGPRBlocks: 9
; NumSGPRsForWavesPerEU: 36
; NumVGPRsForWavesPerEU: 73
; AccumOffset: 76
; Occupancy: 6
; WaveLimiterHint : 1
; COMPUTE_PGM_RSRC2:SCRATCH_EN: 0
; COMPUTE_PGM_RSRC2:USER_SGPR: 2
; COMPUTE_PGM_RSRC2:TRAP_HANDLER: 0
; COMPUTE_PGM_RSRC2:TGID_X_EN: 1
; COMPUTE_PGM_RSRC2:TGID_Y_EN: 0
; COMPUTE_PGM_RSRC2:TGID_Z_EN: 0
; COMPUTE_PGM_RSRC2:TIDIG_COMP_CNT: 0
; COMPUTE_PGM_RSRC3_GFX90A:ACCUM_OFFSET: 18
; COMPUTE_PGM_RSRC3_GFX90A:TG_SPLIT: 0
	.section	.text._Z16sort_keys_kernelIhLj512ELj3EN10test_utils4lessELj10EEvPKT_PS2_T2_,"axG",@progbits,_Z16sort_keys_kernelIhLj512ELj3EN10test_utils4lessELj10EEvPKT_PS2_T2_,comdat
	.protected	_Z16sort_keys_kernelIhLj512ELj3EN10test_utils4lessELj10EEvPKT_PS2_T2_ ; -- Begin function _Z16sort_keys_kernelIhLj512ELj3EN10test_utils4lessELj10EEvPKT_PS2_T2_
	.globl	_Z16sort_keys_kernelIhLj512ELj3EN10test_utils4lessELj10EEvPKT_PS2_T2_
	.p2align	8
	.type	_Z16sort_keys_kernelIhLj512ELj3EN10test_utils4lessELj10EEvPKT_PS2_T2_,@function
_Z16sort_keys_kernelIhLj512ELj3EN10test_utils4lessELj10EEvPKT_PS2_T2_: ; @_Z16sort_keys_kernelIhLj512ELj3EN10test_utils4lessELj10EEvPKT_PS2_T2_
; %bb.0:
	s_load_dwordx4 s[20:23], s[0:1], 0x0
	s_mul_i32 s24, s2, 0x600
	v_and_b32_e32 v3, 0x1fe, v0
	v_and_b32_e32 v5, 0x1fc, v0
	;; [unrolled: 1-line block ×3, first 2 shown]
	s_waitcnt lgkmcnt(0)
	s_add_u32 s0, s20, s24
	s_addc_u32 s1, s21, 0
	global_load_ubyte v32, v0, s[0:1]
	global_load_ubyte v33, v0, s[0:1] offset:512
	global_load_ubyte v34, v0, s[0:1] offset:1024
	v_mul_u32_u24_e32 v9, 3, v3
	v_and_b32_e32 v4, 1, v0
	v_and_b32_e32 v6, 0x1f8, v0
	v_mul_u32_u24_e32 v10, 3, v5
	v_mul_u32_u24_e32 v35, 3, v8
	v_min_u32_e32 v13, 0x5fd, v9
	v_min_u32_e32 v14, 0x5fa, v9
	v_cmp_eq_u32_e32 vcc, 1, v4
	v_mul_u32_u24_e32 v11, 3, v6
	v_min_u32_e32 v15, 0x5fa, v10
	v_min_u32_e32 v16, 0x5f4, v10
	;; [unrolled: 1-line block ×3, first 2 shown]
	v_add_u32_e32 v13, 3, v13
	v_add_u32_e32 v14, 6, v14
	v_and_b32_e32 v21, 3, v0
	v_and_b32_e32 v7, 0x1f0, v0
	;; [unrolled: 1-line block ×3, first 2 shown]
	v_cndmask_b32_e64 v3, 0, 3, vcc
	v_min_u32_e32 v17, 0x5f4, v11
	v_min_u32_e32 v18, 0x5e8, v11
	v_add_u32_e32 v15, 6, v15
	v_add_u32_e32 v16, 12, v16
	v_sub_u32_e32 v28, v14, v13
	v_and_b32_e32 v22, 7, v0
	v_mul_u32_u24_e32 v4, 3, v21
	v_mul_u32_u24_e32 v12, 3, v7
	;; [unrolled: 1-line block ×3, first 2 shown]
	v_add_u32_e32 v17, 12, v17
	v_add_u32_e32 v18, 24, v18
	v_sub_u32_e32 v29, v16, v15
	v_sub_u32_e32 v38, v3, v28
	v_cmp_ge_i32_e32 vcc, v3, v28
	v_mul_u32_u24_e32 v5, 3, v22
	v_sub_u32_e32 v30, v18, v17
	v_sub_u32_e32 v39, v4, v29
	v_cndmask_b32_e32 v28, 0, v38, vcc
	v_cmp_ge_i32_e32 vcc, v4, v29
	v_min_u32_e32 v19, 0x5e8, v12
	v_min_u32_e32 v20, 0x5d0, v12
	v_sub_u32_e32 v40, v5, v30
	v_cndmask_b32_e32 v29, 0, v39, vcc
	v_cmp_ge_i32_e32 vcc, v5, v30
	v_and_b32_e32 v23, 15, v0
	v_add_u32_e32 v19, 24, v19
	v_add_u32_e32 v20, 48, v20
	v_cndmask_b32_e32 v30, 0, v40, vcc
	v_mul_u32_u24_e32 v6, 3, v23
	v_sub_u32_e32 v31, v20, v19
	v_sub_u32_e32 v41, v6, v31
	v_cmp_ge_i32_e32 vcc, v6, v31
	v_and_b32_e32 v43, 63, v0
	v_and_b32_e32 v50, 0x7f, v0
	v_cndmask_b32_e32 v31, 0, v41, vcc
	v_and_b32_e32 v58, 0xff, v0
	v_min_u32_e32 v8, 0x600, v9
	v_min_u32_e32 v9, 0x600, v10
	;; [unrolled: 1-line block ×5, first 2 shown]
	v_mul_u32_u24_e32 v2, 3, v0
	v_sub_u32_e32 v24, v13, v8
	v_sub_u32_e32 v25, v15, v9
	;; [unrolled: 1-line block ×4, first 2 shown]
	v_mov_b32_e32 v54, 0x300
	v_min_i32_e32 v24, v3, v24
	v_min_i32_e32 v25, v4, v25
	;; [unrolled: 1-line block ×5, first 2 shown]
	s_movk_i32 s25, 0x600
	s_mov_b32 s26, 0
	v_mov_b32_e32 v1, 0
	v_mad_u32_u24 v21, v21, 3, v15
	v_mad_u32_u24 v22, v22, 3, v17
	;; [unrolled: 1-line block ×3, first 2 shown]
	v_cmp_lt_i32_e32 vcc, v28, v24
	v_cmp_lt_i32_e64 s[0:1], v29, v25
	s_waitcnt vmcnt(1)
	v_lshlrev_b16_e32 v33, 8, v33
	v_or_b32_e32 v32, v32, v33
	v_and_b32_e32 v32, 0xffff, v32
	v_min_u32_e32 v33, 0x5a0, v35
	s_waitcnt vmcnt(0)
	v_lshl_or_b32 v63, v34, 16, v32
	v_add_u32_e32 v32, 48, v37
	v_add_u32_e32 v33, 0x60, v33
	v_sub_u32_e32 v34, v33, v32
	v_sub_u32_e32 v37, v7, v34
	v_cmp_ge_i32_e64 s[6:7], v7, v34
	v_sub_u32_e32 v35, v32, v12
	v_min_i32_e32 v35, v7, v35
	v_cndmask_b32_e64 v34, 0, v37, s[6:7]
	v_and_b32_e32 v37, 0x1c0, v0
	v_mul_u32_u24_e32 v40, 3, v37
	v_min_u32_e32 v38, 0x600, v40
	v_min_u32_e32 v39, 0x5a0, v40
	v_min_u32_e32 v40, 0x540, v40
	v_add_u32_e32 v39, 0x60, v39
	v_add_u32_e32 v40, 0xc0, v40
	v_mul_u32_u24_e32 v37, 3, v43
	v_sub_u32_e32 v41, v40, v39
	v_sub_u32_e32 v44, v37, v41
	v_cmp_ge_i32_e64 s[8:9], v37, v41
	v_sub_u32_e32 v42, v39, v38
	v_min_i32_e32 v42, v37, v42
	v_cndmask_b32_e64 v41, 0, v44, s[8:9]
	v_and_b32_e32 v44, 0x180, v0
	v_mul_u32_u24_e32 v47, 3, v44
	v_min_u32_e32 v45, 0x600, v47
	v_min_u32_e32 v46, 0x540, v47
	v_min_u32_e32 v47, 0x480, v47
	v_add_u32_e32 v46, 0xc0, v46
	v_add_u32_e32 v47, 0x180, v47
	v_mul_u32_u24_e32 v44, 3, v50
	;; [unrolled: 14-line block ×3, first 2 shown]
	v_sub_u32_e32 v56, v55, v53
	v_sub_u32_e32 v57, v51, v56
	;; [unrolled: 1-line block ×3, first 2 shown]
	v_cmp_ge_i32_e64 s[12:13], v51, v56
	v_cmp_lt_i32_e64 s[2:3], v30, v26
	v_cmp_lt_i32_e64 s[4:5], v31, v27
	v_cndmask_b32_e64 v56, 0, v57, s[12:13]
	v_min_i32_e32 v57, v51, v59
	v_sub_u32_e64 v59, v2, v54 clamp
	v_cmp_lt_i32_e64 s[6:7], v34, v35
	v_mad_u32_u24 v36, v36, 3, v32
	v_cmp_lt_i32_e64 s[8:9], v41, v42
	v_mad_u32_u24 v43, v43, 3, v39
	;; [unrolled: 2-line block ×3, first 2 shown]
	s_movk_i32 s27, 0xff
	v_cmp_lt_i32_e64 s[12:13], v56, v57
	v_mad_u32_u24 v58, v58, 3, v53
	v_cmp_lt_i32_e64 s[14:15], v59, v60
	s_mov_b32 s28, 0x7060405
	s_movk_i32 s29, 0xff00
	s_mov_b32 s30, 0xffff0000
	v_add_u32_e32 v61, v13, v3
	v_mad_u32_u24 v62, v0, 3, v54
	s_branch .LBB114_2
.LBB114_1:                              ;   in Loop: Header=BB114_2 Depth=1
	s_or_b64 exec, exec, s[20:21]
	v_cndmask_b32_e64 v66, v67, v66, s[18:19]
	v_cmp_ge_i32_e64 s[18:19], v70, v54
	s_waitcnt lgkmcnt(0)
	v_cmp_lt_u16_sdwa s[20:21], v71, v65 src0_sel:BYTE_0 src1_sel:BYTE_0
	v_cndmask_b32_e64 v64, v63, v64, s[16:17]
	v_cmp_gt_i32_e64 s[16:17], s25, v68
	s_or_b64 s[18:19], s[18:19], s[20:21]
	s_and_b64 s[16:17], s[16:17], s[18:19]
	v_cndmask_b32_e64 v65, v65, v71, s[16:17]
	v_lshlrev_b16_e32 v63, 8, v66
	v_and_b32_e32 v67, 0xff, v65
	v_or_b32_sdwa v63, v64, v63 dst_sel:DWORD dst_unused:UNUSED_PAD src0_sel:BYTE_0 src1_sel:DWORD
	v_lshlrev_b32_e32 v67, 16, v67
	s_add_i32 s26, s26, 1
	s_cmp_eq_u32 s26, 10
	v_or_b32_sdwa v63, v63, v67 dst_sel:DWORD dst_unused:UNUSED_PAD src0_sel:WORD_0 src1_sel:DWORD
	s_cbranch_scc1 .LBB114_110
.LBB114_2:                              ; =>This Loop Header: Depth=1
                                        ;     Child Loop BB114_4 Depth 2
                                        ;     Child Loop BB114_16 Depth 2
	;; [unrolled: 1-line block ×9, first 2 shown]
	v_lshrrev_b32_e32 v65, 8, v63
	v_perm_b32 v64, v63, v63, s28
	v_cmp_lt_u16_sdwa s[16:17], v65, v63 src0_sel:BYTE_0 src1_sel:BYTE_0
	v_mov_b32_e32 v68, 8
	v_max_u16_sdwa v67, v65, v63 dst_sel:DWORD dst_unused:UNUSED_PAD src0_sel:BYTE_0 src1_sel:BYTE_0
	v_cndmask_b32_e64 v64, v63, v64, s[16:17]
	v_and_b32_sdwa v66, v64, s29 dst_sel:DWORD dst_unused:UNUSED_PAD src0_sel:WORD_1 src1_sel:DWORD
	v_lshlrev_b16_sdwa v68, v68, v64 dst_sel:DWORD dst_unused:UNUSED_PAD src0_sel:DWORD src1_sel:WORD_1
	v_or_b32_sdwa v66, v67, v66 dst_sel:WORD_1 dst_unused:UNUSED_PAD src0_sel:DWORD src1_sel:DWORD
	v_min_u16_sdwa v63, v65, v63 dst_sel:DWORD dst_unused:UNUSED_PAD src0_sel:BYTE_0 src1_sel:BYTE_0
	v_and_b32_sdwa v65, v64, s27 dst_sel:DWORD dst_unused:UNUSED_PAD src0_sel:WORD_1 src1_sel:DWORD
	v_or_b32_sdwa v68, v64, v68 dst_sel:DWORD dst_unused:UNUSED_PAD src0_sel:BYTE_0 src1_sel:DWORD
	v_or_b32_sdwa v66, v68, v66 dst_sel:DWORD dst_unused:UNUSED_PAD src0_sel:WORD_0 src1_sel:DWORD
	v_cmp_lt_u16_e64 s[16:17], v65, v67
	s_barrier
	s_nop 0
	v_cndmask_b32_e64 v64, v64, v66, s[16:17]
	v_min_u16_e32 v66, v65, v67
	v_lshlrev_b16_e32 v67, 8, v63
	v_or_b32_e32 v66, v66, v67
	v_and_b32_e32 v66, 0xffff, v66
	v_and_or_b32 v66, v64, s30, v66
	v_cmp_lt_u16_e64 s[16:17], v65, v63
	s_nop 1
	v_cndmask_b32_e64 v63, v64, v66, s[16:17]
	v_lshrrev_b32_e32 v64, 8, v63
	ds_write_b8 v2, v63
	ds_write_b8 v2, v64 offset:1
	ds_write_b8_d16_hi v2, v63 offset:2
	v_mov_b32_e32 v63, v28
	s_waitcnt lgkmcnt(0)
	s_barrier
	s_and_saveexec_b64 s[18:19], vcc
	s_cbranch_execz .LBB114_6
; %bb.3:                                ;   in Loop: Header=BB114_2 Depth=1
	s_mov_b64 s[20:21], 0
	v_mov_b32_e32 v63, v28
	v_mov_b32_e32 v64, v24
.LBB114_4:                              ;   Parent Loop BB114_2 Depth=1
                                        ; =>  This Inner Loop Header: Depth=2
	v_sub_u32_e32 v65, v64, v63
	v_lshrrev_b32_e32 v66, 31, v65
	v_add_u32_e32 v65, v65, v66
	v_ashrrev_i32_e32 v65, 1, v65
	v_add_u32_e32 v65, v65, v63
	v_not_b32_e32 v67, v65
	v_add_u32_e32 v66, v8, v65
	v_add3_u32 v67, v3, v67, v13
	ds_read_u8 v66, v66
	ds_read_u8 v67, v67
	v_add_u32_e32 v68, 1, v65
	s_waitcnt lgkmcnt(0)
	v_cmp_lt_u16_e64 s[16:17], v67, v66
	s_nop 1
	v_cndmask_b32_e64 v64, v64, v65, s[16:17]
	v_cndmask_b32_e64 v63, v68, v63, s[16:17]
	v_cmp_ge_i32_e64 s[16:17], v63, v64
	s_or_b64 s[20:21], s[16:17], s[20:21]
	s_andn2_b64 exec, exec, s[20:21]
	s_cbranch_execnz .LBB114_4
; %bb.5:                                ;   in Loop: Header=BB114_2 Depth=1
	s_or_b64 exec, exec, s[20:21]
.LBB114_6:                              ;   in Loop: Header=BB114_2 Depth=1
	s_or_b64 exec, exec, s[18:19]
	v_add_u32_e32 v67, v63, v8
	v_sub_u32_e32 v68, v61, v63
	ds_read_u8 v63, v67
	ds_read_u8 v64, v68
	v_cmp_le_i32_e64 s[18:19], v13, v67
	v_cmp_gt_i32_e64 s[16:17], v14, v68
                                        ; implicit-def: $vgpr65
                                        ; implicit-def: $vgpr66
	s_waitcnt lgkmcnt(0)
	v_cmp_lt_u16_sdwa s[20:21], v64, v63 src0_sel:BYTE_0 src1_sel:BYTE_0
	s_or_b64 s[18:19], s[18:19], s[20:21]
	s_and_b64 s[16:17], s[16:17], s[18:19]
	s_xor_b64 s[18:19], s[16:17], -1
	s_and_saveexec_b64 s[20:21], s[18:19]
	s_xor_b64 s[18:19], exec, s[20:21]
	s_cbranch_execz .LBB114_8
; %bb.7:                                ;   in Loop: Header=BB114_2 Depth=1
	ds_read_u8 v66, v67 offset:1
	v_mov_b32_e32 v65, v64
.LBB114_8:                              ;   in Loop: Header=BB114_2 Depth=1
	s_andn2_saveexec_b64 s[18:19], s[18:19]
	s_cbranch_execz .LBB114_10
; %bb.9:                                ;   in Loop: Header=BB114_2 Depth=1
	ds_read_u8 v65, v68 offset:1
	s_waitcnt lgkmcnt(1)
	v_mov_b32_e32 v66, v63
.LBB114_10:                             ;   in Loop: Header=BB114_2 Depth=1
	s_or_b64 exec, exec, s[18:19]
	v_add_u32_e32 v70, 1, v67
	v_add_u32_e32 v69, 1, v68
	v_cndmask_b32_e64 v67, v70, v67, s[16:17]
	v_cndmask_b32_e64 v68, v68, v69, s[16:17]
	v_cmp_ge_i32_e64 s[20:21], v67, v13
	s_waitcnt lgkmcnt(0)
	v_cmp_lt_u16_sdwa s[34:35], v65, v66 src0_sel:BYTE_0 src1_sel:BYTE_0
	v_cmp_lt_i32_e64 s[18:19], v68, v14
	s_or_b64 s[20:21], s[20:21], s[34:35]
	s_and_b64 s[18:19], s[18:19], s[20:21]
	s_xor_b64 s[20:21], s[18:19], -1
                                        ; implicit-def: $vgpr69
	s_and_saveexec_b64 s[34:35], s[20:21]
	s_xor_b64 s[20:21], exec, s[34:35]
	s_cbranch_execz .LBB114_12
; %bb.11:                               ;   in Loop: Header=BB114_2 Depth=1
	ds_read_u8 v69, v67 offset:1
.LBB114_12:                             ;   in Loop: Header=BB114_2 Depth=1
	s_or_saveexec_b64 s[20:21], s[20:21]
	v_mov_b32_e32 v70, v65
	s_xor_b64 exec, exec, s[20:21]
	s_cbranch_execz .LBB114_14
; %bb.13:                               ;   in Loop: Header=BB114_2 Depth=1
	ds_read_u8 v70, v68 offset:1
	s_waitcnt lgkmcnt(1)
	v_mov_b32_e32 v69, v66
.LBB114_14:                             ;   in Loop: Header=BB114_2 Depth=1
	s_or_b64 exec, exec, s[20:21]
	v_add_u32_e32 v71, 1, v67
	v_cndmask_b32_e64 v65, v66, v65, s[18:19]
	v_add_u32_e32 v66, 1, v68
	v_cndmask_b32_e64 v67, v71, v67, s[18:19]
	v_cndmask_b32_e64 v66, v68, v66, s[18:19]
	v_cmp_ge_i32_e64 s[18:19], v67, v13
	s_waitcnt lgkmcnt(0)
	v_cmp_lt_u16_sdwa s[20:21], v70, v69 src0_sel:BYTE_0 src1_sel:BYTE_0
	v_cndmask_b32_e64 v63, v63, v64, s[16:17]
	v_cmp_lt_i32_e64 s[16:17], v66, v14
	s_or_b64 s[18:19], s[18:19], s[20:21]
	s_and_b64 s[16:17], s[16:17], s[18:19]
	v_cndmask_b32_e64 v64, v69, v70, s[16:17]
	s_barrier
	ds_write_b8 v2, v63
	ds_write_b8 v2, v65 offset:1
	ds_write_b8 v2, v64 offset:2
	v_mov_b32_e32 v63, v29
	s_waitcnt lgkmcnt(0)
	s_barrier
	s_and_saveexec_b64 s[18:19], s[0:1]
	s_cbranch_execz .LBB114_18
; %bb.15:                               ;   in Loop: Header=BB114_2 Depth=1
	s_mov_b64 s[20:21], 0
	v_mov_b32_e32 v63, v29
	v_mov_b32_e32 v64, v25
.LBB114_16:                             ;   Parent Loop BB114_2 Depth=1
                                        ; =>  This Inner Loop Header: Depth=2
	v_sub_u32_e32 v65, v64, v63
	v_lshrrev_b32_e32 v66, 31, v65
	v_add_u32_e32 v65, v65, v66
	v_ashrrev_i32_e32 v65, 1, v65
	v_add_u32_e32 v65, v65, v63
	v_not_b32_e32 v67, v65
	v_add_u32_e32 v66, v9, v65
	v_add3_u32 v67, v4, v67, v15
	ds_read_u8 v66, v66
	ds_read_u8 v67, v67
	v_add_u32_e32 v68, 1, v65
	s_waitcnt lgkmcnt(0)
	v_cmp_lt_u16_e64 s[16:17], v67, v66
	s_nop 1
	v_cndmask_b32_e64 v64, v64, v65, s[16:17]
	v_cndmask_b32_e64 v63, v68, v63, s[16:17]
	v_cmp_ge_i32_e64 s[16:17], v63, v64
	s_or_b64 s[20:21], s[16:17], s[20:21]
	s_andn2_b64 exec, exec, s[20:21]
	s_cbranch_execnz .LBB114_16
; %bb.17:                               ;   in Loop: Header=BB114_2 Depth=1
	s_or_b64 exec, exec, s[20:21]
.LBB114_18:                             ;   in Loop: Header=BB114_2 Depth=1
	s_or_b64 exec, exec, s[18:19]
	v_add_u32_e32 v67, v63, v9
	v_sub_u32_e32 v68, v21, v63
	ds_read_u8 v63, v67
	ds_read_u8 v64, v68
	v_cmp_le_i32_e64 s[18:19], v15, v67
	v_cmp_gt_i32_e64 s[16:17], v16, v68
                                        ; implicit-def: $vgpr65
                                        ; implicit-def: $vgpr66
	s_waitcnt lgkmcnt(0)
	v_cmp_lt_u16_sdwa s[20:21], v64, v63 src0_sel:BYTE_0 src1_sel:BYTE_0
	s_or_b64 s[18:19], s[18:19], s[20:21]
	s_and_b64 s[16:17], s[16:17], s[18:19]
	s_xor_b64 s[18:19], s[16:17], -1
	s_and_saveexec_b64 s[20:21], s[18:19]
	s_xor_b64 s[18:19], exec, s[20:21]
	s_cbranch_execz .LBB114_20
; %bb.19:                               ;   in Loop: Header=BB114_2 Depth=1
	ds_read_u8 v66, v67 offset:1
	v_mov_b32_e32 v65, v64
.LBB114_20:                             ;   in Loop: Header=BB114_2 Depth=1
	s_andn2_saveexec_b64 s[18:19], s[18:19]
	s_cbranch_execz .LBB114_22
; %bb.21:                               ;   in Loop: Header=BB114_2 Depth=1
	ds_read_u8 v65, v68 offset:1
	s_waitcnt lgkmcnt(1)
	v_mov_b32_e32 v66, v63
.LBB114_22:                             ;   in Loop: Header=BB114_2 Depth=1
	s_or_b64 exec, exec, s[18:19]
	v_add_u32_e32 v70, 1, v67
	v_add_u32_e32 v69, 1, v68
	v_cndmask_b32_e64 v67, v70, v67, s[16:17]
	v_cndmask_b32_e64 v68, v68, v69, s[16:17]
	v_cmp_ge_i32_e64 s[20:21], v67, v15
	s_waitcnt lgkmcnt(0)
	v_cmp_lt_u16_sdwa s[34:35], v65, v66 src0_sel:BYTE_0 src1_sel:BYTE_0
	v_cmp_lt_i32_e64 s[18:19], v68, v16
	s_or_b64 s[20:21], s[20:21], s[34:35]
	s_and_b64 s[18:19], s[18:19], s[20:21]
	s_xor_b64 s[20:21], s[18:19], -1
                                        ; implicit-def: $vgpr69
	s_and_saveexec_b64 s[34:35], s[20:21]
	s_xor_b64 s[20:21], exec, s[34:35]
	s_cbranch_execz .LBB114_24
; %bb.23:                               ;   in Loop: Header=BB114_2 Depth=1
	ds_read_u8 v69, v67 offset:1
.LBB114_24:                             ;   in Loop: Header=BB114_2 Depth=1
	s_or_saveexec_b64 s[20:21], s[20:21]
	v_mov_b32_e32 v70, v65
	s_xor_b64 exec, exec, s[20:21]
	s_cbranch_execz .LBB114_26
; %bb.25:                               ;   in Loop: Header=BB114_2 Depth=1
	ds_read_u8 v70, v68 offset:1
	s_waitcnt lgkmcnt(1)
	v_mov_b32_e32 v69, v66
.LBB114_26:                             ;   in Loop: Header=BB114_2 Depth=1
	s_or_b64 exec, exec, s[20:21]
	v_add_u32_e32 v71, 1, v67
	v_cndmask_b32_e64 v65, v66, v65, s[18:19]
	v_add_u32_e32 v66, 1, v68
	v_cndmask_b32_e64 v67, v71, v67, s[18:19]
	v_cndmask_b32_e64 v66, v68, v66, s[18:19]
	v_cmp_ge_i32_e64 s[18:19], v67, v15
	s_waitcnt lgkmcnt(0)
	v_cmp_lt_u16_sdwa s[20:21], v70, v69 src0_sel:BYTE_0 src1_sel:BYTE_0
	v_cndmask_b32_e64 v63, v63, v64, s[16:17]
	v_cmp_lt_i32_e64 s[16:17], v66, v16
	s_or_b64 s[18:19], s[18:19], s[20:21]
	s_and_b64 s[16:17], s[16:17], s[18:19]
	v_cndmask_b32_e64 v64, v69, v70, s[16:17]
	s_barrier
	ds_write_b8 v2, v63
	ds_write_b8 v2, v65 offset:1
	ds_write_b8 v2, v64 offset:2
	v_mov_b32_e32 v63, v30
	s_waitcnt lgkmcnt(0)
	s_barrier
	s_and_saveexec_b64 s[18:19], s[2:3]
	s_cbranch_execz .LBB114_30
; %bb.27:                               ;   in Loop: Header=BB114_2 Depth=1
	s_mov_b64 s[20:21], 0
	v_mov_b32_e32 v63, v30
	v_mov_b32_e32 v64, v26
.LBB114_28:                             ;   Parent Loop BB114_2 Depth=1
                                        ; =>  This Inner Loop Header: Depth=2
	v_sub_u32_e32 v65, v64, v63
	v_lshrrev_b32_e32 v66, 31, v65
	v_add_u32_e32 v65, v65, v66
	v_ashrrev_i32_e32 v65, 1, v65
	v_add_u32_e32 v65, v65, v63
	v_not_b32_e32 v67, v65
	v_add_u32_e32 v66, v10, v65
	v_add3_u32 v67, v5, v67, v17
	ds_read_u8 v66, v66
	ds_read_u8 v67, v67
	v_add_u32_e32 v68, 1, v65
	s_waitcnt lgkmcnt(0)
	v_cmp_lt_u16_e64 s[16:17], v67, v66
	s_nop 1
	v_cndmask_b32_e64 v64, v64, v65, s[16:17]
	v_cndmask_b32_e64 v63, v68, v63, s[16:17]
	v_cmp_ge_i32_e64 s[16:17], v63, v64
	s_or_b64 s[20:21], s[16:17], s[20:21]
	s_andn2_b64 exec, exec, s[20:21]
	s_cbranch_execnz .LBB114_28
; %bb.29:                               ;   in Loop: Header=BB114_2 Depth=1
	s_or_b64 exec, exec, s[20:21]
.LBB114_30:                             ;   in Loop: Header=BB114_2 Depth=1
	s_or_b64 exec, exec, s[18:19]
	v_add_u32_e32 v67, v63, v10
	v_sub_u32_e32 v68, v22, v63
	ds_read_u8 v63, v67
	ds_read_u8 v64, v68
	v_cmp_le_i32_e64 s[18:19], v17, v67
	v_cmp_gt_i32_e64 s[16:17], v18, v68
                                        ; implicit-def: $vgpr65
                                        ; implicit-def: $vgpr66
	s_waitcnt lgkmcnt(0)
	v_cmp_lt_u16_sdwa s[20:21], v64, v63 src0_sel:BYTE_0 src1_sel:BYTE_0
	s_or_b64 s[18:19], s[18:19], s[20:21]
	s_and_b64 s[16:17], s[16:17], s[18:19]
	s_xor_b64 s[18:19], s[16:17], -1
	s_and_saveexec_b64 s[20:21], s[18:19]
	s_xor_b64 s[18:19], exec, s[20:21]
	s_cbranch_execz .LBB114_32
; %bb.31:                               ;   in Loop: Header=BB114_2 Depth=1
	ds_read_u8 v66, v67 offset:1
	v_mov_b32_e32 v65, v64
.LBB114_32:                             ;   in Loop: Header=BB114_2 Depth=1
	s_andn2_saveexec_b64 s[18:19], s[18:19]
	s_cbranch_execz .LBB114_34
; %bb.33:                               ;   in Loop: Header=BB114_2 Depth=1
	ds_read_u8 v65, v68 offset:1
	s_waitcnt lgkmcnt(1)
	v_mov_b32_e32 v66, v63
.LBB114_34:                             ;   in Loop: Header=BB114_2 Depth=1
	s_or_b64 exec, exec, s[18:19]
	v_add_u32_e32 v70, 1, v67
	v_add_u32_e32 v69, 1, v68
	v_cndmask_b32_e64 v67, v70, v67, s[16:17]
	v_cndmask_b32_e64 v68, v68, v69, s[16:17]
	v_cmp_ge_i32_e64 s[20:21], v67, v17
	s_waitcnt lgkmcnt(0)
	v_cmp_lt_u16_sdwa s[34:35], v65, v66 src0_sel:BYTE_0 src1_sel:BYTE_0
	v_cmp_lt_i32_e64 s[18:19], v68, v18
	s_or_b64 s[20:21], s[20:21], s[34:35]
	s_and_b64 s[18:19], s[18:19], s[20:21]
	s_xor_b64 s[20:21], s[18:19], -1
                                        ; implicit-def: $vgpr69
	s_and_saveexec_b64 s[34:35], s[20:21]
	s_xor_b64 s[20:21], exec, s[34:35]
	s_cbranch_execz .LBB114_36
; %bb.35:                               ;   in Loop: Header=BB114_2 Depth=1
	ds_read_u8 v69, v67 offset:1
.LBB114_36:                             ;   in Loop: Header=BB114_2 Depth=1
	s_or_saveexec_b64 s[20:21], s[20:21]
	v_mov_b32_e32 v70, v65
	s_xor_b64 exec, exec, s[20:21]
	s_cbranch_execz .LBB114_38
; %bb.37:                               ;   in Loop: Header=BB114_2 Depth=1
	ds_read_u8 v70, v68 offset:1
	s_waitcnt lgkmcnt(1)
	v_mov_b32_e32 v69, v66
.LBB114_38:                             ;   in Loop: Header=BB114_2 Depth=1
	s_or_b64 exec, exec, s[20:21]
	v_add_u32_e32 v71, 1, v67
	v_cndmask_b32_e64 v65, v66, v65, s[18:19]
	v_add_u32_e32 v66, 1, v68
	v_cndmask_b32_e64 v67, v71, v67, s[18:19]
	v_cndmask_b32_e64 v66, v68, v66, s[18:19]
	v_cmp_ge_i32_e64 s[18:19], v67, v17
	s_waitcnt lgkmcnt(0)
	v_cmp_lt_u16_sdwa s[20:21], v70, v69 src0_sel:BYTE_0 src1_sel:BYTE_0
	v_cndmask_b32_e64 v63, v63, v64, s[16:17]
	v_cmp_lt_i32_e64 s[16:17], v66, v18
	s_or_b64 s[18:19], s[18:19], s[20:21]
	s_and_b64 s[16:17], s[16:17], s[18:19]
	v_cndmask_b32_e64 v64, v69, v70, s[16:17]
	s_barrier
	ds_write_b8 v2, v63
	ds_write_b8 v2, v65 offset:1
	ds_write_b8 v2, v64 offset:2
	v_mov_b32_e32 v63, v31
	s_waitcnt lgkmcnt(0)
	s_barrier
	s_and_saveexec_b64 s[18:19], s[4:5]
	s_cbranch_execz .LBB114_42
; %bb.39:                               ;   in Loop: Header=BB114_2 Depth=1
	s_mov_b64 s[20:21], 0
	v_mov_b32_e32 v63, v31
	v_mov_b32_e32 v64, v27
.LBB114_40:                             ;   Parent Loop BB114_2 Depth=1
                                        ; =>  This Inner Loop Header: Depth=2
	v_sub_u32_e32 v65, v64, v63
	v_lshrrev_b32_e32 v66, 31, v65
	v_add_u32_e32 v65, v65, v66
	v_ashrrev_i32_e32 v65, 1, v65
	v_add_u32_e32 v65, v65, v63
	v_not_b32_e32 v67, v65
	v_add_u32_e32 v66, v11, v65
	v_add3_u32 v67, v6, v67, v19
	ds_read_u8 v66, v66
	ds_read_u8 v67, v67
	v_add_u32_e32 v68, 1, v65
	s_waitcnt lgkmcnt(0)
	v_cmp_lt_u16_e64 s[16:17], v67, v66
	s_nop 1
	v_cndmask_b32_e64 v64, v64, v65, s[16:17]
	v_cndmask_b32_e64 v63, v68, v63, s[16:17]
	v_cmp_ge_i32_e64 s[16:17], v63, v64
	s_or_b64 s[20:21], s[16:17], s[20:21]
	s_andn2_b64 exec, exec, s[20:21]
	s_cbranch_execnz .LBB114_40
; %bb.41:                               ;   in Loop: Header=BB114_2 Depth=1
	s_or_b64 exec, exec, s[20:21]
.LBB114_42:                             ;   in Loop: Header=BB114_2 Depth=1
	s_or_b64 exec, exec, s[18:19]
	v_add_u32_e32 v67, v63, v11
	v_sub_u32_e32 v68, v23, v63
	ds_read_u8 v63, v67
	ds_read_u8 v64, v68
	v_cmp_le_i32_e64 s[18:19], v19, v67
	v_cmp_gt_i32_e64 s[16:17], v20, v68
                                        ; implicit-def: $vgpr65
                                        ; implicit-def: $vgpr66
	s_waitcnt lgkmcnt(0)
	v_cmp_lt_u16_sdwa s[20:21], v64, v63 src0_sel:BYTE_0 src1_sel:BYTE_0
	s_or_b64 s[18:19], s[18:19], s[20:21]
	s_and_b64 s[16:17], s[16:17], s[18:19]
	s_xor_b64 s[18:19], s[16:17], -1
	s_and_saveexec_b64 s[20:21], s[18:19]
	s_xor_b64 s[18:19], exec, s[20:21]
	s_cbranch_execz .LBB114_44
; %bb.43:                               ;   in Loop: Header=BB114_2 Depth=1
	ds_read_u8 v66, v67 offset:1
	v_mov_b32_e32 v65, v64
.LBB114_44:                             ;   in Loop: Header=BB114_2 Depth=1
	s_andn2_saveexec_b64 s[18:19], s[18:19]
	s_cbranch_execz .LBB114_46
; %bb.45:                               ;   in Loop: Header=BB114_2 Depth=1
	ds_read_u8 v65, v68 offset:1
	s_waitcnt lgkmcnt(1)
	v_mov_b32_e32 v66, v63
.LBB114_46:                             ;   in Loop: Header=BB114_2 Depth=1
	s_or_b64 exec, exec, s[18:19]
	v_add_u32_e32 v70, 1, v67
	v_add_u32_e32 v69, 1, v68
	v_cndmask_b32_e64 v67, v70, v67, s[16:17]
	v_cndmask_b32_e64 v68, v68, v69, s[16:17]
	v_cmp_ge_i32_e64 s[20:21], v67, v19
	s_waitcnt lgkmcnt(0)
	v_cmp_lt_u16_sdwa s[34:35], v65, v66 src0_sel:BYTE_0 src1_sel:BYTE_0
	v_cmp_lt_i32_e64 s[18:19], v68, v20
	s_or_b64 s[20:21], s[20:21], s[34:35]
	s_and_b64 s[18:19], s[18:19], s[20:21]
	s_xor_b64 s[20:21], s[18:19], -1
                                        ; implicit-def: $vgpr69
	s_and_saveexec_b64 s[34:35], s[20:21]
	s_xor_b64 s[20:21], exec, s[34:35]
	s_cbranch_execz .LBB114_48
; %bb.47:                               ;   in Loop: Header=BB114_2 Depth=1
	ds_read_u8 v69, v67 offset:1
.LBB114_48:                             ;   in Loop: Header=BB114_2 Depth=1
	s_or_saveexec_b64 s[20:21], s[20:21]
	v_mov_b32_e32 v70, v65
	s_xor_b64 exec, exec, s[20:21]
	s_cbranch_execz .LBB114_50
; %bb.49:                               ;   in Loop: Header=BB114_2 Depth=1
	ds_read_u8 v70, v68 offset:1
	s_waitcnt lgkmcnt(1)
	v_mov_b32_e32 v69, v66
.LBB114_50:                             ;   in Loop: Header=BB114_2 Depth=1
	s_or_b64 exec, exec, s[20:21]
	v_add_u32_e32 v71, 1, v67
	v_cndmask_b32_e64 v65, v66, v65, s[18:19]
	v_add_u32_e32 v66, 1, v68
	v_cndmask_b32_e64 v67, v71, v67, s[18:19]
	v_cndmask_b32_e64 v66, v68, v66, s[18:19]
	v_cmp_ge_i32_e64 s[18:19], v67, v19
	s_waitcnt lgkmcnt(0)
	v_cmp_lt_u16_sdwa s[20:21], v70, v69 src0_sel:BYTE_0 src1_sel:BYTE_0
	v_cndmask_b32_e64 v63, v63, v64, s[16:17]
	v_cmp_lt_i32_e64 s[16:17], v66, v20
	s_or_b64 s[18:19], s[18:19], s[20:21]
	s_and_b64 s[16:17], s[16:17], s[18:19]
	v_cndmask_b32_e64 v64, v69, v70, s[16:17]
	s_barrier
	ds_write_b8 v2, v63
	ds_write_b8 v2, v65 offset:1
	ds_write_b8 v2, v64 offset:2
	v_mov_b32_e32 v63, v34
	s_waitcnt lgkmcnt(0)
	s_barrier
	s_and_saveexec_b64 s[18:19], s[6:7]
	s_cbranch_execz .LBB114_54
; %bb.51:                               ;   in Loop: Header=BB114_2 Depth=1
	s_mov_b64 s[20:21], 0
	v_mov_b32_e32 v63, v34
	v_mov_b32_e32 v64, v35
.LBB114_52:                             ;   Parent Loop BB114_2 Depth=1
                                        ; =>  This Inner Loop Header: Depth=2
	v_sub_u32_e32 v65, v64, v63
	v_lshrrev_b32_e32 v66, 31, v65
	v_add_u32_e32 v65, v65, v66
	v_ashrrev_i32_e32 v65, 1, v65
	v_add_u32_e32 v65, v65, v63
	v_not_b32_e32 v67, v65
	v_add_u32_e32 v66, v12, v65
	v_add3_u32 v67, v7, v67, v32
	ds_read_u8 v66, v66
	ds_read_u8 v67, v67
	v_add_u32_e32 v68, 1, v65
	s_waitcnt lgkmcnt(0)
	v_cmp_lt_u16_e64 s[16:17], v67, v66
	s_nop 1
	v_cndmask_b32_e64 v64, v64, v65, s[16:17]
	v_cndmask_b32_e64 v63, v68, v63, s[16:17]
	v_cmp_ge_i32_e64 s[16:17], v63, v64
	s_or_b64 s[20:21], s[16:17], s[20:21]
	s_andn2_b64 exec, exec, s[20:21]
	s_cbranch_execnz .LBB114_52
; %bb.53:                               ;   in Loop: Header=BB114_2 Depth=1
	s_or_b64 exec, exec, s[20:21]
.LBB114_54:                             ;   in Loop: Header=BB114_2 Depth=1
	s_or_b64 exec, exec, s[18:19]
	v_add_u32_e32 v67, v63, v12
	v_sub_u32_e32 v68, v36, v63
	ds_read_u8 v63, v67
	ds_read_u8 v64, v68
	v_cmp_le_i32_e64 s[18:19], v32, v67
	v_cmp_gt_i32_e64 s[16:17], v33, v68
                                        ; implicit-def: $vgpr65
                                        ; implicit-def: $vgpr66
	s_waitcnt lgkmcnt(0)
	v_cmp_lt_u16_sdwa s[20:21], v64, v63 src0_sel:BYTE_0 src1_sel:BYTE_0
	s_or_b64 s[18:19], s[18:19], s[20:21]
	s_and_b64 s[16:17], s[16:17], s[18:19]
	s_xor_b64 s[18:19], s[16:17], -1
	s_and_saveexec_b64 s[20:21], s[18:19]
	s_xor_b64 s[18:19], exec, s[20:21]
	s_cbranch_execz .LBB114_56
; %bb.55:                               ;   in Loop: Header=BB114_2 Depth=1
	ds_read_u8 v66, v67 offset:1
	v_mov_b32_e32 v65, v64
.LBB114_56:                             ;   in Loop: Header=BB114_2 Depth=1
	s_andn2_saveexec_b64 s[18:19], s[18:19]
	s_cbranch_execz .LBB114_58
; %bb.57:                               ;   in Loop: Header=BB114_2 Depth=1
	ds_read_u8 v65, v68 offset:1
	s_waitcnt lgkmcnt(1)
	v_mov_b32_e32 v66, v63
.LBB114_58:                             ;   in Loop: Header=BB114_2 Depth=1
	s_or_b64 exec, exec, s[18:19]
	v_add_u32_e32 v70, 1, v67
	v_add_u32_e32 v69, 1, v68
	v_cndmask_b32_e64 v67, v70, v67, s[16:17]
	v_cndmask_b32_e64 v68, v68, v69, s[16:17]
	v_cmp_ge_i32_e64 s[20:21], v67, v32
	s_waitcnt lgkmcnt(0)
	v_cmp_lt_u16_sdwa s[34:35], v65, v66 src0_sel:BYTE_0 src1_sel:BYTE_0
	v_cmp_lt_i32_e64 s[18:19], v68, v33
	s_or_b64 s[20:21], s[20:21], s[34:35]
	s_and_b64 s[18:19], s[18:19], s[20:21]
	s_xor_b64 s[20:21], s[18:19], -1
                                        ; implicit-def: $vgpr69
	s_and_saveexec_b64 s[34:35], s[20:21]
	s_xor_b64 s[20:21], exec, s[34:35]
	s_cbranch_execz .LBB114_60
; %bb.59:                               ;   in Loop: Header=BB114_2 Depth=1
	ds_read_u8 v69, v67 offset:1
.LBB114_60:                             ;   in Loop: Header=BB114_2 Depth=1
	s_or_saveexec_b64 s[20:21], s[20:21]
	v_mov_b32_e32 v70, v65
	s_xor_b64 exec, exec, s[20:21]
	s_cbranch_execz .LBB114_62
; %bb.61:                               ;   in Loop: Header=BB114_2 Depth=1
	ds_read_u8 v70, v68 offset:1
	s_waitcnt lgkmcnt(1)
	v_mov_b32_e32 v69, v66
.LBB114_62:                             ;   in Loop: Header=BB114_2 Depth=1
	s_or_b64 exec, exec, s[20:21]
	v_add_u32_e32 v71, 1, v67
	v_cndmask_b32_e64 v65, v66, v65, s[18:19]
	v_add_u32_e32 v66, 1, v68
	v_cndmask_b32_e64 v67, v71, v67, s[18:19]
	v_cndmask_b32_e64 v66, v68, v66, s[18:19]
	v_cmp_ge_i32_e64 s[18:19], v67, v32
	s_waitcnt lgkmcnt(0)
	v_cmp_lt_u16_sdwa s[20:21], v70, v69 src0_sel:BYTE_0 src1_sel:BYTE_0
	v_cndmask_b32_e64 v63, v63, v64, s[16:17]
	v_cmp_lt_i32_e64 s[16:17], v66, v33
	s_or_b64 s[18:19], s[18:19], s[20:21]
	s_and_b64 s[16:17], s[16:17], s[18:19]
	v_cndmask_b32_e64 v64, v69, v70, s[16:17]
	s_barrier
	ds_write_b8 v2, v63
	ds_write_b8 v2, v65 offset:1
	ds_write_b8 v2, v64 offset:2
	v_mov_b32_e32 v63, v41
	s_waitcnt lgkmcnt(0)
	s_barrier
	s_and_saveexec_b64 s[18:19], s[8:9]
	s_cbranch_execz .LBB114_66
; %bb.63:                               ;   in Loop: Header=BB114_2 Depth=1
	s_mov_b64 s[20:21], 0
	v_mov_b32_e32 v63, v41
	v_mov_b32_e32 v64, v42
.LBB114_64:                             ;   Parent Loop BB114_2 Depth=1
                                        ; =>  This Inner Loop Header: Depth=2
	v_sub_u32_e32 v65, v64, v63
	v_lshrrev_b32_e32 v66, 31, v65
	v_add_u32_e32 v65, v65, v66
	v_ashrrev_i32_e32 v65, 1, v65
	v_add_u32_e32 v65, v65, v63
	v_not_b32_e32 v67, v65
	v_add_u32_e32 v66, v38, v65
	v_add3_u32 v67, v37, v67, v39
	ds_read_u8 v66, v66
	ds_read_u8 v67, v67
	v_add_u32_e32 v68, 1, v65
	s_waitcnt lgkmcnt(0)
	v_cmp_lt_u16_e64 s[16:17], v67, v66
	s_nop 1
	v_cndmask_b32_e64 v64, v64, v65, s[16:17]
	v_cndmask_b32_e64 v63, v68, v63, s[16:17]
	v_cmp_ge_i32_e64 s[16:17], v63, v64
	s_or_b64 s[20:21], s[16:17], s[20:21]
	s_andn2_b64 exec, exec, s[20:21]
	s_cbranch_execnz .LBB114_64
; %bb.65:                               ;   in Loop: Header=BB114_2 Depth=1
	s_or_b64 exec, exec, s[20:21]
.LBB114_66:                             ;   in Loop: Header=BB114_2 Depth=1
	s_or_b64 exec, exec, s[18:19]
	v_add_u32_e32 v67, v63, v38
	v_sub_u32_e32 v68, v43, v63
	ds_read_u8 v63, v67
	ds_read_u8 v64, v68
	v_cmp_le_i32_e64 s[18:19], v39, v67
	v_cmp_gt_i32_e64 s[16:17], v40, v68
                                        ; implicit-def: $vgpr65
                                        ; implicit-def: $vgpr66
	s_waitcnt lgkmcnt(0)
	v_cmp_lt_u16_sdwa s[20:21], v64, v63 src0_sel:BYTE_0 src1_sel:BYTE_0
	s_or_b64 s[18:19], s[18:19], s[20:21]
	s_and_b64 s[16:17], s[16:17], s[18:19]
	s_xor_b64 s[18:19], s[16:17], -1
	s_and_saveexec_b64 s[20:21], s[18:19]
	s_xor_b64 s[18:19], exec, s[20:21]
	s_cbranch_execz .LBB114_68
; %bb.67:                               ;   in Loop: Header=BB114_2 Depth=1
	ds_read_u8 v66, v67 offset:1
	v_mov_b32_e32 v65, v64
.LBB114_68:                             ;   in Loop: Header=BB114_2 Depth=1
	s_andn2_saveexec_b64 s[18:19], s[18:19]
	s_cbranch_execz .LBB114_70
; %bb.69:                               ;   in Loop: Header=BB114_2 Depth=1
	ds_read_u8 v65, v68 offset:1
	s_waitcnt lgkmcnt(1)
	v_mov_b32_e32 v66, v63
.LBB114_70:                             ;   in Loop: Header=BB114_2 Depth=1
	s_or_b64 exec, exec, s[18:19]
	v_add_u32_e32 v70, 1, v67
	v_add_u32_e32 v69, 1, v68
	v_cndmask_b32_e64 v67, v70, v67, s[16:17]
	v_cndmask_b32_e64 v68, v68, v69, s[16:17]
	v_cmp_ge_i32_e64 s[20:21], v67, v39
	s_waitcnt lgkmcnt(0)
	v_cmp_lt_u16_sdwa s[34:35], v65, v66 src0_sel:BYTE_0 src1_sel:BYTE_0
	v_cmp_lt_i32_e64 s[18:19], v68, v40
	s_or_b64 s[20:21], s[20:21], s[34:35]
	s_and_b64 s[18:19], s[18:19], s[20:21]
	s_xor_b64 s[20:21], s[18:19], -1
                                        ; implicit-def: $vgpr69
	s_and_saveexec_b64 s[34:35], s[20:21]
	s_xor_b64 s[20:21], exec, s[34:35]
	s_cbranch_execz .LBB114_72
; %bb.71:                               ;   in Loop: Header=BB114_2 Depth=1
	ds_read_u8 v69, v67 offset:1
.LBB114_72:                             ;   in Loop: Header=BB114_2 Depth=1
	s_or_saveexec_b64 s[20:21], s[20:21]
	v_mov_b32_e32 v70, v65
	s_xor_b64 exec, exec, s[20:21]
	s_cbranch_execz .LBB114_74
; %bb.73:                               ;   in Loop: Header=BB114_2 Depth=1
	ds_read_u8 v70, v68 offset:1
	s_waitcnt lgkmcnt(1)
	v_mov_b32_e32 v69, v66
.LBB114_74:                             ;   in Loop: Header=BB114_2 Depth=1
	s_or_b64 exec, exec, s[20:21]
	v_add_u32_e32 v71, 1, v67
	v_cndmask_b32_e64 v65, v66, v65, s[18:19]
	v_add_u32_e32 v66, 1, v68
	v_cndmask_b32_e64 v67, v71, v67, s[18:19]
	v_cndmask_b32_e64 v66, v68, v66, s[18:19]
	v_cmp_ge_i32_e64 s[18:19], v67, v39
	s_waitcnt lgkmcnt(0)
	v_cmp_lt_u16_sdwa s[20:21], v70, v69 src0_sel:BYTE_0 src1_sel:BYTE_0
	v_cndmask_b32_e64 v63, v63, v64, s[16:17]
	v_cmp_lt_i32_e64 s[16:17], v66, v40
	s_or_b64 s[18:19], s[18:19], s[20:21]
	s_and_b64 s[16:17], s[16:17], s[18:19]
	v_cndmask_b32_e64 v64, v69, v70, s[16:17]
	s_barrier
	ds_write_b8 v2, v63
	ds_write_b8 v2, v65 offset:1
	ds_write_b8 v2, v64 offset:2
	v_mov_b32_e32 v63, v48
	s_waitcnt lgkmcnt(0)
	s_barrier
	s_and_saveexec_b64 s[18:19], s[10:11]
	s_cbranch_execz .LBB114_78
; %bb.75:                               ;   in Loop: Header=BB114_2 Depth=1
	s_mov_b64 s[20:21], 0
	v_mov_b32_e32 v63, v48
	v_mov_b32_e32 v64, v49
.LBB114_76:                             ;   Parent Loop BB114_2 Depth=1
                                        ; =>  This Inner Loop Header: Depth=2
	v_sub_u32_e32 v65, v64, v63
	v_lshrrev_b32_e32 v66, 31, v65
	v_add_u32_e32 v65, v65, v66
	v_ashrrev_i32_e32 v65, 1, v65
	v_add_u32_e32 v65, v65, v63
	v_not_b32_e32 v67, v65
	v_add_u32_e32 v66, v45, v65
	v_add3_u32 v67, v44, v67, v46
	ds_read_u8 v66, v66
	ds_read_u8 v67, v67
	v_add_u32_e32 v68, 1, v65
	s_waitcnt lgkmcnt(0)
	v_cmp_lt_u16_e64 s[16:17], v67, v66
	s_nop 1
	v_cndmask_b32_e64 v64, v64, v65, s[16:17]
	v_cndmask_b32_e64 v63, v68, v63, s[16:17]
	v_cmp_ge_i32_e64 s[16:17], v63, v64
	s_or_b64 s[20:21], s[16:17], s[20:21]
	s_andn2_b64 exec, exec, s[20:21]
	s_cbranch_execnz .LBB114_76
; %bb.77:                               ;   in Loop: Header=BB114_2 Depth=1
	s_or_b64 exec, exec, s[20:21]
.LBB114_78:                             ;   in Loop: Header=BB114_2 Depth=1
	s_or_b64 exec, exec, s[18:19]
	v_add_u32_e32 v67, v63, v45
	v_sub_u32_e32 v68, v50, v63
	ds_read_u8 v63, v67
	ds_read_u8 v64, v68
	v_cmp_le_i32_e64 s[18:19], v46, v67
	v_cmp_gt_i32_e64 s[16:17], v47, v68
                                        ; implicit-def: $vgpr65
                                        ; implicit-def: $vgpr66
	s_waitcnt lgkmcnt(0)
	v_cmp_lt_u16_sdwa s[20:21], v64, v63 src0_sel:BYTE_0 src1_sel:BYTE_0
	s_or_b64 s[18:19], s[18:19], s[20:21]
	s_and_b64 s[16:17], s[16:17], s[18:19]
	s_xor_b64 s[18:19], s[16:17], -1
	s_and_saveexec_b64 s[20:21], s[18:19]
	s_xor_b64 s[18:19], exec, s[20:21]
	s_cbranch_execz .LBB114_80
; %bb.79:                               ;   in Loop: Header=BB114_2 Depth=1
	ds_read_u8 v66, v67 offset:1
	v_mov_b32_e32 v65, v64
.LBB114_80:                             ;   in Loop: Header=BB114_2 Depth=1
	s_andn2_saveexec_b64 s[18:19], s[18:19]
	s_cbranch_execz .LBB114_82
; %bb.81:                               ;   in Loop: Header=BB114_2 Depth=1
	ds_read_u8 v65, v68 offset:1
	s_waitcnt lgkmcnt(1)
	v_mov_b32_e32 v66, v63
.LBB114_82:                             ;   in Loop: Header=BB114_2 Depth=1
	s_or_b64 exec, exec, s[18:19]
	v_add_u32_e32 v70, 1, v67
	v_add_u32_e32 v69, 1, v68
	v_cndmask_b32_e64 v67, v70, v67, s[16:17]
	v_cndmask_b32_e64 v68, v68, v69, s[16:17]
	v_cmp_ge_i32_e64 s[20:21], v67, v46
	s_waitcnt lgkmcnt(0)
	v_cmp_lt_u16_sdwa s[34:35], v65, v66 src0_sel:BYTE_0 src1_sel:BYTE_0
	v_cmp_lt_i32_e64 s[18:19], v68, v47
	s_or_b64 s[20:21], s[20:21], s[34:35]
	s_and_b64 s[18:19], s[18:19], s[20:21]
	s_xor_b64 s[20:21], s[18:19], -1
                                        ; implicit-def: $vgpr69
	s_and_saveexec_b64 s[34:35], s[20:21]
	s_xor_b64 s[20:21], exec, s[34:35]
	s_cbranch_execz .LBB114_84
; %bb.83:                               ;   in Loop: Header=BB114_2 Depth=1
	ds_read_u8 v69, v67 offset:1
.LBB114_84:                             ;   in Loop: Header=BB114_2 Depth=1
	s_or_saveexec_b64 s[20:21], s[20:21]
	v_mov_b32_e32 v70, v65
	s_xor_b64 exec, exec, s[20:21]
	s_cbranch_execz .LBB114_86
; %bb.85:                               ;   in Loop: Header=BB114_2 Depth=1
	ds_read_u8 v70, v68 offset:1
	s_waitcnt lgkmcnt(1)
	v_mov_b32_e32 v69, v66
.LBB114_86:                             ;   in Loop: Header=BB114_2 Depth=1
	s_or_b64 exec, exec, s[20:21]
	v_add_u32_e32 v71, 1, v67
	v_cndmask_b32_e64 v65, v66, v65, s[18:19]
	v_add_u32_e32 v66, 1, v68
	v_cndmask_b32_e64 v67, v71, v67, s[18:19]
	v_cndmask_b32_e64 v66, v68, v66, s[18:19]
	v_cmp_ge_i32_e64 s[18:19], v67, v46
	s_waitcnt lgkmcnt(0)
	v_cmp_lt_u16_sdwa s[20:21], v70, v69 src0_sel:BYTE_0 src1_sel:BYTE_0
	v_cndmask_b32_e64 v63, v63, v64, s[16:17]
	v_cmp_lt_i32_e64 s[16:17], v66, v47
	s_or_b64 s[18:19], s[18:19], s[20:21]
	s_and_b64 s[16:17], s[16:17], s[18:19]
	v_cndmask_b32_e64 v64, v69, v70, s[16:17]
	s_barrier
	ds_write_b8 v2, v63
	ds_write_b8 v2, v65 offset:1
	ds_write_b8 v2, v64 offset:2
	v_mov_b32_e32 v63, v56
	s_waitcnt lgkmcnt(0)
	s_barrier
	s_and_saveexec_b64 s[18:19], s[12:13]
	s_cbranch_execz .LBB114_90
; %bb.87:                               ;   in Loop: Header=BB114_2 Depth=1
	s_mov_b64 s[20:21], 0
	v_mov_b32_e32 v63, v56
	v_mov_b32_e32 v64, v57
.LBB114_88:                             ;   Parent Loop BB114_2 Depth=1
                                        ; =>  This Inner Loop Header: Depth=2
	v_sub_u32_e32 v65, v64, v63
	v_lshrrev_b32_e32 v66, 31, v65
	v_add_u32_e32 v65, v65, v66
	v_ashrrev_i32_e32 v65, 1, v65
	v_add_u32_e32 v65, v65, v63
	v_not_b32_e32 v67, v65
	v_add_u32_e32 v66, v52, v65
	v_add3_u32 v67, v51, v67, v53
	ds_read_u8 v66, v66
	ds_read_u8 v67, v67
	v_add_u32_e32 v68, 1, v65
	s_waitcnt lgkmcnt(0)
	v_cmp_lt_u16_e64 s[16:17], v67, v66
	s_nop 1
	v_cndmask_b32_e64 v64, v64, v65, s[16:17]
	v_cndmask_b32_e64 v63, v68, v63, s[16:17]
	v_cmp_ge_i32_e64 s[16:17], v63, v64
	s_or_b64 s[20:21], s[16:17], s[20:21]
	s_andn2_b64 exec, exec, s[20:21]
	s_cbranch_execnz .LBB114_88
; %bb.89:                               ;   in Loop: Header=BB114_2 Depth=1
	s_or_b64 exec, exec, s[20:21]
.LBB114_90:                             ;   in Loop: Header=BB114_2 Depth=1
	s_or_b64 exec, exec, s[18:19]
	v_add_u32_e32 v67, v63, v52
	v_sub_u32_e32 v68, v58, v63
	ds_read_u8 v63, v67
	ds_read_u8 v64, v68
	v_cmp_le_i32_e64 s[18:19], v53, v67
	v_cmp_gt_i32_e64 s[16:17], v55, v68
                                        ; implicit-def: $vgpr65
                                        ; implicit-def: $vgpr66
	s_waitcnt lgkmcnt(0)
	v_cmp_lt_u16_sdwa s[20:21], v64, v63 src0_sel:BYTE_0 src1_sel:BYTE_0
	s_or_b64 s[18:19], s[18:19], s[20:21]
	s_and_b64 s[16:17], s[16:17], s[18:19]
	s_xor_b64 s[18:19], s[16:17], -1
	s_and_saveexec_b64 s[20:21], s[18:19]
	s_xor_b64 s[18:19], exec, s[20:21]
	s_cbranch_execz .LBB114_92
; %bb.91:                               ;   in Loop: Header=BB114_2 Depth=1
	ds_read_u8 v66, v67 offset:1
	v_mov_b32_e32 v65, v64
.LBB114_92:                             ;   in Loop: Header=BB114_2 Depth=1
	s_andn2_saveexec_b64 s[18:19], s[18:19]
	s_cbranch_execz .LBB114_94
; %bb.93:                               ;   in Loop: Header=BB114_2 Depth=1
	ds_read_u8 v65, v68 offset:1
	s_waitcnt lgkmcnt(1)
	v_mov_b32_e32 v66, v63
.LBB114_94:                             ;   in Loop: Header=BB114_2 Depth=1
	s_or_b64 exec, exec, s[18:19]
	v_add_u32_e32 v70, 1, v67
	v_add_u32_e32 v69, 1, v68
	v_cndmask_b32_e64 v67, v70, v67, s[16:17]
	v_cndmask_b32_e64 v68, v68, v69, s[16:17]
	v_cmp_ge_i32_e64 s[20:21], v67, v53
	s_waitcnt lgkmcnt(0)
	v_cmp_lt_u16_sdwa s[34:35], v65, v66 src0_sel:BYTE_0 src1_sel:BYTE_0
	v_cmp_lt_i32_e64 s[18:19], v68, v55
	s_or_b64 s[20:21], s[20:21], s[34:35]
	s_and_b64 s[18:19], s[18:19], s[20:21]
	s_xor_b64 s[20:21], s[18:19], -1
                                        ; implicit-def: $vgpr69
	s_and_saveexec_b64 s[34:35], s[20:21]
	s_xor_b64 s[20:21], exec, s[34:35]
	s_cbranch_execz .LBB114_96
; %bb.95:                               ;   in Loop: Header=BB114_2 Depth=1
	ds_read_u8 v69, v67 offset:1
.LBB114_96:                             ;   in Loop: Header=BB114_2 Depth=1
	s_or_saveexec_b64 s[20:21], s[20:21]
	v_mov_b32_e32 v70, v65
	s_xor_b64 exec, exec, s[20:21]
	s_cbranch_execz .LBB114_98
; %bb.97:                               ;   in Loop: Header=BB114_2 Depth=1
	ds_read_u8 v70, v68 offset:1
	s_waitcnt lgkmcnt(1)
	v_mov_b32_e32 v69, v66
.LBB114_98:                             ;   in Loop: Header=BB114_2 Depth=1
	s_or_b64 exec, exec, s[20:21]
	v_add_u32_e32 v71, 1, v67
	v_cndmask_b32_e64 v65, v66, v65, s[18:19]
	v_add_u32_e32 v66, 1, v68
	v_cndmask_b32_e64 v67, v71, v67, s[18:19]
	v_cndmask_b32_e64 v66, v68, v66, s[18:19]
	v_cmp_ge_i32_e64 s[18:19], v67, v53
	s_waitcnt lgkmcnt(0)
	v_cmp_lt_u16_sdwa s[20:21], v70, v69 src0_sel:BYTE_0 src1_sel:BYTE_0
	v_cndmask_b32_e64 v63, v63, v64, s[16:17]
	v_cmp_lt_i32_e64 s[16:17], v66, v55
	s_or_b64 s[18:19], s[18:19], s[20:21]
	s_and_b64 s[16:17], s[16:17], s[18:19]
	v_cndmask_b32_e64 v64, v69, v70, s[16:17]
	s_barrier
	ds_write_b8 v2, v63
	ds_write_b8 v2, v65 offset:1
	ds_write_b8 v2, v64 offset:2
	v_mov_b32_e32 v65, v59
	s_waitcnt lgkmcnt(0)
	s_barrier
	s_and_saveexec_b64 s[18:19], s[14:15]
	s_cbranch_execz .LBB114_102
; %bb.99:                               ;   in Loop: Header=BB114_2 Depth=1
	s_mov_b64 s[20:21], 0
	v_mov_b32_e32 v65, v59
	v_mov_b32_e32 v63, v60
.LBB114_100:                            ;   Parent Loop BB114_2 Depth=1
                                        ; =>  This Inner Loop Header: Depth=2
	v_sub_u32_e32 v64, v63, v65
	v_lshrrev_b32_e32 v66, 31, v64
	v_add_u32_e32 v64, v64, v66
	v_ashrrev_i32_e32 v64, 1, v64
	v_add_u32_e32 v64, v64, v65
	v_not_b32_e32 v66, v64
	v_add3_u32 v66, v2, v66, v54
	ds_read_u8 v67, v64
	ds_read_u8 v66, v66
	v_add_u32_e32 v68, 1, v64
	s_waitcnt lgkmcnt(0)
	v_cmp_lt_u16_e64 s[16:17], v66, v67
	s_nop 1
	v_cndmask_b32_e64 v63, v63, v64, s[16:17]
	v_cndmask_b32_e64 v65, v68, v65, s[16:17]
	v_cmp_ge_i32_e64 s[16:17], v65, v63
	s_or_b64 s[20:21], s[16:17], s[20:21]
	s_andn2_b64 exec, exec, s[20:21]
	s_cbranch_execnz .LBB114_100
; %bb.101:                              ;   in Loop: Header=BB114_2 Depth=1
	s_or_b64 exec, exec, s[20:21]
.LBB114_102:                            ;   in Loop: Header=BB114_2 Depth=1
	s_or_b64 exec, exec, s[18:19]
	v_sub_u32_e32 v68, v62, v65
	ds_read_u8 v63, v65
	ds_read_u8 v64, v68
	v_cmp_le_i32_e64 s[18:19], v54, v65
	v_cmp_gt_i32_e64 s[16:17], s25, v68
                                        ; implicit-def: $vgpr66
                                        ; implicit-def: $vgpr67
	s_waitcnt lgkmcnt(0)
	v_cmp_lt_u16_sdwa s[20:21], v64, v63 src0_sel:BYTE_0 src1_sel:BYTE_0
	s_or_b64 s[18:19], s[18:19], s[20:21]
	s_and_b64 s[16:17], s[16:17], s[18:19]
	s_xor_b64 s[18:19], s[16:17], -1
	s_and_saveexec_b64 s[20:21], s[18:19]
	s_xor_b64 s[18:19], exec, s[20:21]
	s_cbranch_execz .LBB114_104
; %bb.103:                              ;   in Loop: Header=BB114_2 Depth=1
	ds_read_u8 v67, v65 offset:1
	v_mov_b32_e32 v66, v64
.LBB114_104:                            ;   in Loop: Header=BB114_2 Depth=1
	s_andn2_saveexec_b64 s[18:19], s[18:19]
	s_cbranch_execz .LBB114_106
; %bb.105:                              ;   in Loop: Header=BB114_2 Depth=1
	ds_read_u8 v66, v68 offset:1
	s_waitcnt lgkmcnt(1)
	v_mov_b32_e32 v67, v63
.LBB114_106:                            ;   in Loop: Header=BB114_2 Depth=1
	s_or_b64 exec, exec, s[18:19]
	v_add_u32_e32 v69, 1, v68
	v_add_u32_e32 v70, 1, v65
	v_cndmask_b32_e64 v68, v68, v69, s[16:17]
	v_cndmask_b32_e64 v69, v70, v65, s[16:17]
	v_cmp_ge_i32_e64 s[20:21], v69, v54
	s_waitcnt lgkmcnt(0)
	v_cmp_lt_u16_sdwa s[34:35], v66, v67 src0_sel:BYTE_0 src1_sel:BYTE_0
	v_cmp_gt_i32_e64 s[18:19], s25, v68
	s_or_b64 s[20:21], s[20:21], s[34:35]
	s_and_b64 s[18:19], s[18:19], s[20:21]
	s_xor_b64 s[20:21], s[18:19], -1
                                        ; implicit-def: $vgpr65
                                        ; implicit-def: $vgpr70
	s_and_saveexec_b64 s[34:35], s[20:21]
	s_xor_b64 s[20:21], exec, s[34:35]
	s_cbranch_execz .LBB114_108
; %bb.107:                              ;   in Loop: Header=BB114_2 Depth=1
	ds_read_u8 v65, v69 offset:1
	v_add_u32_e32 v70, 1, v69
                                        ; implicit-def: $vgpr69
.LBB114_108:                            ;   in Loop: Header=BB114_2 Depth=1
	s_or_saveexec_b64 s[20:21], s[20:21]
	v_mov_b32_e32 v71, v66
	s_xor_b64 exec, exec, s[20:21]
	s_cbranch_execz .LBB114_1
; %bb.109:                              ;   in Loop: Header=BB114_2 Depth=1
	ds_read_u8 v71, v68 offset:1
	v_add_u32_e32 v68, 1, v68
	v_mov_b32_e32 v70, v69
	s_waitcnt lgkmcnt(1)
	v_mov_b32_e32 v65, v67
	s_branch .LBB114_1
.LBB114_110:
	s_add_u32 s0, s22, s24
	s_addc_u32 s1, s23, 0
	v_lshl_add_u64 v[0:1], s[0:1], 0, v[0:1]
	global_store_byte v[0:1], v64, off
	global_store_byte v[0:1], v66, off offset:512
	global_store_byte v[0:1], v65, off offset:1024
	s_endpgm
	.section	.rodata,"a",@progbits
	.p2align	6, 0x0
	.amdhsa_kernel _Z16sort_keys_kernelIhLj512ELj3EN10test_utils4lessELj10EEvPKT_PS2_T2_
		.amdhsa_group_segment_fixed_size 1537
		.amdhsa_private_segment_fixed_size 0
		.amdhsa_kernarg_size 20
		.amdhsa_user_sgpr_count 2
		.amdhsa_user_sgpr_dispatch_ptr 0
		.amdhsa_user_sgpr_queue_ptr 0
		.amdhsa_user_sgpr_kernarg_segment_ptr 1
		.amdhsa_user_sgpr_dispatch_id 0
		.amdhsa_user_sgpr_kernarg_preload_length 0
		.amdhsa_user_sgpr_kernarg_preload_offset 0
		.amdhsa_user_sgpr_private_segment_size 0
		.amdhsa_uses_dynamic_stack 0
		.amdhsa_enable_private_segment 0
		.amdhsa_system_sgpr_workgroup_id_x 1
		.amdhsa_system_sgpr_workgroup_id_y 0
		.amdhsa_system_sgpr_workgroup_id_z 0
		.amdhsa_system_sgpr_workgroup_info 0
		.amdhsa_system_vgpr_workitem_id 0
		.amdhsa_next_free_vgpr 72
		.amdhsa_next_free_sgpr 36
		.amdhsa_accum_offset 72
		.amdhsa_reserve_vcc 1
		.amdhsa_float_round_mode_32 0
		.amdhsa_float_round_mode_16_64 0
		.amdhsa_float_denorm_mode_32 3
		.amdhsa_float_denorm_mode_16_64 3
		.amdhsa_dx10_clamp 1
		.amdhsa_ieee_mode 1
		.amdhsa_fp16_overflow 0
		.amdhsa_tg_split 0
		.amdhsa_exception_fp_ieee_invalid_op 0
		.amdhsa_exception_fp_denorm_src 0
		.amdhsa_exception_fp_ieee_div_zero 0
		.amdhsa_exception_fp_ieee_overflow 0
		.amdhsa_exception_fp_ieee_underflow 0
		.amdhsa_exception_fp_ieee_inexact 0
		.amdhsa_exception_int_div_zero 0
	.end_amdhsa_kernel
	.section	.text._Z16sort_keys_kernelIhLj512ELj3EN10test_utils4lessELj10EEvPKT_PS2_T2_,"axG",@progbits,_Z16sort_keys_kernelIhLj512ELj3EN10test_utils4lessELj10EEvPKT_PS2_T2_,comdat
.Lfunc_end114:
	.size	_Z16sort_keys_kernelIhLj512ELj3EN10test_utils4lessELj10EEvPKT_PS2_T2_, .Lfunc_end114-_Z16sort_keys_kernelIhLj512ELj3EN10test_utils4lessELj10EEvPKT_PS2_T2_
                                        ; -- End function
	.section	.AMDGPU.csdata,"",@progbits
; Kernel info:
; codeLenInByte = 5676
; NumSgprs: 42
; NumVgprs: 72
; NumAgprs: 0
; TotalNumVgprs: 72
; ScratchSize: 0
; MemoryBound: 0
; FloatMode: 240
; IeeeMode: 1
; LDSByteSize: 1537 bytes/workgroup (compile time only)
; SGPRBlocks: 5
; VGPRBlocks: 8
; NumSGPRsForWavesPerEU: 42
; NumVGPRsForWavesPerEU: 72
; AccumOffset: 72
; Occupancy: 7
; WaveLimiterHint : 1
; COMPUTE_PGM_RSRC2:SCRATCH_EN: 0
; COMPUTE_PGM_RSRC2:USER_SGPR: 2
; COMPUTE_PGM_RSRC2:TRAP_HANDLER: 0
; COMPUTE_PGM_RSRC2:TGID_X_EN: 1
; COMPUTE_PGM_RSRC2:TGID_Y_EN: 0
; COMPUTE_PGM_RSRC2:TGID_Z_EN: 0
; COMPUTE_PGM_RSRC2:TIDIG_COMP_CNT: 0
; COMPUTE_PGM_RSRC3_GFX90A:ACCUM_OFFSET: 17
; COMPUTE_PGM_RSRC3_GFX90A:TG_SPLIT: 0
	.section	.text._Z17sort_pairs_kernelIhLj512ELj3EN10test_utils4lessELj10EEvPKT_PS2_T2_,"axG",@progbits,_Z17sort_pairs_kernelIhLj512ELj3EN10test_utils4lessELj10EEvPKT_PS2_T2_,comdat
	.protected	_Z17sort_pairs_kernelIhLj512ELj3EN10test_utils4lessELj10EEvPKT_PS2_T2_ ; -- Begin function _Z17sort_pairs_kernelIhLj512ELj3EN10test_utils4lessELj10EEvPKT_PS2_T2_
	.globl	_Z17sort_pairs_kernelIhLj512ELj3EN10test_utils4lessELj10EEvPKT_PS2_T2_
	.p2align	8
	.type	_Z17sort_pairs_kernelIhLj512ELj3EN10test_utils4lessELj10EEvPKT_PS2_T2_,@function
_Z17sort_pairs_kernelIhLj512ELj3EN10test_utils4lessELj10EEvPKT_PS2_T2_: ; @_Z17sort_pairs_kernelIhLj512ELj3EN10test_utils4lessELj10EEvPKT_PS2_T2_
; %bb.0:
	s_load_dwordx4 s[28:31], s[0:1], 0x0
	s_mul_i32 s33, s2, 0x600
	v_and_b32_e32 v3, 0x1fe, v0
	v_and_b32_e32 v5, 0x1fc, v0
	;; [unrolled: 1-line block ×3, first 2 shown]
	s_waitcnt lgkmcnt(0)
	s_add_u32 s0, s28, s33
	s_addc_u32 s1, s29, 0
	global_load_ubyte v29, v0, s[0:1] offset:512
	global_load_ubyte v30, v0, s[0:1] offset:1024
	global_load_ubyte v31, v0, s[0:1]
	v_and_b32_e32 v7, 0x1f0, v0
	v_mul_u32_u24_e32 v8, 3, v3
	v_and_b32_e32 v4, 1, v0
	v_mul_u32_u24_e32 v9, 3, v5
	v_mul_u32_u24_e32 v10, 3, v6
	;; [unrolled: 1-line block ×3, first 2 shown]
	v_min_u32_e32 v12, 0x5fd, v8
	v_min_u32_e32 v13, 0x5fa, v8
	v_cmp_eq_u32_e32 vcc, 1, v4
	v_min_u32_e32 v7, 0x600, v8
	v_min_u32_e32 v8, 0x600, v9
	;; [unrolled: 1-line block ×10, first 2 shown]
	v_add_u32_e32 v11, 3, v12
	v_add_u32_e32 v12, 6, v13
	v_and_b32_e32 v19, 3, v0
	v_cndmask_b32_e64 v3, 0, 3, vcc
	v_add_u32_e32 v13, 6, v14
	v_add_u32_e32 v14, 12, v15
	v_sub_u32_e32 v25, v12, v11
	v_mul_u32_u24_e32 v4, 3, v19
	v_sub_u32_e32 v26, v14, v13
	v_sub_u32_e32 v33, v3, v25
	v_cmp_ge_i32_e32 vcc, v3, v25
	v_sub_u32_e32 v34, v4, v26
	v_and_b32_e32 v20, 7, v0
	v_cndmask_b32_e32 v25, 0, v33, vcc
	v_cmp_ge_i32_e32 vcc, v4, v26
	v_add_u32_e32 v15, 12, v16
	v_add_u32_e32 v16, 24, v17
	v_cndmask_b32_e32 v26, 0, v34, vcc
	v_and_b32_e32 v32, 15, v0
	v_mul_u32_u24_e32 v5, 3, v20
	v_add_u32_e32 v17, 24, v18
	v_add_u32_e32 v18, 48, v21
	v_sub_u32_e32 v27, v16, v15
	v_mul_u32_u24_e32 v6, 3, v32
	v_sub_u32_e32 v28, v18, v17
	v_sub_u32_e32 v35, v5, v27
	v_cmp_ge_i32_e32 vcc, v5, v27
	v_sub_u32_e32 v36, v6, v28
	v_and_b32_e32 v43, 63, v0
	v_cndmask_b32_e32 v27, 0, v35, vcc
	v_cmp_ge_i32_e32 vcc, v6, v28
	v_and_b32_e32 v50, 0x7f, v0
	v_and_b32_e32 v57, 0xff, v0
	v_cndmask_b32_e32 v28, 0, v36, vcc
	v_and_b32_e32 v36, 31, v0
	v_mul_u32_u24_e32 v2, 3, v0
	v_sub_u32_e32 v21, v11, v7
	v_sub_u32_e32 v22, v13, v8
	;; [unrolled: 1-line block ×4, first 2 shown]
	v_min_i32_e32 v21, v3, v21
	v_min_i32_e32 v22, v4, v22
	;; [unrolled: 1-line block ×5, first 2 shown]
	s_movk_i32 s28, 0x600
	s_mov_b32 s29, 0
	v_mov_b32_e32 v1, 0
	s_movk_i32 s34, 0xff
	v_mad_u32_u24 v19, v19, 3, v13
	v_mad_u32_u24 v20, v20, 3, v15
	v_cmp_lt_i32_e32 vcc, v25, v21
	v_cmp_lt_i32_e64 s[0:1], v26, v22
	v_cmp_lt_i32_e64 s[2:3], v27, v23
	;; [unrolled: 1-line block ×3, first 2 shown]
	s_mov_b32 s35, 0x7060405
	s_movk_i32 s36, 0xff00
	s_mov_b32 s37, 0xffff0000
	s_waitcnt vmcnt(2)
	v_lshlrev_b16_e32 v29, 8, v29
	s_waitcnt vmcnt(1)
	v_lshlrev_b32_e32 v33, 16, v30
	s_waitcnt vmcnt(0)
	v_add_u16_e32 v34, 1, v31
	v_add_u16_e32 v30, 1, v30
	v_or_b32_e32 v31, v31, v29
	v_or_b32_sdwa v29, v29, v34 dst_sel:DWORD dst_unused:UNUSED_PAD src0_sel:DWORD src1_sel:BYTE_0
	v_and_b32_e32 v30, 0xff, v30
	v_add_u16_e32 v29, 0x100, v29
	v_lshlrev_b32_e32 v30, 16, v30
	v_or_b32_e32 v64, v29, v30
	v_and_b32_e32 v30, 0x1e0, v0
	v_or_b32_sdwa v65, v31, v33 dst_sel:DWORD dst_unused:UNUSED_PAD src0_sel:WORD_0 src1_sel:DWORD
	v_mul_u32_u24_e32 v33, 3, v30
	v_mad_u32_u24 v29, v32, 3, v17
	v_min_u32_e32 v31, 0x600, v33
	v_min_u32_e32 v32, 0x5d0, v33
	v_min_u32_e32 v33, 0x5a0, v33
	v_add_u32_e32 v32, 48, v32
	v_add_u32_e32 v33, 0x60, v33
	v_mul_u32_u24_e32 v30, 3, v36
	v_sub_u32_e32 v34, v33, v32
	v_sub_u32_e32 v37, v30, v34
	v_cmp_ge_i32_e64 s[6:7], v30, v34
	v_sub_u32_e32 v35, v32, v31
	v_min_i32_e32 v35, v30, v35
	v_cndmask_b32_e64 v34, 0, v37, s[6:7]
	v_and_b32_e32 v37, 0x1c0, v0
	v_mul_u32_u24_e32 v40, 3, v37
	v_min_u32_e32 v38, 0x600, v40
	v_min_u32_e32 v39, 0x5a0, v40
	v_min_u32_e32 v40, 0x540, v40
	v_add_u32_e32 v39, 0x60, v39
	v_add_u32_e32 v40, 0xc0, v40
	v_mul_u32_u24_e32 v37, 3, v43
	v_sub_u32_e32 v41, v40, v39
	v_sub_u32_e32 v44, v37, v41
	v_cmp_ge_i32_e64 s[8:9], v37, v41
	v_sub_u32_e32 v42, v39, v38
	v_min_i32_e32 v42, v37, v42
	v_cndmask_b32_e64 v41, 0, v44, s[8:9]
	v_and_b32_e32 v44, 0x180, v0
	v_mul_u32_u24_e32 v47, 3, v44
	;; [unrolled: 14-line block ×3, first 2 shown]
	v_min_u32_e32 v52, 0x600, v54
	v_min_u32_e32 v53, 0x480, v54
	;; [unrolled: 1-line block ×3, first 2 shown]
	v_add_u32_e32 v53, 0x180, v53
	v_add_u32_e32 v54, 0x300, v54
	v_mul_u32_u24_e32 v51, 3, v57
	v_sub_u32_e32 v55, v54, v53
	v_sub_u32_e32 v56, v51, v55
	;; [unrolled: 1-line block ×3, first 2 shown]
	v_cmp_ge_i32_e64 s[12:13], v51, v55
	v_cmp_lt_i32_e64 s[6:7], v34, v35
	v_mad_u32_u24 v36, v36, 3, v32
	v_cndmask_b32_e64 v55, 0, v56, s[12:13]
	v_min_i32_e32 v56, v51, v58
	v_mov_b32_e32 v58, 0x300
	v_sub_u32_e64 v59, v2, v58 clamp
	v_cmp_lt_i32_e64 s[8:9], v41, v42
	v_mad_u32_u24 v43, v43, 3, v39
	v_cmp_lt_i32_e64 s[10:11], v48, v49
	v_mad_u32_u24 v50, v50, 3, v46
	;; [unrolled: 2-line block ×3, first 2 shown]
	v_cmp_lt_i32_e64 s[14:15], v59, v60
	s_mov_b32 s38, 0xc0c0001
	v_add_u32_e32 v61, v11, v3
	v_mad_u32_u24 v62, v0, 3, v58
	v_mov_b32_e32 v63, 8
	s_branch .LBB115_2
.LBB115_1:                              ;   in Loop: Header=BB115_2 Depth=1
	s_or_b64 exec, exec, s[20:21]
	v_cndmask_b32_e64 v69, v69, v70, s[16:17]
	v_cndmask_b32_e64 v70, v72, v71, s[18:19]
	v_cmp_ge_i32_e64 s[18:19], v74, v58
	s_waitcnt lgkmcnt(0)
	v_cmp_lt_u16_sdwa s[20:21], v78, v75 src0_sel:BYTE_0 src1_sel:BYTE_0
	v_cndmask_b32_e64 v68, v67, v68, s[16:17]
	v_cmp_gt_i32_e64 s[16:17], s28, v73
	s_or_b64 s[18:19], s[18:19], s[20:21]
	s_and_b64 s[16:17], s[16:17], s[18:19]
	v_lshlrev_b16_e32 v71, 8, v70
	v_or_b32_sdwa v72, v69, v71 dst_sel:DWORD dst_unused:UNUSED_PAD src0_sel:BYTE_0 src1_sel:DWORD
	v_cndmask_b32_e64 v73, v74, v73, s[16:17]
	s_barrier
	ds_write_b8 v2, v65
	ds_write_b8 v2, v66 offset:1
	ds_write_b8 v2, v64 offset:2
	s_waitcnt lgkmcnt(0)
	s_barrier
	ds_read_u8 v66, v77
	ds_read_u8 v71, v68
	;; [unrolled: 1-line block ×3, first 2 shown]
	v_cndmask_b32_e64 v67, v75, v78, s[16:17]
	v_and_b32_e32 v75, 0xff, v67
	v_lshlrev_b32_e32 v64, 16, v75
	v_or_b32_sdwa v65, v72, v64 dst_sel:DWORD dst_unused:UNUSED_PAD src0_sel:WORD_0 src1_sel:DWORD
	s_waitcnt lgkmcnt(2)
	v_lshlrev_b16_e32 v64, 8, v66
	s_waitcnt lgkmcnt(1)
	v_or_b32_e32 v64, v71, v64
	s_waitcnt lgkmcnt(0)
	v_lshlrev_b32_e32 v72, 16, v68
	s_add_i32 s29, s29, 1
	s_cmp_eq_u32 s29, 10
	v_or_b32_sdwa v64, v64, v72 dst_sel:DWORD dst_unused:UNUSED_PAD src0_sel:WORD_0 src1_sel:DWORD
	s_cbranch_scc1 .LBB115_110
.LBB115_2:                              ; =>This Loop Header: Depth=1
                                        ;     Child Loop BB115_4 Depth 2
                                        ;     Child Loop BB115_16 Depth 2
	;; [unrolled: 1-line block ×9, first 2 shown]
	v_lshrrev_b32_e32 v67, 8, v65
	v_perm_b32 v66, v65, v65, s35
	v_cmp_lt_u16_sdwa s[16:17], v67, v65 src0_sel:BYTE_0 src1_sel:BYTE_0
	s_barrier
	s_nop 0
	v_cndmask_b32_e64 v66, v65, v66, s[16:17]
	v_and_b32_sdwa v68, v66, s36 dst_sel:DWORD dst_unused:UNUSED_PAD src0_sel:WORD_1 src1_sel:DWORD
	v_max_u16_sdwa v65, v67, v65 dst_sel:DWORD dst_unused:UNUSED_PAD src0_sel:BYTE_0 src1_sel:BYTE_0
	v_lshlrev_b16_sdwa v69, v63, v66 dst_sel:DWORD dst_unused:UNUSED_PAD src0_sel:DWORD src1_sel:WORD_1
	v_or_b32_sdwa v67, v65, v68 dst_sel:WORD_1 dst_unused:UNUSED_PAD src0_sel:DWORD src1_sel:DWORD
	v_and_b32_sdwa v68, v66, s34 dst_sel:DWORD dst_unused:UNUSED_PAD src0_sel:WORD_1 src1_sel:DWORD
	v_or_b32_sdwa v69, v66, v69 dst_sel:DWORD dst_unused:UNUSED_PAD src0_sel:BYTE_0 src1_sel:DWORD
	v_or_b32_sdwa v67, v69, v67 dst_sel:DWORD dst_unused:UNUSED_PAD src0_sel:WORD_0 src1_sel:DWORD
	v_cmp_lt_u16_e64 s[18:19], v68, v65
	v_min_u16_e32 v65, v68, v65
	s_nop 0
	v_cndmask_b32_e64 v66, v66, v67, s[18:19]
	v_lshlrev_b16_e32 v67, 8, v66
	v_or_b32_e32 v67, v65, v67
	v_and_b32_e32 v67, 0xffff, v67
	v_and_or_b32 v67, v66, s37, v67
	v_cmp_lt_u16_sdwa s[20:21], v65, v66 src0_sel:DWORD src1_sel:BYTE_0
	s_nop 1
	v_cndmask_b32_e64 v65, v66, v67, s[20:21]
	v_lshrrev_b32_e32 v66, 8, v65
	ds_write_b8 v2, v65
	ds_write_b8 v2, v66 offset:1
	ds_write_b8_d16_hi v2, v65 offset:2
	v_mov_b32_e32 v66, v25
	s_waitcnt lgkmcnt(0)
	s_barrier
	s_and_saveexec_b64 s[24:25], vcc
	s_cbranch_execz .LBB115_6
; %bb.3:                                ;   in Loop: Header=BB115_2 Depth=1
	s_mov_b64 s[26:27], 0
	v_mov_b32_e32 v66, v25
	v_mov_b32_e32 v65, v21
.LBB115_4:                              ;   Parent Loop BB115_2 Depth=1
                                        ; =>  This Inner Loop Header: Depth=2
	v_sub_u32_e32 v67, v65, v66
	v_lshrrev_b32_e32 v68, 31, v67
	v_add_u32_e32 v67, v67, v68
	v_ashrrev_i32_e32 v67, 1, v67
	v_add_u32_e32 v67, v67, v66
	v_not_b32_e32 v69, v67
	v_add_u32_e32 v68, v7, v67
	v_add3_u32 v69, v3, v69, v11
	ds_read_u8 v68, v68
	ds_read_u8 v69, v69
	v_add_u32_e32 v70, 1, v67
	s_waitcnt lgkmcnt(0)
	v_cmp_lt_u16_e64 s[22:23], v69, v68
	s_nop 1
	v_cndmask_b32_e64 v65, v65, v67, s[22:23]
	v_cndmask_b32_e64 v66, v70, v66, s[22:23]
	v_cmp_ge_i32_e64 s[22:23], v66, v65
	s_or_b64 s[26:27], s[22:23], s[26:27]
	s_andn2_b64 exec, exec, s[26:27]
	s_cbranch_execnz .LBB115_4
; %bb.5:                                ;   in Loop: Header=BB115_2 Depth=1
	s_or_b64 exec, exec, s[26:27]
.LBB115_6:                              ;   in Loop: Header=BB115_2 Depth=1
	s_or_b64 exec, exec, s[24:25]
	v_add_u32_e32 v65, v66, v7
	v_sub_u32_e32 v66, v61, v66
	ds_read_u8 v67, v65
	ds_read_u8 v68, v66
	v_cmp_le_i32_e64 s[24:25], v11, v65
	v_cmp_gt_i32_e64 s[22:23], v12, v66
                                        ; implicit-def: $vgpr69
                                        ; implicit-def: $vgpr70
	s_waitcnt lgkmcnt(0)
	v_cmp_lt_u16_sdwa s[26:27], v68, v67 src0_sel:BYTE_0 src1_sel:BYTE_0
	s_or_b64 s[24:25], s[24:25], s[26:27]
	s_and_b64 s[22:23], s[22:23], s[24:25]
	s_xor_b64 s[24:25], s[22:23], -1
	s_and_saveexec_b64 s[26:27], s[24:25]
	s_xor_b64 s[24:25], exec, s[26:27]
	s_cbranch_execz .LBB115_8
; %bb.7:                                ;   in Loop: Header=BB115_2 Depth=1
	ds_read_u8 v70, v65 offset:1
	v_mov_b32_e32 v69, v68
.LBB115_8:                              ;   in Loop: Header=BB115_2 Depth=1
	s_andn2_saveexec_b64 s[24:25], s[24:25]
	s_cbranch_execz .LBB115_10
; %bb.9:                                ;   in Loop: Header=BB115_2 Depth=1
	ds_read_u8 v69, v66 offset:1
	s_waitcnt lgkmcnt(1)
	v_mov_b32_e32 v70, v67
.LBB115_10:                             ;   in Loop: Header=BB115_2 Depth=1
	s_or_b64 exec, exec, s[24:25]
	v_add_u32_e32 v73, 1, v65
	v_add_u32_e32 v71, 1, v66
	v_cndmask_b32_e64 v73, v73, v65, s[22:23]
	v_cndmask_b32_e64 v72, v66, v71, s[22:23]
	v_cmp_ge_i32_e64 s[26:27], v73, v11
	s_waitcnt lgkmcnt(0)
	v_cmp_lt_u16_sdwa s[40:41], v69, v70 src0_sel:BYTE_0 src1_sel:BYTE_0
	v_cmp_lt_i32_e64 s[24:25], v72, v12
	s_or_b64 s[26:27], s[26:27], s[40:41]
	s_and_b64 s[24:25], s[24:25], s[26:27]
	s_xor_b64 s[26:27], s[24:25], -1
                                        ; implicit-def: $vgpr71
	s_and_saveexec_b64 s[40:41], s[26:27]
	s_xor_b64 s[26:27], exec, s[40:41]
	s_cbranch_execz .LBB115_12
; %bb.11:                               ;   in Loop: Header=BB115_2 Depth=1
	ds_read_u8 v71, v73 offset:1
.LBB115_12:                             ;   in Loop: Header=BB115_2 Depth=1
	s_or_saveexec_b64 s[26:27], s[26:27]
	v_mov_b32_e32 v74, v69
	s_xor_b64 exec, exec, s[26:27]
	s_cbranch_execz .LBB115_14
; %bb.13:                               ;   in Loop: Header=BB115_2 Depth=1
	ds_read_u8 v74, v72 offset:1
	s_waitcnt lgkmcnt(1)
	v_mov_b32_e32 v71, v70
.LBB115_14:                             ;   in Loop: Header=BB115_2 Depth=1
	s_or_b64 exec, exec, s[26:27]
	v_perm_b32 v75, v64, v64, s35
	v_cndmask_b32_e64 v64, v64, v75, s[16:17]
	v_cndmask_b32_e64 v65, v65, v66, s[22:23]
	v_lshrrev_b32_e32 v66, 16, v64
	v_cndmask_b32_e64 v67, v67, v68, s[22:23]
	v_lshlrev_b16_e32 v66, 8, v66
	v_lshrrev_b16_e32 v68, 8, v64
	v_or_b32_sdwa v66, v64, v66 dst_sel:DWORD dst_unused:UNUSED_PAD src0_sel:BYTE_0 src1_sel:DWORD
	v_lshlrev_b32_e32 v68, 16, v68
	v_or_b32_sdwa v66, v66, v68 dst_sel:DWORD dst_unused:UNUSED_PAD src0_sel:WORD_0 src1_sel:DWORD
	v_cndmask_b32_e64 v64, v64, v66, s[18:19]
	v_add_u32_e32 v76, 1, v73
	v_perm_b32 v66, 0, v64, s38
	v_cndmask_b32_e64 v69, v70, v69, s[24:25]
	v_add_u32_e32 v70, 1, v72
	v_cndmask_b32_e64 v76, v76, v73, s[24:25]
	v_and_or_b32 v66, v64, s37, v66
	v_cndmask_b32_e64 v70, v72, v70, s[24:25]
	v_cndmask_b32_e64 v64, v64, v66, s[20:21]
	v_cmp_ge_i32_e64 s[18:19], v76, v11
	s_waitcnt lgkmcnt(0)
	v_cmp_lt_u16_sdwa s[20:21], v74, v71 src0_sel:BYTE_0 src1_sel:BYTE_0
	v_cmp_lt_i32_e64 s[16:17], v70, v12
	s_or_b64 s[18:19], s[18:19], s[20:21]
	s_and_b64 s[16:17], s[16:17], s[18:19]
	v_cndmask_b32_e64 v66, v76, v70, s[16:17]
	v_lshrrev_b32_e32 v70, 8, v64
	v_cndmask_b32_e64 v72, v73, v72, s[24:25]
	s_barrier
	ds_write_b8 v2, v64
	ds_write_b8 v2, v70 offset:1
	ds_write_b8_d16_hi v2, v64 offset:2
	s_waitcnt lgkmcnt(0)
	s_barrier
	ds_read_u8 v64, v66
	ds_read_u8 v65, v65
	ds_read_u8 v66, v72
	v_cndmask_b32_e64 v68, v71, v74, s[16:17]
	s_waitcnt lgkmcnt(0)
	s_barrier
	ds_write_b8 v2, v67
	ds_write_b8 v2, v69 offset:1
	ds_write_b8 v2, v68 offset:2
	v_mov_b32_e32 v68, v26
	s_waitcnt lgkmcnt(0)
	s_barrier
	s_and_saveexec_b64 s[18:19], s[0:1]
	s_cbranch_execz .LBB115_18
; %bb.15:                               ;   in Loop: Header=BB115_2 Depth=1
	s_mov_b64 s[20:21], 0
	v_mov_b32_e32 v68, v26
	v_mov_b32_e32 v67, v22
.LBB115_16:                             ;   Parent Loop BB115_2 Depth=1
                                        ; =>  This Inner Loop Header: Depth=2
	v_sub_u32_e32 v69, v67, v68
	v_lshrrev_b32_e32 v70, 31, v69
	v_add_u32_e32 v69, v69, v70
	v_ashrrev_i32_e32 v69, 1, v69
	v_add_u32_e32 v69, v69, v68
	v_not_b32_e32 v71, v69
	v_add_u32_e32 v70, v8, v69
	v_add3_u32 v71, v4, v71, v13
	ds_read_u8 v70, v70
	ds_read_u8 v71, v71
	v_add_u32_e32 v72, 1, v69
	s_waitcnt lgkmcnt(0)
	v_cmp_lt_u16_e64 s[16:17], v71, v70
	s_nop 1
	v_cndmask_b32_e64 v67, v67, v69, s[16:17]
	v_cndmask_b32_e64 v68, v72, v68, s[16:17]
	v_cmp_ge_i32_e64 s[16:17], v68, v67
	s_or_b64 s[20:21], s[16:17], s[20:21]
	s_andn2_b64 exec, exec, s[20:21]
	s_cbranch_execnz .LBB115_16
; %bb.17:                               ;   in Loop: Header=BB115_2 Depth=1
	s_or_b64 exec, exec, s[20:21]
.LBB115_18:                             ;   in Loop: Header=BB115_2 Depth=1
	s_or_b64 exec, exec, s[18:19]
	v_add_u32_e32 v67, v68, v8
	v_sub_u32_e32 v68, v19, v68
	ds_read_u8 v69, v67
	ds_read_u8 v70, v68
	v_cmp_le_i32_e64 s[18:19], v13, v67
	v_cmp_gt_i32_e64 s[16:17], v14, v68
                                        ; implicit-def: $vgpr71
                                        ; implicit-def: $vgpr72
	s_waitcnt lgkmcnt(0)
	v_cmp_lt_u16_sdwa s[20:21], v70, v69 src0_sel:BYTE_0 src1_sel:BYTE_0
	s_or_b64 s[18:19], s[18:19], s[20:21]
	s_and_b64 s[16:17], s[16:17], s[18:19]
	s_xor_b64 s[18:19], s[16:17], -1
	s_and_saveexec_b64 s[20:21], s[18:19]
	s_xor_b64 s[18:19], exec, s[20:21]
	s_cbranch_execz .LBB115_20
; %bb.19:                               ;   in Loop: Header=BB115_2 Depth=1
	ds_read_u8 v72, v67 offset:1
	v_mov_b32_e32 v71, v70
.LBB115_20:                             ;   in Loop: Header=BB115_2 Depth=1
	s_andn2_saveexec_b64 s[18:19], s[18:19]
	s_cbranch_execz .LBB115_22
; %bb.21:                               ;   in Loop: Header=BB115_2 Depth=1
	ds_read_u8 v71, v68 offset:1
	s_waitcnt lgkmcnt(1)
	v_mov_b32_e32 v72, v69
.LBB115_22:                             ;   in Loop: Header=BB115_2 Depth=1
	s_or_b64 exec, exec, s[18:19]
	v_add_u32_e32 v74, 1, v67
	v_add_u32_e32 v73, 1, v68
	v_cndmask_b32_e64 v74, v74, v67, s[16:17]
	v_cndmask_b32_e64 v73, v68, v73, s[16:17]
	v_cmp_ge_i32_e64 s[20:21], v74, v13
	s_waitcnt lgkmcnt(0)
	v_cmp_lt_u16_sdwa s[22:23], v71, v72 src0_sel:BYTE_0 src1_sel:BYTE_0
	v_cmp_lt_i32_e64 s[18:19], v73, v14
	s_or_b64 s[20:21], s[20:21], s[22:23]
	s_and_b64 s[18:19], s[18:19], s[20:21]
	s_xor_b64 s[20:21], s[18:19], -1
                                        ; implicit-def: $vgpr75
	s_and_saveexec_b64 s[22:23], s[20:21]
	s_xor_b64 s[20:21], exec, s[22:23]
	s_cbranch_execz .LBB115_24
; %bb.23:                               ;   in Loop: Header=BB115_2 Depth=1
	ds_read_u8 v75, v74 offset:1
.LBB115_24:                             ;   in Loop: Header=BB115_2 Depth=1
	s_or_saveexec_b64 s[20:21], s[20:21]
	v_mov_b32_e32 v76, v71
	s_xor_b64 exec, exec, s[20:21]
	s_cbranch_execz .LBB115_26
; %bb.25:                               ;   in Loop: Header=BB115_2 Depth=1
	ds_read_u8 v76, v73 offset:1
	s_waitcnt lgkmcnt(1)
	v_mov_b32_e32 v75, v72
.LBB115_26:                             ;   in Loop: Header=BB115_2 Depth=1
	s_or_b64 exec, exec, s[20:21]
	v_add_u32_e32 v77, 1, v74
	v_cndmask_b32_e64 v71, v72, v71, s[18:19]
	v_add_u32_e32 v72, 1, v73
	v_cndmask_b32_e64 v77, v77, v74, s[18:19]
	v_cndmask_b32_e64 v72, v73, v72, s[18:19]
	;; [unrolled: 1-line block ×3, first 2 shown]
	v_cmp_ge_i32_e64 s[18:19], v77, v13
	s_waitcnt lgkmcnt(0)
	v_cmp_lt_u16_sdwa s[20:21], v76, v75 src0_sel:BYTE_0 src1_sel:BYTE_0
	v_cndmask_b32_e64 v69, v69, v70, s[16:17]
	v_cndmask_b32_e64 v67, v67, v68, s[16:17]
	v_cmp_lt_i32_e64 s[16:17], v72, v14
	s_or_b64 s[18:19], s[18:19], s[20:21]
	s_and_b64 s[16:17], s[16:17], s[18:19]
	v_cndmask_b32_e64 v70, v77, v72, s[16:17]
	s_barrier
	ds_write_b8 v2, v65
	ds_write_b8 v2, v66 offset:1
	ds_write_b8 v2, v64 offset:2
	s_waitcnt lgkmcnt(0)
	s_barrier
	ds_read_u8 v64, v70
	ds_read_u8 v65, v67
	;; [unrolled: 1-line block ×3, first 2 shown]
	v_cndmask_b32_e64 v68, v75, v76, s[16:17]
	s_waitcnt lgkmcnt(0)
	s_barrier
	ds_write_b8 v2, v69
	ds_write_b8 v2, v71 offset:1
	ds_write_b8 v2, v68 offset:2
	v_mov_b32_e32 v68, v27
	s_waitcnt lgkmcnt(0)
	s_barrier
	s_and_saveexec_b64 s[18:19], s[2:3]
	s_cbranch_execz .LBB115_30
; %bb.27:                               ;   in Loop: Header=BB115_2 Depth=1
	s_mov_b64 s[20:21], 0
	v_mov_b32_e32 v68, v27
	v_mov_b32_e32 v67, v23
.LBB115_28:                             ;   Parent Loop BB115_2 Depth=1
                                        ; =>  This Inner Loop Header: Depth=2
	v_sub_u32_e32 v69, v67, v68
	v_lshrrev_b32_e32 v70, 31, v69
	v_add_u32_e32 v69, v69, v70
	v_ashrrev_i32_e32 v69, 1, v69
	v_add_u32_e32 v69, v69, v68
	v_not_b32_e32 v71, v69
	v_add_u32_e32 v70, v9, v69
	v_add3_u32 v71, v5, v71, v15
	ds_read_u8 v70, v70
	ds_read_u8 v71, v71
	v_add_u32_e32 v72, 1, v69
	s_waitcnt lgkmcnt(0)
	v_cmp_lt_u16_e64 s[16:17], v71, v70
	s_nop 1
	v_cndmask_b32_e64 v67, v67, v69, s[16:17]
	v_cndmask_b32_e64 v68, v72, v68, s[16:17]
	v_cmp_ge_i32_e64 s[16:17], v68, v67
	s_or_b64 s[20:21], s[16:17], s[20:21]
	s_andn2_b64 exec, exec, s[20:21]
	s_cbranch_execnz .LBB115_28
; %bb.29:                               ;   in Loop: Header=BB115_2 Depth=1
	s_or_b64 exec, exec, s[20:21]
.LBB115_30:                             ;   in Loop: Header=BB115_2 Depth=1
	s_or_b64 exec, exec, s[18:19]
	v_add_u32_e32 v67, v68, v9
	v_sub_u32_e32 v68, v20, v68
	ds_read_u8 v69, v67
	ds_read_u8 v70, v68
	v_cmp_le_i32_e64 s[18:19], v15, v67
	v_cmp_gt_i32_e64 s[16:17], v16, v68
                                        ; implicit-def: $vgpr71
                                        ; implicit-def: $vgpr72
	s_waitcnt lgkmcnt(0)
	v_cmp_lt_u16_sdwa s[20:21], v70, v69 src0_sel:BYTE_0 src1_sel:BYTE_0
	s_or_b64 s[18:19], s[18:19], s[20:21]
	s_and_b64 s[16:17], s[16:17], s[18:19]
	s_xor_b64 s[18:19], s[16:17], -1
	s_and_saveexec_b64 s[20:21], s[18:19]
	s_xor_b64 s[18:19], exec, s[20:21]
	s_cbranch_execz .LBB115_32
; %bb.31:                               ;   in Loop: Header=BB115_2 Depth=1
	ds_read_u8 v72, v67 offset:1
	v_mov_b32_e32 v71, v70
.LBB115_32:                             ;   in Loop: Header=BB115_2 Depth=1
	s_andn2_saveexec_b64 s[18:19], s[18:19]
	s_cbranch_execz .LBB115_34
; %bb.33:                               ;   in Loop: Header=BB115_2 Depth=1
	ds_read_u8 v71, v68 offset:1
	s_waitcnt lgkmcnt(1)
	v_mov_b32_e32 v72, v69
.LBB115_34:                             ;   in Loop: Header=BB115_2 Depth=1
	s_or_b64 exec, exec, s[18:19]
	v_add_u32_e32 v74, 1, v67
	v_add_u32_e32 v73, 1, v68
	v_cndmask_b32_e64 v74, v74, v67, s[16:17]
	v_cndmask_b32_e64 v73, v68, v73, s[16:17]
	v_cmp_ge_i32_e64 s[20:21], v74, v15
	s_waitcnt lgkmcnt(0)
	v_cmp_lt_u16_sdwa s[22:23], v71, v72 src0_sel:BYTE_0 src1_sel:BYTE_0
	v_cmp_lt_i32_e64 s[18:19], v73, v16
	s_or_b64 s[20:21], s[20:21], s[22:23]
	s_and_b64 s[18:19], s[18:19], s[20:21]
	s_xor_b64 s[20:21], s[18:19], -1
                                        ; implicit-def: $vgpr75
	s_and_saveexec_b64 s[22:23], s[20:21]
	s_xor_b64 s[20:21], exec, s[22:23]
	s_cbranch_execz .LBB115_36
; %bb.35:                               ;   in Loop: Header=BB115_2 Depth=1
	ds_read_u8 v75, v74 offset:1
.LBB115_36:                             ;   in Loop: Header=BB115_2 Depth=1
	s_or_saveexec_b64 s[20:21], s[20:21]
	v_mov_b32_e32 v76, v71
	s_xor_b64 exec, exec, s[20:21]
	s_cbranch_execz .LBB115_38
; %bb.37:                               ;   in Loop: Header=BB115_2 Depth=1
	ds_read_u8 v76, v73 offset:1
	s_waitcnt lgkmcnt(1)
	v_mov_b32_e32 v75, v72
.LBB115_38:                             ;   in Loop: Header=BB115_2 Depth=1
	s_or_b64 exec, exec, s[20:21]
	v_add_u32_e32 v77, 1, v74
	v_cndmask_b32_e64 v71, v72, v71, s[18:19]
	v_add_u32_e32 v72, 1, v73
	v_cndmask_b32_e64 v77, v77, v74, s[18:19]
	v_cndmask_b32_e64 v72, v73, v72, s[18:19]
	;; [unrolled: 1-line block ×3, first 2 shown]
	v_cmp_ge_i32_e64 s[18:19], v77, v15
	s_waitcnt lgkmcnt(0)
	v_cmp_lt_u16_sdwa s[20:21], v76, v75 src0_sel:BYTE_0 src1_sel:BYTE_0
	v_cndmask_b32_e64 v69, v69, v70, s[16:17]
	v_cndmask_b32_e64 v67, v67, v68, s[16:17]
	v_cmp_lt_i32_e64 s[16:17], v72, v16
	s_or_b64 s[18:19], s[18:19], s[20:21]
	s_and_b64 s[16:17], s[16:17], s[18:19]
	v_cndmask_b32_e64 v70, v77, v72, s[16:17]
	s_barrier
	ds_write_b8 v2, v65
	ds_write_b8 v2, v66 offset:1
	ds_write_b8 v2, v64 offset:2
	s_waitcnt lgkmcnt(0)
	s_barrier
	ds_read_u8 v64, v70
	ds_read_u8 v65, v67
	;; [unrolled: 1-line block ×3, first 2 shown]
	v_cndmask_b32_e64 v68, v75, v76, s[16:17]
	s_waitcnt lgkmcnt(0)
	s_barrier
	ds_write_b8 v2, v69
	ds_write_b8 v2, v71 offset:1
	ds_write_b8 v2, v68 offset:2
	v_mov_b32_e32 v68, v28
	s_waitcnt lgkmcnt(0)
	s_barrier
	s_and_saveexec_b64 s[18:19], s[4:5]
	s_cbranch_execz .LBB115_42
; %bb.39:                               ;   in Loop: Header=BB115_2 Depth=1
	s_mov_b64 s[20:21], 0
	v_mov_b32_e32 v68, v28
	v_mov_b32_e32 v67, v24
.LBB115_40:                             ;   Parent Loop BB115_2 Depth=1
                                        ; =>  This Inner Loop Header: Depth=2
	v_sub_u32_e32 v69, v67, v68
	v_lshrrev_b32_e32 v70, 31, v69
	v_add_u32_e32 v69, v69, v70
	v_ashrrev_i32_e32 v69, 1, v69
	v_add_u32_e32 v69, v69, v68
	v_not_b32_e32 v71, v69
	v_add_u32_e32 v70, v10, v69
	v_add3_u32 v71, v6, v71, v17
	ds_read_u8 v70, v70
	ds_read_u8 v71, v71
	v_add_u32_e32 v72, 1, v69
	s_waitcnt lgkmcnt(0)
	v_cmp_lt_u16_e64 s[16:17], v71, v70
	s_nop 1
	v_cndmask_b32_e64 v67, v67, v69, s[16:17]
	v_cndmask_b32_e64 v68, v72, v68, s[16:17]
	v_cmp_ge_i32_e64 s[16:17], v68, v67
	s_or_b64 s[20:21], s[16:17], s[20:21]
	s_andn2_b64 exec, exec, s[20:21]
	s_cbranch_execnz .LBB115_40
; %bb.41:                               ;   in Loop: Header=BB115_2 Depth=1
	s_or_b64 exec, exec, s[20:21]
.LBB115_42:                             ;   in Loop: Header=BB115_2 Depth=1
	s_or_b64 exec, exec, s[18:19]
	v_add_u32_e32 v67, v68, v10
	v_sub_u32_e32 v68, v29, v68
	ds_read_u8 v69, v67
	ds_read_u8 v70, v68
	v_cmp_le_i32_e64 s[18:19], v17, v67
	v_cmp_gt_i32_e64 s[16:17], v18, v68
                                        ; implicit-def: $vgpr71
                                        ; implicit-def: $vgpr72
	s_waitcnt lgkmcnt(0)
	v_cmp_lt_u16_sdwa s[20:21], v70, v69 src0_sel:BYTE_0 src1_sel:BYTE_0
	s_or_b64 s[18:19], s[18:19], s[20:21]
	s_and_b64 s[16:17], s[16:17], s[18:19]
	s_xor_b64 s[18:19], s[16:17], -1
	s_and_saveexec_b64 s[20:21], s[18:19]
	s_xor_b64 s[18:19], exec, s[20:21]
	s_cbranch_execz .LBB115_44
; %bb.43:                               ;   in Loop: Header=BB115_2 Depth=1
	ds_read_u8 v72, v67 offset:1
	v_mov_b32_e32 v71, v70
.LBB115_44:                             ;   in Loop: Header=BB115_2 Depth=1
	s_andn2_saveexec_b64 s[18:19], s[18:19]
	s_cbranch_execz .LBB115_46
; %bb.45:                               ;   in Loop: Header=BB115_2 Depth=1
	ds_read_u8 v71, v68 offset:1
	s_waitcnt lgkmcnt(1)
	v_mov_b32_e32 v72, v69
.LBB115_46:                             ;   in Loop: Header=BB115_2 Depth=1
	s_or_b64 exec, exec, s[18:19]
	v_add_u32_e32 v74, 1, v67
	v_add_u32_e32 v73, 1, v68
	v_cndmask_b32_e64 v74, v74, v67, s[16:17]
	v_cndmask_b32_e64 v73, v68, v73, s[16:17]
	v_cmp_ge_i32_e64 s[20:21], v74, v17
	s_waitcnt lgkmcnt(0)
	v_cmp_lt_u16_sdwa s[22:23], v71, v72 src0_sel:BYTE_0 src1_sel:BYTE_0
	v_cmp_lt_i32_e64 s[18:19], v73, v18
	s_or_b64 s[20:21], s[20:21], s[22:23]
	s_and_b64 s[18:19], s[18:19], s[20:21]
	s_xor_b64 s[20:21], s[18:19], -1
                                        ; implicit-def: $vgpr75
	s_and_saveexec_b64 s[22:23], s[20:21]
	s_xor_b64 s[20:21], exec, s[22:23]
	s_cbranch_execz .LBB115_48
; %bb.47:                               ;   in Loop: Header=BB115_2 Depth=1
	ds_read_u8 v75, v74 offset:1
.LBB115_48:                             ;   in Loop: Header=BB115_2 Depth=1
	s_or_saveexec_b64 s[20:21], s[20:21]
	v_mov_b32_e32 v76, v71
	s_xor_b64 exec, exec, s[20:21]
	s_cbranch_execz .LBB115_50
; %bb.49:                               ;   in Loop: Header=BB115_2 Depth=1
	ds_read_u8 v76, v73 offset:1
	s_waitcnt lgkmcnt(1)
	v_mov_b32_e32 v75, v72
.LBB115_50:                             ;   in Loop: Header=BB115_2 Depth=1
	s_or_b64 exec, exec, s[20:21]
	v_add_u32_e32 v77, 1, v74
	v_cndmask_b32_e64 v71, v72, v71, s[18:19]
	v_add_u32_e32 v72, 1, v73
	v_cndmask_b32_e64 v77, v77, v74, s[18:19]
	v_cndmask_b32_e64 v72, v73, v72, s[18:19]
	;; [unrolled: 1-line block ×3, first 2 shown]
	v_cmp_ge_i32_e64 s[18:19], v77, v17
	s_waitcnt lgkmcnt(0)
	v_cmp_lt_u16_sdwa s[20:21], v76, v75 src0_sel:BYTE_0 src1_sel:BYTE_0
	v_cndmask_b32_e64 v69, v69, v70, s[16:17]
	v_cndmask_b32_e64 v67, v67, v68, s[16:17]
	v_cmp_lt_i32_e64 s[16:17], v72, v18
	s_or_b64 s[18:19], s[18:19], s[20:21]
	s_and_b64 s[16:17], s[16:17], s[18:19]
	v_cndmask_b32_e64 v70, v77, v72, s[16:17]
	s_barrier
	ds_write_b8 v2, v65
	ds_write_b8 v2, v66 offset:1
	ds_write_b8 v2, v64 offset:2
	s_waitcnt lgkmcnt(0)
	s_barrier
	ds_read_u8 v64, v70
	ds_read_u8 v65, v67
	;; [unrolled: 1-line block ×3, first 2 shown]
	v_cndmask_b32_e64 v68, v75, v76, s[16:17]
	s_waitcnt lgkmcnt(0)
	s_barrier
	ds_write_b8 v2, v69
	ds_write_b8 v2, v71 offset:1
	ds_write_b8 v2, v68 offset:2
	v_mov_b32_e32 v68, v34
	s_waitcnt lgkmcnt(0)
	s_barrier
	s_and_saveexec_b64 s[18:19], s[6:7]
	s_cbranch_execz .LBB115_54
; %bb.51:                               ;   in Loop: Header=BB115_2 Depth=1
	s_mov_b64 s[20:21], 0
	v_mov_b32_e32 v68, v34
	v_mov_b32_e32 v67, v35
.LBB115_52:                             ;   Parent Loop BB115_2 Depth=1
                                        ; =>  This Inner Loop Header: Depth=2
	v_sub_u32_e32 v69, v67, v68
	v_lshrrev_b32_e32 v70, 31, v69
	v_add_u32_e32 v69, v69, v70
	v_ashrrev_i32_e32 v69, 1, v69
	v_add_u32_e32 v69, v69, v68
	v_not_b32_e32 v71, v69
	v_add_u32_e32 v70, v31, v69
	v_add3_u32 v71, v30, v71, v32
	ds_read_u8 v70, v70
	ds_read_u8 v71, v71
	v_add_u32_e32 v72, 1, v69
	s_waitcnt lgkmcnt(0)
	v_cmp_lt_u16_e64 s[16:17], v71, v70
	s_nop 1
	v_cndmask_b32_e64 v67, v67, v69, s[16:17]
	v_cndmask_b32_e64 v68, v72, v68, s[16:17]
	v_cmp_ge_i32_e64 s[16:17], v68, v67
	s_or_b64 s[20:21], s[16:17], s[20:21]
	s_andn2_b64 exec, exec, s[20:21]
	s_cbranch_execnz .LBB115_52
; %bb.53:                               ;   in Loop: Header=BB115_2 Depth=1
	s_or_b64 exec, exec, s[20:21]
.LBB115_54:                             ;   in Loop: Header=BB115_2 Depth=1
	s_or_b64 exec, exec, s[18:19]
	v_add_u32_e32 v67, v68, v31
	v_sub_u32_e32 v68, v36, v68
	ds_read_u8 v69, v67
	ds_read_u8 v70, v68
	v_cmp_le_i32_e64 s[18:19], v32, v67
	v_cmp_gt_i32_e64 s[16:17], v33, v68
                                        ; implicit-def: $vgpr71
                                        ; implicit-def: $vgpr72
	s_waitcnt lgkmcnt(0)
	v_cmp_lt_u16_sdwa s[20:21], v70, v69 src0_sel:BYTE_0 src1_sel:BYTE_0
	s_or_b64 s[18:19], s[18:19], s[20:21]
	s_and_b64 s[16:17], s[16:17], s[18:19]
	s_xor_b64 s[18:19], s[16:17], -1
	s_and_saveexec_b64 s[20:21], s[18:19]
	s_xor_b64 s[18:19], exec, s[20:21]
	s_cbranch_execz .LBB115_56
; %bb.55:                               ;   in Loop: Header=BB115_2 Depth=1
	ds_read_u8 v72, v67 offset:1
	v_mov_b32_e32 v71, v70
.LBB115_56:                             ;   in Loop: Header=BB115_2 Depth=1
	s_andn2_saveexec_b64 s[18:19], s[18:19]
	s_cbranch_execz .LBB115_58
; %bb.57:                               ;   in Loop: Header=BB115_2 Depth=1
	ds_read_u8 v71, v68 offset:1
	s_waitcnt lgkmcnt(1)
	v_mov_b32_e32 v72, v69
.LBB115_58:                             ;   in Loop: Header=BB115_2 Depth=1
	s_or_b64 exec, exec, s[18:19]
	v_add_u32_e32 v74, 1, v67
	v_add_u32_e32 v73, 1, v68
	v_cndmask_b32_e64 v74, v74, v67, s[16:17]
	v_cndmask_b32_e64 v73, v68, v73, s[16:17]
	v_cmp_ge_i32_e64 s[20:21], v74, v32
	s_waitcnt lgkmcnt(0)
	v_cmp_lt_u16_sdwa s[22:23], v71, v72 src0_sel:BYTE_0 src1_sel:BYTE_0
	v_cmp_lt_i32_e64 s[18:19], v73, v33
	s_or_b64 s[20:21], s[20:21], s[22:23]
	s_and_b64 s[18:19], s[18:19], s[20:21]
	s_xor_b64 s[20:21], s[18:19], -1
                                        ; implicit-def: $vgpr75
	s_and_saveexec_b64 s[22:23], s[20:21]
	s_xor_b64 s[20:21], exec, s[22:23]
	s_cbranch_execz .LBB115_60
; %bb.59:                               ;   in Loop: Header=BB115_2 Depth=1
	ds_read_u8 v75, v74 offset:1
.LBB115_60:                             ;   in Loop: Header=BB115_2 Depth=1
	s_or_saveexec_b64 s[20:21], s[20:21]
	v_mov_b32_e32 v76, v71
	s_xor_b64 exec, exec, s[20:21]
	s_cbranch_execz .LBB115_62
; %bb.61:                               ;   in Loop: Header=BB115_2 Depth=1
	ds_read_u8 v76, v73 offset:1
	s_waitcnt lgkmcnt(1)
	v_mov_b32_e32 v75, v72
.LBB115_62:                             ;   in Loop: Header=BB115_2 Depth=1
	s_or_b64 exec, exec, s[20:21]
	v_add_u32_e32 v77, 1, v74
	v_cndmask_b32_e64 v71, v72, v71, s[18:19]
	v_add_u32_e32 v72, 1, v73
	v_cndmask_b32_e64 v77, v77, v74, s[18:19]
	v_cndmask_b32_e64 v72, v73, v72, s[18:19]
	;; [unrolled: 1-line block ×3, first 2 shown]
	v_cmp_ge_i32_e64 s[18:19], v77, v32
	s_waitcnt lgkmcnt(0)
	v_cmp_lt_u16_sdwa s[20:21], v76, v75 src0_sel:BYTE_0 src1_sel:BYTE_0
	v_cndmask_b32_e64 v69, v69, v70, s[16:17]
	v_cndmask_b32_e64 v67, v67, v68, s[16:17]
	v_cmp_lt_i32_e64 s[16:17], v72, v33
	s_or_b64 s[18:19], s[18:19], s[20:21]
	s_and_b64 s[16:17], s[16:17], s[18:19]
	v_cndmask_b32_e64 v70, v77, v72, s[16:17]
	s_barrier
	ds_write_b8 v2, v65
	ds_write_b8 v2, v66 offset:1
	ds_write_b8 v2, v64 offset:2
	s_waitcnt lgkmcnt(0)
	s_barrier
	ds_read_u8 v64, v70
	ds_read_u8 v65, v67
	;; [unrolled: 1-line block ×3, first 2 shown]
	v_cndmask_b32_e64 v68, v75, v76, s[16:17]
	s_waitcnt lgkmcnt(0)
	s_barrier
	ds_write_b8 v2, v69
	ds_write_b8 v2, v71 offset:1
	ds_write_b8 v2, v68 offset:2
	v_mov_b32_e32 v68, v41
	s_waitcnt lgkmcnt(0)
	s_barrier
	s_and_saveexec_b64 s[18:19], s[8:9]
	s_cbranch_execz .LBB115_66
; %bb.63:                               ;   in Loop: Header=BB115_2 Depth=1
	s_mov_b64 s[20:21], 0
	v_mov_b32_e32 v68, v41
	v_mov_b32_e32 v67, v42
.LBB115_64:                             ;   Parent Loop BB115_2 Depth=1
                                        ; =>  This Inner Loop Header: Depth=2
	v_sub_u32_e32 v69, v67, v68
	v_lshrrev_b32_e32 v70, 31, v69
	v_add_u32_e32 v69, v69, v70
	v_ashrrev_i32_e32 v69, 1, v69
	v_add_u32_e32 v69, v69, v68
	v_not_b32_e32 v71, v69
	v_add_u32_e32 v70, v38, v69
	v_add3_u32 v71, v37, v71, v39
	ds_read_u8 v70, v70
	ds_read_u8 v71, v71
	v_add_u32_e32 v72, 1, v69
	s_waitcnt lgkmcnt(0)
	v_cmp_lt_u16_e64 s[16:17], v71, v70
	s_nop 1
	v_cndmask_b32_e64 v67, v67, v69, s[16:17]
	v_cndmask_b32_e64 v68, v72, v68, s[16:17]
	v_cmp_ge_i32_e64 s[16:17], v68, v67
	s_or_b64 s[20:21], s[16:17], s[20:21]
	s_andn2_b64 exec, exec, s[20:21]
	s_cbranch_execnz .LBB115_64
; %bb.65:                               ;   in Loop: Header=BB115_2 Depth=1
	s_or_b64 exec, exec, s[20:21]
.LBB115_66:                             ;   in Loop: Header=BB115_2 Depth=1
	s_or_b64 exec, exec, s[18:19]
	v_add_u32_e32 v67, v68, v38
	v_sub_u32_e32 v68, v43, v68
	ds_read_u8 v69, v67
	ds_read_u8 v70, v68
	v_cmp_le_i32_e64 s[18:19], v39, v67
	v_cmp_gt_i32_e64 s[16:17], v40, v68
                                        ; implicit-def: $vgpr71
                                        ; implicit-def: $vgpr72
	s_waitcnt lgkmcnt(0)
	v_cmp_lt_u16_sdwa s[20:21], v70, v69 src0_sel:BYTE_0 src1_sel:BYTE_0
	s_or_b64 s[18:19], s[18:19], s[20:21]
	s_and_b64 s[16:17], s[16:17], s[18:19]
	s_xor_b64 s[18:19], s[16:17], -1
	s_and_saveexec_b64 s[20:21], s[18:19]
	s_xor_b64 s[18:19], exec, s[20:21]
	s_cbranch_execz .LBB115_68
; %bb.67:                               ;   in Loop: Header=BB115_2 Depth=1
	ds_read_u8 v72, v67 offset:1
	v_mov_b32_e32 v71, v70
.LBB115_68:                             ;   in Loop: Header=BB115_2 Depth=1
	s_andn2_saveexec_b64 s[18:19], s[18:19]
	s_cbranch_execz .LBB115_70
; %bb.69:                               ;   in Loop: Header=BB115_2 Depth=1
	ds_read_u8 v71, v68 offset:1
	s_waitcnt lgkmcnt(1)
	v_mov_b32_e32 v72, v69
.LBB115_70:                             ;   in Loop: Header=BB115_2 Depth=1
	s_or_b64 exec, exec, s[18:19]
	v_add_u32_e32 v74, 1, v67
	v_add_u32_e32 v73, 1, v68
	v_cndmask_b32_e64 v74, v74, v67, s[16:17]
	v_cndmask_b32_e64 v73, v68, v73, s[16:17]
	v_cmp_ge_i32_e64 s[20:21], v74, v39
	s_waitcnt lgkmcnt(0)
	v_cmp_lt_u16_sdwa s[22:23], v71, v72 src0_sel:BYTE_0 src1_sel:BYTE_0
	v_cmp_lt_i32_e64 s[18:19], v73, v40
	s_or_b64 s[20:21], s[20:21], s[22:23]
	s_and_b64 s[18:19], s[18:19], s[20:21]
	s_xor_b64 s[20:21], s[18:19], -1
                                        ; implicit-def: $vgpr75
	s_and_saveexec_b64 s[22:23], s[20:21]
	s_xor_b64 s[20:21], exec, s[22:23]
	s_cbranch_execz .LBB115_72
; %bb.71:                               ;   in Loop: Header=BB115_2 Depth=1
	ds_read_u8 v75, v74 offset:1
.LBB115_72:                             ;   in Loop: Header=BB115_2 Depth=1
	s_or_saveexec_b64 s[20:21], s[20:21]
	v_mov_b32_e32 v76, v71
	s_xor_b64 exec, exec, s[20:21]
	s_cbranch_execz .LBB115_74
; %bb.73:                               ;   in Loop: Header=BB115_2 Depth=1
	ds_read_u8 v76, v73 offset:1
	s_waitcnt lgkmcnt(1)
	v_mov_b32_e32 v75, v72
.LBB115_74:                             ;   in Loop: Header=BB115_2 Depth=1
	s_or_b64 exec, exec, s[20:21]
	v_add_u32_e32 v77, 1, v74
	v_cndmask_b32_e64 v71, v72, v71, s[18:19]
	v_add_u32_e32 v72, 1, v73
	v_cndmask_b32_e64 v77, v77, v74, s[18:19]
	v_cndmask_b32_e64 v72, v73, v72, s[18:19]
	;; [unrolled: 1-line block ×3, first 2 shown]
	v_cmp_ge_i32_e64 s[18:19], v77, v39
	s_waitcnt lgkmcnt(0)
	v_cmp_lt_u16_sdwa s[20:21], v76, v75 src0_sel:BYTE_0 src1_sel:BYTE_0
	v_cndmask_b32_e64 v69, v69, v70, s[16:17]
	v_cndmask_b32_e64 v67, v67, v68, s[16:17]
	v_cmp_lt_i32_e64 s[16:17], v72, v40
	s_or_b64 s[18:19], s[18:19], s[20:21]
	s_and_b64 s[16:17], s[16:17], s[18:19]
	v_cndmask_b32_e64 v70, v77, v72, s[16:17]
	s_barrier
	ds_write_b8 v2, v65
	ds_write_b8 v2, v66 offset:1
	ds_write_b8 v2, v64 offset:2
	s_waitcnt lgkmcnt(0)
	s_barrier
	ds_read_u8 v64, v70
	ds_read_u8 v65, v67
	;; [unrolled: 1-line block ×3, first 2 shown]
	v_cndmask_b32_e64 v68, v75, v76, s[16:17]
	s_waitcnt lgkmcnt(0)
	s_barrier
	ds_write_b8 v2, v69
	ds_write_b8 v2, v71 offset:1
	ds_write_b8 v2, v68 offset:2
	v_mov_b32_e32 v68, v48
	s_waitcnt lgkmcnt(0)
	s_barrier
	s_and_saveexec_b64 s[18:19], s[10:11]
	s_cbranch_execz .LBB115_78
; %bb.75:                               ;   in Loop: Header=BB115_2 Depth=1
	s_mov_b64 s[20:21], 0
	v_mov_b32_e32 v68, v48
	v_mov_b32_e32 v67, v49
.LBB115_76:                             ;   Parent Loop BB115_2 Depth=1
                                        ; =>  This Inner Loop Header: Depth=2
	v_sub_u32_e32 v69, v67, v68
	v_lshrrev_b32_e32 v70, 31, v69
	v_add_u32_e32 v69, v69, v70
	v_ashrrev_i32_e32 v69, 1, v69
	v_add_u32_e32 v69, v69, v68
	v_not_b32_e32 v71, v69
	v_add_u32_e32 v70, v45, v69
	v_add3_u32 v71, v44, v71, v46
	ds_read_u8 v70, v70
	ds_read_u8 v71, v71
	v_add_u32_e32 v72, 1, v69
	s_waitcnt lgkmcnt(0)
	v_cmp_lt_u16_e64 s[16:17], v71, v70
	s_nop 1
	v_cndmask_b32_e64 v67, v67, v69, s[16:17]
	v_cndmask_b32_e64 v68, v72, v68, s[16:17]
	v_cmp_ge_i32_e64 s[16:17], v68, v67
	s_or_b64 s[20:21], s[16:17], s[20:21]
	s_andn2_b64 exec, exec, s[20:21]
	s_cbranch_execnz .LBB115_76
; %bb.77:                               ;   in Loop: Header=BB115_2 Depth=1
	s_or_b64 exec, exec, s[20:21]
.LBB115_78:                             ;   in Loop: Header=BB115_2 Depth=1
	s_or_b64 exec, exec, s[18:19]
	v_add_u32_e32 v67, v68, v45
	v_sub_u32_e32 v68, v50, v68
	ds_read_u8 v69, v67
	ds_read_u8 v70, v68
	v_cmp_le_i32_e64 s[18:19], v46, v67
	v_cmp_gt_i32_e64 s[16:17], v47, v68
                                        ; implicit-def: $vgpr71
                                        ; implicit-def: $vgpr72
	s_waitcnt lgkmcnt(0)
	v_cmp_lt_u16_sdwa s[20:21], v70, v69 src0_sel:BYTE_0 src1_sel:BYTE_0
	s_or_b64 s[18:19], s[18:19], s[20:21]
	s_and_b64 s[16:17], s[16:17], s[18:19]
	s_xor_b64 s[18:19], s[16:17], -1
	s_and_saveexec_b64 s[20:21], s[18:19]
	s_xor_b64 s[18:19], exec, s[20:21]
	s_cbranch_execz .LBB115_80
; %bb.79:                               ;   in Loop: Header=BB115_2 Depth=1
	ds_read_u8 v72, v67 offset:1
	v_mov_b32_e32 v71, v70
.LBB115_80:                             ;   in Loop: Header=BB115_2 Depth=1
	s_andn2_saveexec_b64 s[18:19], s[18:19]
	s_cbranch_execz .LBB115_82
; %bb.81:                               ;   in Loop: Header=BB115_2 Depth=1
	ds_read_u8 v71, v68 offset:1
	s_waitcnt lgkmcnt(1)
	v_mov_b32_e32 v72, v69
.LBB115_82:                             ;   in Loop: Header=BB115_2 Depth=1
	s_or_b64 exec, exec, s[18:19]
	v_add_u32_e32 v74, 1, v67
	v_add_u32_e32 v73, 1, v68
	v_cndmask_b32_e64 v74, v74, v67, s[16:17]
	v_cndmask_b32_e64 v73, v68, v73, s[16:17]
	v_cmp_ge_i32_e64 s[20:21], v74, v46
	s_waitcnt lgkmcnt(0)
	v_cmp_lt_u16_sdwa s[22:23], v71, v72 src0_sel:BYTE_0 src1_sel:BYTE_0
	v_cmp_lt_i32_e64 s[18:19], v73, v47
	s_or_b64 s[20:21], s[20:21], s[22:23]
	s_and_b64 s[18:19], s[18:19], s[20:21]
	s_xor_b64 s[20:21], s[18:19], -1
                                        ; implicit-def: $vgpr75
	s_and_saveexec_b64 s[22:23], s[20:21]
	s_xor_b64 s[20:21], exec, s[22:23]
	s_cbranch_execz .LBB115_84
; %bb.83:                               ;   in Loop: Header=BB115_2 Depth=1
	ds_read_u8 v75, v74 offset:1
.LBB115_84:                             ;   in Loop: Header=BB115_2 Depth=1
	s_or_saveexec_b64 s[20:21], s[20:21]
	v_mov_b32_e32 v76, v71
	s_xor_b64 exec, exec, s[20:21]
	s_cbranch_execz .LBB115_86
; %bb.85:                               ;   in Loop: Header=BB115_2 Depth=1
	ds_read_u8 v76, v73 offset:1
	s_waitcnt lgkmcnt(1)
	v_mov_b32_e32 v75, v72
.LBB115_86:                             ;   in Loop: Header=BB115_2 Depth=1
	s_or_b64 exec, exec, s[20:21]
	v_add_u32_e32 v77, 1, v74
	v_cndmask_b32_e64 v71, v72, v71, s[18:19]
	v_add_u32_e32 v72, 1, v73
	v_cndmask_b32_e64 v77, v77, v74, s[18:19]
	v_cndmask_b32_e64 v72, v73, v72, s[18:19]
	;; [unrolled: 1-line block ×3, first 2 shown]
	v_cmp_ge_i32_e64 s[18:19], v77, v46
	s_waitcnt lgkmcnt(0)
	v_cmp_lt_u16_sdwa s[20:21], v76, v75 src0_sel:BYTE_0 src1_sel:BYTE_0
	v_cndmask_b32_e64 v69, v69, v70, s[16:17]
	v_cndmask_b32_e64 v67, v67, v68, s[16:17]
	v_cmp_lt_i32_e64 s[16:17], v72, v47
	s_or_b64 s[18:19], s[18:19], s[20:21]
	s_and_b64 s[16:17], s[16:17], s[18:19]
	v_cndmask_b32_e64 v70, v77, v72, s[16:17]
	s_barrier
	ds_write_b8 v2, v65
	ds_write_b8 v2, v66 offset:1
	ds_write_b8 v2, v64 offset:2
	s_waitcnt lgkmcnt(0)
	s_barrier
	ds_read_u8 v64, v70
	ds_read_u8 v65, v67
	;; [unrolled: 1-line block ×3, first 2 shown]
	v_cndmask_b32_e64 v68, v75, v76, s[16:17]
	s_waitcnt lgkmcnt(0)
	s_barrier
	ds_write_b8 v2, v69
	ds_write_b8 v2, v71 offset:1
	ds_write_b8 v2, v68 offset:2
	v_mov_b32_e32 v68, v55
	s_waitcnt lgkmcnt(0)
	s_barrier
	s_and_saveexec_b64 s[18:19], s[12:13]
	s_cbranch_execz .LBB115_90
; %bb.87:                               ;   in Loop: Header=BB115_2 Depth=1
	s_mov_b64 s[20:21], 0
	v_mov_b32_e32 v68, v55
	v_mov_b32_e32 v67, v56
.LBB115_88:                             ;   Parent Loop BB115_2 Depth=1
                                        ; =>  This Inner Loop Header: Depth=2
	v_sub_u32_e32 v69, v67, v68
	v_lshrrev_b32_e32 v70, 31, v69
	v_add_u32_e32 v69, v69, v70
	v_ashrrev_i32_e32 v69, 1, v69
	v_add_u32_e32 v69, v69, v68
	v_not_b32_e32 v71, v69
	v_add_u32_e32 v70, v52, v69
	v_add3_u32 v71, v51, v71, v53
	ds_read_u8 v70, v70
	ds_read_u8 v71, v71
	v_add_u32_e32 v72, 1, v69
	s_waitcnt lgkmcnt(0)
	v_cmp_lt_u16_e64 s[16:17], v71, v70
	s_nop 1
	v_cndmask_b32_e64 v67, v67, v69, s[16:17]
	v_cndmask_b32_e64 v68, v72, v68, s[16:17]
	v_cmp_ge_i32_e64 s[16:17], v68, v67
	s_or_b64 s[20:21], s[16:17], s[20:21]
	s_andn2_b64 exec, exec, s[20:21]
	s_cbranch_execnz .LBB115_88
; %bb.89:                               ;   in Loop: Header=BB115_2 Depth=1
	s_or_b64 exec, exec, s[20:21]
.LBB115_90:                             ;   in Loop: Header=BB115_2 Depth=1
	s_or_b64 exec, exec, s[18:19]
	v_add_u32_e32 v67, v68, v52
	v_sub_u32_e32 v68, v57, v68
	ds_read_u8 v69, v67
	ds_read_u8 v70, v68
	v_cmp_le_i32_e64 s[18:19], v53, v67
	v_cmp_gt_i32_e64 s[16:17], v54, v68
                                        ; implicit-def: $vgpr71
                                        ; implicit-def: $vgpr72
	s_waitcnt lgkmcnt(0)
	v_cmp_lt_u16_sdwa s[20:21], v70, v69 src0_sel:BYTE_0 src1_sel:BYTE_0
	s_or_b64 s[18:19], s[18:19], s[20:21]
	s_and_b64 s[16:17], s[16:17], s[18:19]
	s_xor_b64 s[18:19], s[16:17], -1
	s_and_saveexec_b64 s[20:21], s[18:19]
	s_xor_b64 s[18:19], exec, s[20:21]
	s_cbranch_execz .LBB115_92
; %bb.91:                               ;   in Loop: Header=BB115_2 Depth=1
	ds_read_u8 v72, v67 offset:1
	v_mov_b32_e32 v71, v70
.LBB115_92:                             ;   in Loop: Header=BB115_2 Depth=1
	s_andn2_saveexec_b64 s[18:19], s[18:19]
	s_cbranch_execz .LBB115_94
; %bb.93:                               ;   in Loop: Header=BB115_2 Depth=1
	ds_read_u8 v71, v68 offset:1
	s_waitcnt lgkmcnt(1)
	v_mov_b32_e32 v72, v69
.LBB115_94:                             ;   in Loop: Header=BB115_2 Depth=1
	s_or_b64 exec, exec, s[18:19]
	v_add_u32_e32 v74, 1, v67
	v_add_u32_e32 v73, 1, v68
	v_cndmask_b32_e64 v74, v74, v67, s[16:17]
	v_cndmask_b32_e64 v73, v68, v73, s[16:17]
	v_cmp_ge_i32_e64 s[20:21], v74, v53
	s_waitcnt lgkmcnt(0)
	v_cmp_lt_u16_sdwa s[22:23], v71, v72 src0_sel:BYTE_0 src1_sel:BYTE_0
	v_cmp_lt_i32_e64 s[18:19], v73, v54
	s_or_b64 s[20:21], s[20:21], s[22:23]
	s_and_b64 s[18:19], s[18:19], s[20:21]
	s_xor_b64 s[20:21], s[18:19], -1
                                        ; implicit-def: $vgpr75
	s_and_saveexec_b64 s[22:23], s[20:21]
	s_xor_b64 s[20:21], exec, s[22:23]
	s_cbranch_execz .LBB115_96
; %bb.95:                               ;   in Loop: Header=BB115_2 Depth=1
	ds_read_u8 v75, v74 offset:1
.LBB115_96:                             ;   in Loop: Header=BB115_2 Depth=1
	s_or_saveexec_b64 s[20:21], s[20:21]
	v_mov_b32_e32 v76, v71
	s_xor_b64 exec, exec, s[20:21]
	s_cbranch_execz .LBB115_98
; %bb.97:                               ;   in Loop: Header=BB115_2 Depth=1
	ds_read_u8 v76, v73 offset:1
	s_waitcnt lgkmcnt(1)
	v_mov_b32_e32 v75, v72
.LBB115_98:                             ;   in Loop: Header=BB115_2 Depth=1
	s_or_b64 exec, exec, s[20:21]
	v_add_u32_e32 v77, 1, v74
	v_cndmask_b32_e64 v71, v72, v71, s[18:19]
	v_add_u32_e32 v72, 1, v73
	v_cndmask_b32_e64 v77, v77, v74, s[18:19]
	v_cndmask_b32_e64 v72, v73, v72, s[18:19]
	;; [unrolled: 1-line block ×3, first 2 shown]
	v_cmp_ge_i32_e64 s[18:19], v77, v53
	s_waitcnt lgkmcnt(0)
	v_cmp_lt_u16_sdwa s[20:21], v76, v75 src0_sel:BYTE_0 src1_sel:BYTE_0
	v_cndmask_b32_e64 v69, v69, v70, s[16:17]
	v_cndmask_b32_e64 v67, v67, v68, s[16:17]
	v_cmp_lt_i32_e64 s[16:17], v72, v54
	s_or_b64 s[18:19], s[18:19], s[20:21]
	s_and_b64 s[16:17], s[16:17], s[18:19]
	v_cndmask_b32_e64 v70, v77, v72, s[16:17]
	s_barrier
	ds_write_b8 v2, v65
	ds_write_b8 v2, v66 offset:1
	ds_write_b8 v2, v64 offset:2
	s_waitcnt lgkmcnt(0)
	s_barrier
	ds_read_u8 v64, v70
	ds_read_u8 v65, v67
	;; [unrolled: 1-line block ×3, first 2 shown]
	v_mov_b32_e32 v67, v59
	v_cndmask_b32_e64 v68, v75, v76, s[16:17]
	s_waitcnt lgkmcnt(0)
	s_barrier
	ds_write_b8 v2, v69
	ds_write_b8 v2, v71 offset:1
	ds_write_b8 v2, v68 offset:2
	s_waitcnt lgkmcnt(0)
	s_barrier
	s_and_saveexec_b64 s[18:19], s[14:15]
	s_cbranch_execz .LBB115_102
; %bb.99:                               ;   in Loop: Header=BB115_2 Depth=1
	s_mov_b64 s[20:21], 0
	v_mov_b32_e32 v67, v59
	v_mov_b32_e32 v68, v60
.LBB115_100:                            ;   Parent Loop BB115_2 Depth=1
                                        ; =>  This Inner Loop Header: Depth=2
	v_sub_u32_e32 v69, v68, v67
	v_lshrrev_b32_e32 v70, 31, v69
	v_add_u32_e32 v69, v69, v70
	v_ashrrev_i32_e32 v69, 1, v69
	v_add_u32_e32 v69, v69, v67
	v_not_b32_e32 v70, v69
	v_add3_u32 v70, v2, v70, v58
	ds_read_u8 v71, v69
	ds_read_u8 v70, v70
	v_add_u32_e32 v72, 1, v69
	s_waitcnt lgkmcnt(0)
	v_cmp_lt_u16_e64 s[16:17], v70, v71
	s_nop 1
	v_cndmask_b32_e64 v68, v68, v69, s[16:17]
	v_cndmask_b32_e64 v67, v72, v67, s[16:17]
	v_cmp_ge_i32_e64 s[16:17], v67, v68
	s_or_b64 s[20:21], s[16:17], s[20:21]
	s_andn2_b64 exec, exec, s[20:21]
	s_cbranch_execnz .LBB115_100
; %bb.101:                              ;   in Loop: Header=BB115_2 Depth=1
	s_or_b64 exec, exec, s[20:21]
.LBB115_102:                            ;   in Loop: Header=BB115_2 Depth=1
	s_or_b64 exec, exec, s[18:19]
	v_sub_u32_e32 v68, v62, v67
	ds_read_u8 v69, v67
	ds_read_u8 v70, v68
	v_cmp_le_i32_e64 s[18:19], v58, v67
	v_cmp_gt_i32_e64 s[16:17], s28, v68
                                        ; implicit-def: $vgpr71
                                        ; implicit-def: $vgpr72
	s_waitcnt lgkmcnt(0)
	v_cmp_lt_u16_sdwa s[20:21], v70, v69 src0_sel:BYTE_0 src1_sel:BYTE_0
	s_or_b64 s[18:19], s[18:19], s[20:21]
	s_and_b64 s[16:17], s[16:17], s[18:19]
	s_xor_b64 s[18:19], s[16:17], -1
	s_and_saveexec_b64 s[20:21], s[18:19]
	s_xor_b64 s[18:19], exec, s[20:21]
	s_cbranch_execz .LBB115_104
; %bb.103:                              ;   in Loop: Header=BB115_2 Depth=1
	ds_read_u8 v72, v67 offset:1
	v_mov_b32_e32 v71, v70
.LBB115_104:                            ;   in Loop: Header=BB115_2 Depth=1
	s_andn2_saveexec_b64 s[18:19], s[18:19]
	s_cbranch_execz .LBB115_106
; %bb.105:                              ;   in Loop: Header=BB115_2 Depth=1
	ds_read_u8 v71, v68 offset:1
	s_waitcnt lgkmcnt(1)
	v_mov_b32_e32 v72, v69
.LBB115_106:                            ;   in Loop: Header=BB115_2 Depth=1
	s_or_b64 exec, exec, s[18:19]
	v_add_u32_e32 v74, 1, v67
	v_add_u32_e32 v73, 1, v68
	v_cndmask_b32_e64 v76, v74, v67, s[16:17]
	v_cndmask_b32_e64 v73, v68, v73, s[16:17]
	v_cmp_ge_i32_e64 s[20:21], v76, v58
	s_waitcnt lgkmcnt(0)
	v_cmp_lt_u16_sdwa s[22:23], v71, v72 src0_sel:BYTE_0 src1_sel:BYTE_0
	v_cmp_gt_i32_e64 s[18:19], s28, v73
	s_or_b64 s[20:21], s[20:21], s[22:23]
	s_and_b64 s[18:19], s[18:19], s[20:21]
	s_xor_b64 s[20:21], s[18:19], -1
                                        ; implicit-def: $vgpr75
                                        ; implicit-def: $vgpr74
	s_and_saveexec_b64 s[22:23], s[20:21]
	s_xor_b64 s[20:21], exec, s[22:23]
	s_cbranch_execz .LBB115_108
; %bb.107:                              ;   in Loop: Header=BB115_2 Depth=1
	ds_read_u8 v75, v76 offset:1
	v_add_u32_e32 v74, 1, v76
.LBB115_108:                            ;   in Loop: Header=BB115_2 Depth=1
	s_or_saveexec_b64 s[20:21], s[20:21]
	v_mov_b32_e32 v77, v76
	v_mov_b32_e32 v78, v71
	s_xor_b64 exec, exec, s[20:21]
	s_cbranch_execz .LBB115_1
; %bb.109:                              ;   in Loop: Header=BB115_2 Depth=1
	ds_read_u8 v78, v73 offset:1
	s_waitcnt lgkmcnt(1)
	v_add_u32_e32 v75, 1, v73
	v_mov_b32_e32 v77, v73
	v_mov_b32_e32 v74, v76
	;; [unrolled: 1-line block ×4, first 2 shown]
	s_branch .LBB115_1
.LBB115_110:
	s_add_u32 s0, s30, s33
	s_addc_u32 s1, s31, 0
	v_add_u16_e32 v2, v69, v71
	v_lshl_add_u64 v[0:1], s[0:1], 0, v[0:1]
	v_add_u16_e32 v3, v70, v66
	v_add_u16_e32 v4, v67, v68
	global_store_byte v[0:1], v2, off
	global_store_byte v[0:1], v3, off offset:512
	global_store_byte v[0:1], v4, off offset:1024
	s_endpgm
	.section	.rodata,"a",@progbits
	.p2align	6, 0x0
	.amdhsa_kernel _Z17sort_pairs_kernelIhLj512ELj3EN10test_utils4lessELj10EEvPKT_PS2_T2_
		.amdhsa_group_segment_fixed_size 1537
		.amdhsa_private_segment_fixed_size 0
		.amdhsa_kernarg_size 20
		.amdhsa_user_sgpr_count 2
		.amdhsa_user_sgpr_dispatch_ptr 0
		.amdhsa_user_sgpr_queue_ptr 0
		.amdhsa_user_sgpr_kernarg_segment_ptr 1
		.amdhsa_user_sgpr_dispatch_id 0
		.amdhsa_user_sgpr_kernarg_preload_length 0
		.amdhsa_user_sgpr_kernarg_preload_offset 0
		.amdhsa_user_sgpr_private_segment_size 0
		.amdhsa_uses_dynamic_stack 0
		.amdhsa_enable_private_segment 0
		.amdhsa_system_sgpr_workgroup_id_x 1
		.amdhsa_system_sgpr_workgroup_id_y 0
		.amdhsa_system_sgpr_workgroup_id_z 0
		.amdhsa_system_sgpr_workgroup_info 0
		.amdhsa_system_vgpr_workitem_id 0
		.amdhsa_next_free_vgpr 79
		.amdhsa_next_free_sgpr 42
		.amdhsa_accum_offset 80
		.amdhsa_reserve_vcc 1
		.amdhsa_float_round_mode_32 0
		.amdhsa_float_round_mode_16_64 0
		.amdhsa_float_denorm_mode_32 3
		.amdhsa_float_denorm_mode_16_64 3
		.amdhsa_dx10_clamp 1
		.amdhsa_ieee_mode 1
		.amdhsa_fp16_overflow 0
		.amdhsa_tg_split 0
		.amdhsa_exception_fp_ieee_invalid_op 0
		.amdhsa_exception_fp_denorm_src 0
		.amdhsa_exception_fp_ieee_div_zero 0
		.amdhsa_exception_fp_ieee_overflow 0
		.amdhsa_exception_fp_ieee_underflow 0
		.amdhsa_exception_fp_ieee_inexact 0
		.amdhsa_exception_int_div_zero 0
	.end_amdhsa_kernel
	.section	.text._Z17sort_pairs_kernelIhLj512ELj3EN10test_utils4lessELj10EEvPKT_PS2_T2_,"axG",@progbits,_Z17sort_pairs_kernelIhLj512ELj3EN10test_utils4lessELj10EEvPKT_PS2_T2_,comdat
.Lfunc_end115:
	.size	_Z17sort_pairs_kernelIhLj512ELj3EN10test_utils4lessELj10EEvPKT_PS2_T2_, .Lfunc_end115-_Z17sort_pairs_kernelIhLj512ELj3EN10test_utils4lessELj10EEvPKT_PS2_T2_
                                        ; -- End function
	.section	.AMDGPU.csdata,"",@progbits
; Kernel info:
; codeLenInByte = 6640
; NumSgprs: 48
; NumVgprs: 79
; NumAgprs: 0
; TotalNumVgprs: 79
; ScratchSize: 0
; MemoryBound: 0
; FloatMode: 240
; IeeeMode: 1
; LDSByteSize: 1537 bytes/workgroup (compile time only)
; SGPRBlocks: 5
; VGPRBlocks: 9
; NumSGPRsForWavesPerEU: 48
; NumVGPRsForWavesPerEU: 79
; AccumOffset: 80
; Occupancy: 6
; WaveLimiterHint : 1
; COMPUTE_PGM_RSRC2:SCRATCH_EN: 0
; COMPUTE_PGM_RSRC2:USER_SGPR: 2
; COMPUTE_PGM_RSRC2:TRAP_HANDLER: 0
; COMPUTE_PGM_RSRC2:TGID_X_EN: 1
; COMPUTE_PGM_RSRC2:TGID_Y_EN: 0
; COMPUTE_PGM_RSRC2:TGID_Z_EN: 0
; COMPUTE_PGM_RSRC2:TIDIG_COMP_CNT: 0
; COMPUTE_PGM_RSRC3_GFX90A:ACCUM_OFFSET: 19
; COMPUTE_PGM_RSRC3_GFX90A:TG_SPLIT: 0
	.section	.text._Z16sort_keys_kernelIhLj512ELj4EN10test_utils4lessELj10EEvPKT_PS2_T2_,"axG",@progbits,_Z16sort_keys_kernelIhLj512ELj4EN10test_utils4lessELj10EEvPKT_PS2_T2_,comdat
	.protected	_Z16sort_keys_kernelIhLj512ELj4EN10test_utils4lessELj10EEvPKT_PS2_T2_ ; -- Begin function _Z16sort_keys_kernelIhLj512ELj4EN10test_utils4lessELj10EEvPKT_PS2_T2_
	.globl	_Z16sort_keys_kernelIhLj512ELj4EN10test_utils4lessELj10EEvPKT_PS2_T2_
	.p2align	8
	.type	_Z16sort_keys_kernelIhLj512ELj4EN10test_utils4lessELj10EEvPKT_PS2_T2_,@function
_Z16sort_keys_kernelIhLj512ELj4EN10test_utils4lessELj10EEvPKT_PS2_T2_: ; @_Z16sort_keys_kernelIhLj512ELj4EN10test_utils4lessELj10EEvPKT_PS2_T2_
; %bb.0:
	s_load_dwordx4 s[24:27], s[0:1], 0x0
	s_lshl_b32 s28, s2, 11
	v_lshlrev_b32_e32 v2, 2, v0
	v_and_b32_e32 v3, 0x7f8, v2
	v_and_b32_e32 v5, 0x7f0, v2
	s_waitcnt lgkmcnt(0)
	s_add_u32 s0, s24, s28
	s_addc_u32 s1, s25, 0
	global_load_ubyte v44, v0, s[0:1] offset:512
	global_load_ubyte v45, v0, s[0:1] offset:1536
	;; [unrolled: 1-line block ×3, first 2 shown]
	global_load_ubyte v47, v0, s[0:1]
	v_or_b32_e32 v15, 4, v3
	v_add_u32_e32 v16, 8, v3
	v_and_b32_e32 v4, 4, v2
	v_and_b32_e32 v7, 0x7e0, v2
	v_or_b32_e32 v17, 8, v5
	v_add_u32_e32 v18, 16, v5
	v_sub_u32_e32 v38, v16, v15
	v_and_b32_e32 v6, 12, v2
	v_and_b32_e32 v9, 0x7c0, v2
	v_or_b32_e32 v19, 16, v7
	v_add_u32_e32 v20, 32, v7
	v_sub_u32_e32 v39, v18, v17
	v_sub_u32_e32 v48, v4, v38
	v_cmp_ge_i32_e32 vcc, v4, v38
	v_and_b32_e32 v8, 28, v2
	v_and_b32_e32 v11, 0x780, v2
	v_or_b32_e32 v21, 32, v9
	v_add_u32_e32 v22, 64, v9
	v_sub_u32_e32 v40, v20, v19
	v_sub_u32_e32 v49, v6, v39
	v_cndmask_b32_e32 v38, 0, v48, vcc
	v_cmp_ge_i32_e32 vcc, v6, v39
	v_and_b32_e32 v10, 60, v2
	v_and_b32_e32 v13, 0x700, v2
	v_or_b32_e32 v23, 64, v11
	v_add_u32_e32 v24, 0x80, v11
	v_sub_u32_e32 v41, v22, v21
	v_sub_u32_e32 v50, v8, v40
	v_cndmask_b32_e32 v39, 0, v49, vcc
	v_cmp_ge_i32_e32 vcc, v8, v40
	v_and_b32_e32 v12, 0x7c, v2
	v_or_b32_e32 v25, 0x80, v13
	v_add_u32_e32 v26, 0x100, v13
	v_sub_u32_e32 v42, v24, v23
	v_sub_u32_e32 v51, v10, v41
	v_cndmask_b32_e32 v40, 0, v50, vcc
	v_cmp_ge_i32_e32 vcc, v10, v41
	v_and_b32_e32 v14, 0xfc, v2
	v_sub_u32_e32 v43, v26, v25
	v_sub_u32_e32 v52, v12, v42
	v_cndmask_b32_e32 v41, 0, v51, vcc
	v_cmp_ge_i32_e32 vcc, v12, v42
	v_sub_u32_e32 v53, v14, v43
	v_and_b32_e32 v51, 0x400, v2
	v_cndmask_b32_e32 v42, 0, v52, vcc
	v_cmp_ge_i32_e32 vcc, v14, v43
	v_add_u32_e32 v54, 0x400, v51
	v_and_b32_e32 v52, 0x3fc, v2
	v_cndmask_b32_e32 v43, 0, v53, vcc
	v_or_b32_e32 v53, 0x200, v51
	v_sub_u32_e32 v55, v54, v53
	v_sub_u32_e32 v32, v15, v3
	;; [unrolled: 1-line block ×9, first 2 shown]
	v_cmp_ge_i32_e64 s[12:13], v52, v55
	v_min_i32_e32 v32, v4, v32
	v_min_i32_e32 v33, v6, v33
	;; [unrolled: 1-line block ×6, first 2 shown]
	v_cndmask_b32_e64 v55, 0, v57, s[12:13]
	v_min_i32_e32 v56, v52, v56
	v_min_i32_e32 v58, 0x400, v2
	s_mov_b32 s24, 0
	v_mov_b32_e32 v1, 0
	s_mov_b32 s25, 0xffff
	v_add_u32_e32 v27, v15, v4
	v_add_u32_e32 v28, v17, v6
	;; [unrolled: 1-line block ×4, first 2 shown]
	s_waitcnt vmcnt(3)
	v_lshlrev_b16_e32 v44, 8, v44
	s_waitcnt vmcnt(2)
	v_lshlrev_b16_e32 v45, 8, v45
	s_waitcnt vmcnt(1)
	v_or_b32_sdwa v45, v46, v45 dst_sel:WORD_1 dst_unused:UNUSED_PAD src0_sel:DWORD src1_sel:DWORD
	s_waitcnt vmcnt(0)
	v_or_b32_e32 v44, v47, v44
	v_or_b32_sdwa v63, v44, v45 dst_sel:DWORD dst_unused:UNUSED_PAD src0_sel:WORD_0 src1_sel:DWORD
	v_and_b32_e32 v44, 0x600, v2
	v_or_b32_e32 v46, 0x100, v44
	v_add_u32_e32 v47, 0x200, v44
	v_and_b32_e32 v45, 0x1fc, v2
	v_sub_u32_e32 v48, v47, v46
	v_sub_u32_e32 v50, v45, v48
	v_cmp_ge_i32_e64 s[10:11], v45, v48
	v_sub_u32_e32 v49, v46, v44
	v_min_i32_e32 v49, v45, v49
	v_cndmask_b32_e64 v48, 0, v50, s[10:11]
	v_mov_b32_e32 v50, 0x400
	v_sub_u32_e64 v57, v2, v50 clamp
	v_add_u32_e32 v31, v23, v12
	v_cmp_lt_i32_e32 vcc, v38, v32
	v_cmp_lt_i32_e64 s[0:1], v39, v33
	v_cmp_lt_i32_e64 s[2:3], v40, v34
	v_cmp_lt_i32_e64 s[4:5], v41, v35
	v_cmp_lt_i32_e64 s[6:7], v42, v36
	v_cmp_lt_i32_e64 s[8:9], v43, v37
	v_cmp_lt_i32_e64 s[10:11], v48, v49
	v_cmp_lt_i32_e64 s[12:13], v55, v56
	v_cmp_lt_i32_e64 s[14:15], v57, v58
	s_mov_b32 s29, 0x7060405
	s_mov_b32 s30, 0xc0c0001
	s_movk_i32 s31, 0xff00
	s_mov_b32 s33, 0xffff0000
	s_movk_i32 s34, 0x800
	v_add_u32_e32 v59, v25, v14
	v_add_u32_e32 v60, v46, v45
	;; [unrolled: 1-line block ×4, first 2 shown]
	s_branch .LBB116_2
.LBB116_1:                              ;   in Loop: Header=BB116_2 Depth=1
	s_or_b64 exec, exec, s[22:23]
	v_cndmask_b32_e64 v65, v66, v65, s[18:19]
	v_cndmask_b32_e64 v66, v67, v68, s[20:21]
	v_cmp_ge_i32_e64 s[18:19], v71, v50
	s_waitcnt lgkmcnt(0)
	v_cmp_lt_u16_sdwa s[20:21], v73, v70 src0_sel:BYTE_0 src1_sel:BYTE_0
	v_cndmask_b32_e64 v64, v63, v64, s[16:17]
	v_cmp_gt_i32_e64 s[16:17], s34, v69
	s_or_b64 s[18:19], s[18:19], s[20:21]
	s_and_b64 s[16:17], s[16:17], s[18:19]
	v_cndmask_b32_e64 v67, v70, v73, s[16:17]
	v_lshlrev_b16_e32 v63, 8, v65
	v_lshlrev_b16_e32 v68, 8, v67
	v_or_b32_sdwa v63, v64, v63 dst_sel:DWORD dst_unused:UNUSED_PAD src0_sel:BYTE_0 src1_sel:DWORD
	v_or_b32_sdwa v68, v66, v68 dst_sel:WORD_1 dst_unused:UNUSED_PAD src0_sel:BYTE_0 src1_sel:DWORD
	s_add_i32 s24, s24, 1
	s_cmp_eq_u32 s24, 10
	v_or_b32_sdwa v63, v63, v68 dst_sel:DWORD dst_unused:UNUSED_PAD src0_sel:WORD_0 src1_sel:DWORD
	s_cbranch_scc1 .LBB116_146
.LBB116_2:                              ; =>This Loop Header: Depth=1
                                        ;     Child Loop BB116_4 Depth 2
                                        ;     Child Loop BB116_20 Depth 2
	;; [unrolled: 1-line block ×9, first 2 shown]
	v_lshrrev_b32_e32 v65, 8, v63
	v_perm_b32 v64, v63, v63, s29
	v_cmp_lt_u16_sdwa s[16:17], v65, v63 src0_sel:BYTE_0 src1_sel:BYTE_0
	v_min_u16_sdwa v68, v65, v63 dst_sel:DWORD dst_unused:UNUSED_PAD src0_sel:BYTE_0 src1_sel:BYTE_0
	s_nop 0
	v_cndmask_b32_e64 v64, v63, v64, s[16:17]
	v_lshrrev_b32_e32 v66, 16, v64
	v_perm_b32 v67, 0, v66, s30
	v_max_u16_sdwa v63, v65, v63 dst_sel:DWORD dst_unused:UNUSED_PAD src0_sel:BYTE_0 src1_sel:BYTE_0
	v_lshlrev_b32_e32 v65, 16, v67
	v_and_or_b32 v65, v64, s25, v65
	v_cmp_lt_u16_sdwa s[16:17], v64, v66 src0_sel:BYTE_3 src1_sel:BYTE_0
	v_max_u16_sdwa v69, v64, v66 dst_sel:DWORD dst_unused:UNUSED_PAD src0_sel:BYTE_3 src1_sel:BYTE_0
	s_barrier
	v_cndmask_b32_e64 v65, v64, v65, s[16:17]
	v_min_u16_sdwa v64, v64, v66 dst_sel:DWORD dst_unused:UNUSED_PAD src0_sel:BYTE_3 src1_sel:BYTE_0
	v_and_b32_sdwa v67, v65, s31 dst_sel:DWORD dst_unused:UNUSED_PAD src0_sel:WORD_1 src1_sel:DWORD
	v_lshlrev_b16_e32 v66, 8, v64
	v_or_b32_sdwa v67, v63, v67 dst_sel:WORD_1 dst_unused:UNUSED_PAD src0_sel:DWORD src1_sel:DWORD
	v_or_b32_sdwa v66, v65, v66 dst_sel:DWORD dst_unused:UNUSED_PAD src0_sel:BYTE_0 src1_sel:DWORD
	v_or_b32_sdwa v66, v66, v67 dst_sel:DWORD dst_unused:UNUSED_PAD src0_sel:WORD_0 src1_sel:DWORD
	v_cmp_lt_u16_e64 s[16:17], v64, v63
	v_lshlrev_b16_e32 v67, 8, v68
	v_max_u16_e32 v70, v64, v63
	v_cndmask_b32_e64 v65, v65, v66, s[16:17]
	v_min_u16_e32 v66, v64, v63
	v_or_b32_e32 v67, v66, v67
	v_and_b32_e32 v67, 0xffff, v67
	v_and_or_b32 v67, v65, s33, v67
	v_cmp_lt_u16_e64 s[16:17], v64, v68
	s_nop 1
	v_cndmask_b32_e64 v64, v65, v67, s[16:17]
	v_cndmask_b32_e64 v65, v66, v68, s[16:17]
	v_lshlrev_b16_e32 v66, 8, v70
	v_or_b32_sdwa v66, v69, v66 dst_sel:WORD_1 dst_unused:UNUSED_PAD src0_sel:DWORD src1_sel:DWORD
	v_cmp_gt_u16_e64 s[16:17], v63, v69
	v_and_or_b32 v66, v64, s25, v66
	s_nop 0
	v_cndmask_b32_e64 v63, v64, v66, s[16:17]
	v_cndmask_b32_e64 v66, v70, v69, s[16:17]
	v_and_b32_sdwa v64, v63, s31 dst_sel:DWORD dst_unused:UNUSED_PAD src0_sel:WORD_1 src1_sel:DWORD
	v_lshlrev_b16_e32 v67, 8, v66
	v_or_b32_sdwa v64, v65, v64 dst_sel:WORD_1 dst_unused:UNUSED_PAD src0_sel:DWORD src1_sel:DWORD
	v_or_b32_sdwa v67, v63, v67 dst_sel:DWORD dst_unused:UNUSED_PAD src0_sel:BYTE_0 src1_sel:DWORD
	v_or_b32_sdwa v64, v67, v64 dst_sel:DWORD dst_unused:UNUSED_PAD src0_sel:WORD_0 src1_sel:DWORD
	v_cmp_lt_u16_e64 s[16:17], v66, v65
	s_nop 1
	v_cndmask_b32_e64 v63, v63, v64, s[16:17]
	ds_write_b32 v2, v63
	v_mov_b32_e32 v63, v38
	s_waitcnt lgkmcnt(0)
	s_barrier
	s_and_saveexec_b64 s[18:19], vcc
	s_cbranch_execz .LBB116_6
; %bb.3:                                ;   in Loop: Header=BB116_2 Depth=1
	s_mov_b64 s[20:21], 0
	v_mov_b32_e32 v63, v38
	v_mov_b32_e32 v64, v32
.LBB116_4:                              ;   Parent Loop BB116_2 Depth=1
                                        ; =>  This Inner Loop Header: Depth=2
	v_sub_u32_e32 v65, v64, v63
	v_lshrrev_b32_e32 v66, 31, v65
	v_add_u32_e32 v65, v65, v66
	v_ashrrev_i32_e32 v65, 1, v65
	v_add_u32_e32 v65, v65, v63
	v_not_b32_e32 v67, v65
	v_add_u32_e32 v66, v3, v65
	v_add3_u32 v67, v4, v67, v15
	ds_read_u8 v66, v66
	ds_read_u8 v67, v67
	v_add_u32_e32 v68, 1, v65
	s_waitcnt lgkmcnt(0)
	v_cmp_lt_u16_e64 s[16:17], v67, v66
	s_nop 1
	v_cndmask_b32_e64 v64, v64, v65, s[16:17]
	v_cndmask_b32_e64 v63, v68, v63, s[16:17]
	v_cmp_ge_i32_e64 s[16:17], v63, v64
	s_or_b64 s[20:21], s[16:17], s[20:21]
	s_andn2_b64 exec, exec, s[20:21]
	s_cbranch_execnz .LBB116_4
; %bb.5:                                ;   in Loop: Header=BB116_2 Depth=1
	s_or_b64 exec, exec, s[20:21]
.LBB116_6:                              ;   in Loop: Header=BB116_2 Depth=1
	s_or_b64 exec, exec, s[18:19]
	v_add_u32_e32 v67, v63, v3
	v_sub_u32_e32 v68, v27, v63
	ds_read_u8 v63, v67
	ds_read_u8 v64, v68
	v_cmp_le_i32_e64 s[18:19], v15, v67
	v_cmp_gt_i32_e64 s[16:17], v16, v68
                                        ; implicit-def: $vgpr65
                                        ; implicit-def: $vgpr66
	s_waitcnt lgkmcnt(0)
	v_cmp_lt_u16_sdwa s[20:21], v64, v63 src0_sel:BYTE_0 src1_sel:BYTE_0
	s_or_b64 s[18:19], s[18:19], s[20:21]
	s_and_b64 s[16:17], s[16:17], s[18:19]
	s_xor_b64 s[18:19], s[16:17], -1
	s_and_saveexec_b64 s[20:21], s[18:19]
	s_xor_b64 s[18:19], exec, s[20:21]
	s_cbranch_execz .LBB116_8
; %bb.7:                                ;   in Loop: Header=BB116_2 Depth=1
	ds_read_u8 v66, v67 offset:1
	v_mov_b32_e32 v65, v64
.LBB116_8:                              ;   in Loop: Header=BB116_2 Depth=1
	s_andn2_saveexec_b64 s[18:19], s[18:19]
	s_cbranch_execz .LBB116_10
; %bb.9:                                ;   in Loop: Header=BB116_2 Depth=1
	ds_read_u8 v65, v68 offset:1
	s_waitcnt lgkmcnt(1)
	v_mov_b32_e32 v66, v63
.LBB116_10:                             ;   in Loop: Header=BB116_2 Depth=1
	s_or_b64 exec, exec, s[18:19]
	v_add_u32_e32 v70, 1, v67
	v_add_u32_e32 v69, 1, v68
	v_cndmask_b32_e64 v70, v70, v67, s[16:17]
	v_cndmask_b32_e64 v69, v68, v69, s[16:17]
	v_cmp_ge_i32_e64 s[20:21], v70, v15
	s_waitcnt lgkmcnt(0)
	v_cmp_lt_u16_sdwa s[22:23], v65, v66 src0_sel:BYTE_0 src1_sel:BYTE_0
	v_cmp_lt_i32_e64 s[18:19], v69, v16
	s_or_b64 s[20:21], s[20:21], s[22:23]
	s_and_b64 s[18:19], s[18:19], s[20:21]
	s_xor_b64 s[20:21], s[18:19], -1
                                        ; implicit-def: $vgpr67
	s_and_saveexec_b64 s[22:23], s[20:21]
	s_xor_b64 s[20:21], exec, s[22:23]
	s_cbranch_execz .LBB116_12
; %bb.11:                               ;   in Loop: Header=BB116_2 Depth=1
	ds_read_u8 v67, v70 offset:1
.LBB116_12:                             ;   in Loop: Header=BB116_2 Depth=1
	s_or_saveexec_b64 s[20:21], s[20:21]
	v_mov_b32_e32 v68, v65
	s_xor_b64 exec, exec, s[20:21]
	s_cbranch_execz .LBB116_14
; %bb.13:                               ;   in Loop: Header=BB116_2 Depth=1
	ds_read_u8 v68, v69 offset:1
	s_waitcnt lgkmcnt(1)
	v_mov_b32_e32 v67, v66
.LBB116_14:                             ;   in Loop: Header=BB116_2 Depth=1
	s_or_b64 exec, exec, s[20:21]
	v_add_u32_e32 v72, 1, v70
	v_add_u32_e32 v71, 1, v69
	v_cndmask_b32_e64 v70, v72, v70, s[18:19]
	v_cndmask_b32_e64 v69, v69, v71, s[18:19]
	v_cmp_ge_i32_e64 s[22:23], v70, v15
	s_waitcnt lgkmcnt(0)
	v_cmp_lt_u16_sdwa s[36:37], v68, v67 src0_sel:BYTE_0 src1_sel:BYTE_0
	v_cmp_lt_i32_e64 s[20:21], v69, v16
	s_or_b64 s[22:23], s[22:23], s[36:37]
	s_and_b64 s[20:21], s[20:21], s[22:23]
	s_xor_b64 s[22:23], s[20:21], -1
                                        ; implicit-def: $vgpr71
	s_and_saveexec_b64 s[36:37], s[22:23]
	s_xor_b64 s[22:23], exec, s[36:37]
	s_cbranch_execz .LBB116_16
; %bb.15:                               ;   in Loop: Header=BB116_2 Depth=1
	ds_read_u8 v71, v70 offset:1
.LBB116_16:                             ;   in Loop: Header=BB116_2 Depth=1
	s_or_saveexec_b64 s[22:23], s[22:23]
	v_mov_b32_e32 v72, v68
	s_xor_b64 exec, exec, s[22:23]
	s_cbranch_execz .LBB116_18
; %bb.17:                               ;   in Loop: Header=BB116_2 Depth=1
	ds_read_u8 v72, v69 offset:1
	s_waitcnt lgkmcnt(1)
	v_mov_b32_e32 v71, v67
.LBB116_18:                             ;   in Loop: Header=BB116_2 Depth=1
	s_or_b64 exec, exec, s[22:23]
	v_cndmask_b32_e64 v67, v67, v68, s[20:21]
	v_add_u32_e32 v68, 1, v69
	v_add_u32_e32 v73, 1, v70
	v_cndmask_b32_e64 v68, v69, v68, s[20:21]
	v_cndmask_b32_e64 v69, v73, v70, s[20:21]
	;; [unrolled: 1-line block ×3, first 2 shown]
	v_cmp_ge_i32_e64 s[18:19], v69, v15
	s_waitcnt lgkmcnt(0)
	v_cmp_lt_u16_sdwa s[20:21], v72, v71 src0_sel:BYTE_0 src1_sel:BYTE_0
	v_cndmask_b32_e64 v63, v63, v64, s[16:17]
	v_cmp_lt_i32_e64 s[16:17], v68, v16
	s_or_b64 s[18:19], s[18:19], s[20:21]
	s_and_b64 s[16:17], s[16:17], s[18:19]
	v_cndmask_b32_e64 v64, v71, v72, s[16:17]
	s_barrier
	ds_write_b8 v2, v63
	ds_write_b8 v2, v65 offset:1
	ds_write_b8 v2, v67 offset:2
	;; [unrolled: 1-line block ×3, first 2 shown]
	v_mov_b32_e32 v63, v39
	s_waitcnt lgkmcnt(0)
	s_barrier
	s_and_saveexec_b64 s[18:19], s[0:1]
	s_cbranch_execz .LBB116_22
; %bb.19:                               ;   in Loop: Header=BB116_2 Depth=1
	s_mov_b64 s[20:21], 0
	v_mov_b32_e32 v63, v39
	v_mov_b32_e32 v64, v33
.LBB116_20:                             ;   Parent Loop BB116_2 Depth=1
                                        ; =>  This Inner Loop Header: Depth=2
	v_sub_u32_e32 v65, v64, v63
	v_lshrrev_b32_e32 v66, 31, v65
	v_add_u32_e32 v65, v65, v66
	v_ashrrev_i32_e32 v65, 1, v65
	v_add_u32_e32 v65, v65, v63
	v_not_b32_e32 v67, v65
	v_add_u32_e32 v66, v5, v65
	v_add3_u32 v67, v6, v67, v17
	ds_read_u8 v66, v66
	ds_read_u8 v67, v67
	v_add_u32_e32 v68, 1, v65
	s_waitcnt lgkmcnt(0)
	v_cmp_lt_u16_e64 s[16:17], v67, v66
	s_nop 1
	v_cndmask_b32_e64 v64, v64, v65, s[16:17]
	v_cndmask_b32_e64 v63, v68, v63, s[16:17]
	v_cmp_ge_i32_e64 s[16:17], v63, v64
	s_or_b64 s[20:21], s[16:17], s[20:21]
	s_andn2_b64 exec, exec, s[20:21]
	s_cbranch_execnz .LBB116_20
; %bb.21:                               ;   in Loop: Header=BB116_2 Depth=1
	s_or_b64 exec, exec, s[20:21]
.LBB116_22:                             ;   in Loop: Header=BB116_2 Depth=1
	s_or_b64 exec, exec, s[18:19]
	v_add_u32_e32 v67, v63, v5
	v_sub_u32_e32 v68, v28, v63
	ds_read_u8 v63, v67
	ds_read_u8 v64, v68
	v_cmp_le_i32_e64 s[18:19], v17, v67
	v_cmp_gt_i32_e64 s[16:17], v18, v68
                                        ; implicit-def: $vgpr65
                                        ; implicit-def: $vgpr66
	s_waitcnt lgkmcnt(0)
	v_cmp_lt_u16_sdwa s[20:21], v64, v63 src0_sel:BYTE_0 src1_sel:BYTE_0
	s_or_b64 s[18:19], s[18:19], s[20:21]
	s_and_b64 s[16:17], s[16:17], s[18:19]
	s_xor_b64 s[18:19], s[16:17], -1
	s_and_saveexec_b64 s[20:21], s[18:19]
	s_xor_b64 s[18:19], exec, s[20:21]
	s_cbranch_execz .LBB116_24
; %bb.23:                               ;   in Loop: Header=BB116_2 Depth=1
	ds_read_u8 v66, v67 offset:1
	v_mov_b32_e32 v65, v64
.LBB116_24:                             ;   in Loop: Header=BB116_2 Depth=1
	s_andn2_saveexec_b64 s[18:19], s[18:19]
	s_cbranch_execz .LBB116_26
; %bb.25:                               ;   in Loop: Header=BB116_2 Depth=1
	ds_read_u8 v65, v68 offset:1
	s_waitcnt lgkmcnt(1)
	v_mov_b32_e32 v66, v63
.LBB116_26:                             ;   in Loop: Header=BB116_2 Depth=1
	s_or_b64 exec, exec, s[18:19]
	v_add_u32_e32 v70, 1, v67
	v_add_u32_e32 v69, 1, v68
	v_cndmask_b32_e64 v70, v70, v67, s[16:17]
	v_cndmask_b32_e64 v69, v68, v69, s[16:17]
	v_cmp_ge_i32_e64 s[20:21], v70, v17
	s_waitcnt lgkmcnt(0)
	v_cmp_lt_u16_sdwa s[22:23], v65, v66 src0_sel:BYTE_0 src1_sel:BYTE_0
	v_cmp_lt_i32_e64 s[18:19], v69, v18
	s_or_b64 s[20:21], s[20:21], s[22:23]
	s_and_b64 s[18:19], s[18:19], s[20:21]
	s_xor_b64 s[20:21], s[18:19], -1
                                        ; implicit-def: $vgpr67
	s_and_saveexec_b64 s[22:23], s[20:21]
	s_xor_b64 s[20:21], exec, s[22:23]
	s_cbranch_execz .LBB116_28
; %bb.27:                               ;   in Loop: Header=BB116_2 Depth=1
	ds_read_u8 v67, v70 offset:1
.LBB116_28:                             ;   in Loop: Header=BB116_2 Depth=1
	s_or_saveexec_b64 s[20:21], s[20:21]
	v_mov_b32_e32 v68, v65
	s_xor_b64 exec, exec, s[20:21]
	s_cbranch_execz .LBB116_30
; %bb.29:                               ;   in Loop: Header=BB116_2 Depth=1
	ds_read_u8 v68, v69 offset:1
	s_waitcnt lgkmcnt(1)
	v_mov_b32_e32 v67, v66
.LBB116_30:                             ;   in Loop: Header=BB116_2 Depth=1
	s_or_b64 exec, exec, s[20:21]
	v_add_u32_e32 v72, 1, v70
	v_add_u32_e32 v71, 1, v69
	v_cndmask_b32_e64 v70, v72, v70, s[18:19]
	v_cndmask_b32_e64 v69, v69, v71, s[18:19]
	v_cmp_ge_i32_e64 s[22:23], v70, v17
	s_waitcnt lgkmcnt(0)
	v_cmp_lt_u16_sdwa s[36:37], v68, v67 src0_sel:BYTE_0 src1_sel:BYTE_0
	v_cmp_lt_i32_e64 s[20:21], v69, v18
	s_or_b64 s[22:23], s[22:23], s[36:37]
	s_and_b64 s[20:21], s[20:21], s[22:23]
	s_xor_b64 s[22:23], s[20:21], -1
                                        ; implicit-def: $vgpr71
	s_and_saveexec_b64 s[36:37], s[22:23]
	s_xor_b64 s[22:23], exec, s[36:37]
	s_cbranch_execz .LBB116_32
; %bb.31:                               ;   in Loop: Header=BB116_2 Depth=1
	ds_read_u8 v71, v70 offset:1
.LBB116_32:                             ;   in Loop: Header=BB116_2 Depth=1
	s_or_saveexec_b64 s[22:23], s[22:23]
	v_mov_b32_e32 v72, v68
	s_xor_b64 exec, exec, s[22:23]
	s_cbranch_execz .LBB116_34
; %bb.33:                               ;   in Loop: Header=BB116_2 Depth=1
	ds_read_u8 v72, v69 offset:1
	s_waitcnt lgkmcnt(1)
	v_mov_b32_e32 v71, v67
.LBB116_34:                             ;   in Loop: Header=BB116_2 Depth=1
	s_or_b64 exec, exec, s[22:23]
	v_cndmask_b32_e64 v67, v67, v68, s[20:21]
	v_add_u32_e32 v68, 1, v69
	v_add_u32_e32 v73, 1, v70
	v_cndmask_b32_e64 v68, v69, v68, s[20:21]
	v_cndmask_b32_e64 v69, v73, v70, s[20:21]
	;; [unrolled: 1-line block ×3, first 2 shown]
	v_cmp_ge_i32_e64 s[18:19], v69, v17
	s_waitcnt lgkmcnt(0)
	v_cmp_lt_u16_sdwa s[20:21], v72, v71 src0_sel:BYTE_0 src1_sel:BYTE_0
	v_cndmask_b32_e64 v63, v63, v64, s[16:17]
	v_cmp_lt_i32_e64 s[16:17], v68, v18
	s_or_b64 s[18:19], s[18:19], s[20:21]
	s_and_b64 s[16:17], s[16:17], s[18:19]
	v_cndmask_b32_e64 v64, v71, v72, s[16:17]
	s_barrier
	ds_write_b8 v2, v63
	ds_write_b8 v2, v65 offset:1
	ds_write_b8 v2, v67 offset:2
	;; [unrolled: 1-line block ×3, first 2 shown]
	v_mov_b32_e32 v63, v40
	s_waitcnt lgkmcnt(0)
	s_barrier
	s_and_saveexec_b64 s[18:19], s[2:3]
	s_cbranch_execz .LBB116_38
; %bb.35:                               ;   in Loop: Header=BB116_2 Depth=1
	s_mov_b64 s[20:21], 0
	v_mov_b32_e32 v63, v40
	v_mov_b32_e32 v64, v34
.LBB116_36:                             ;   Parent Loop BB116_2 Depth=1
                                        ; =>  This Inner Loop Header: Depth=2
	v_sub_u32_e32 v65, v64, v63
	v_lshrrev_b32_e32 v66, 31, v65
	v_add_u32_e32 v65, v65, v66
	v_ashrrev_i32_e32 v65, 1, v65
	v_add_u32_e32 v65, v65, v63
	v_not_b32_e32 v67, v65
	v_add_u32_e32 v66, v7, v65
	v_add3_u32 v67, v8, v67, v19
	ds_read_u8 v66, v66
	ds_read_u8 v67, v67
	v_add_u32_e32 v68, 1, v65
	s_waitcnt lgkmcnt(0)
	v_cmp_lt_u16_e64 s[16:17], v67, v66
	s_nop 1
	v_cndmask_b32_e64 v64, v64, v65, s[16:17]
	v_cndmask_b32_e64 v63, v68, v63, s[16:17]
	v_cmp_ge_i32_e64 s[16:17], v63, v64
	s_or_b64 s[20:21], s[16:17], s[20:21]
	s_andn2_b64 exec, exec, s[20:21]
	s_cbranch_execnz .LBB116_36
; %bb.37:                               ;   in Loop: Header=BB116_2 Depth=1
	s_or_b64 exec, exec, s[20:21]
.LBB116_38:                             ;   in Loop: Header=BB116_2 Depth=1
	s_or_b64 exec, exec, s[18:19]
	v_add_u32_e32 v67, v63, v7
	v_sub_u32_e32 v68, v29, v63
	ds_read_u8 v63, v67
	ds_read_u8 v64, v68
	v_cmp_le_i32_e64 s[18:19], v19, v67
	v_cmp_gt_i32_e64 s[16:17], v20, v68
                                        ; implicit-def: $vgpr65
                                        ; implicit-def: $vgpr66
	s_waitcnt lgkmcnt(0)
	v_cmp_lt_u16_sdwa s[20:21], v64, v63 src0_sel:BYTE_0 src1_sel:BYTE_0
	s_or_b64 s[18:19], s[18:19], s[20:21]
	s_and_b64 s[16:17], s[16:17], s[18:19]
	s_xor_b64 s[18:19], s[16:17], -1
	s_and_saveexec_b64 s[20:21], s[18:19]
	s_xor_b64 s[18:19], exec, s[20:21]
	s_cbranch_execz .LBB116_40
; %bb.39:                               ;   in Loop: Header=BB116_2 Depth=1
	ds_read_u8 v66, v67 offset:1
	v_mov_b32_e32 v65, v64
.LBB116_40:                             ;   in Loop: Header=BB116_2 Depth=1
	s_andn2_saveexec_b64 s[18:19], s[18:19]
	s_cbranch_execz .LBB116_42
; %bb.41:                               ;   in Loop: Header=BB116_2 Depth=1
	ds_read_u8 v65, v68 offset:1
	s_waitcnt lgkmcnt(1)
	v_mov_b32_e32 v66, v63
.LBB116_42:                             ;   in Loop: Header=BB116_2 Depth=1
	s_or_b64 exec, exec, s[18:19]
	v_add_u32_e32 v70, 1, v67
	v_add_u32_e32 v69, 1, v68
	v_cndmask_b32_e64 v70, v70, v67, s[16:17]
	v_cndmask_b32_e64 v69, v68, v69, s[16:17]
	v_cmp_ge_i32_e64 s[20:21], v70, v19
	s_waitcnt lgkmcnt(0)
	v_cmp_lt_u16_sdwa s[22:23], v65, v66 src0_sel:BYTE_0 src1_sel:BYTE_0
	v_cmp_lt_i32_e64 s[18:19], v69, v20
	s_or_b64 s[20:21], s[20:21], s[22:23]
	s_and_b64 s[18:19], s[18:19], s[20:21]
	s_xor_b64 s[20:21], s[18:19], -1
                                        ; implicit-def: $vgpr67
	s_and_saveexec_b64 s[22:23], s[20:21]
	s_xor_b64 s[20:21], exec, s[22:23]
	s_cbranch_execz .LBB116_44
; %bb.43:                               ;   in Loop: Header=BB116_2 Depth=1
	ds_read_u8 v67, v70 offset:1
.LBB116_44:                             ;   in Loop: Header=BB116_2 Depth=1
	s_or_saveexec_b64 s[20:21], s[20:21]
	v_mov_b32_e32 v68, v65
	s_xor_b64 exec, exec, s[20:21]
	s_cbranch_execz .LBB116_46
; %bb.45:                               ;   in Loop: Header=BB116_2 Depth=1
	ds_read_u8 v68, v69 offset:1
	s_waitcnt lgkmcnt(1)
	v_mov_b32_e32 v67, v66
.LBB116_46:                             ;   in Loop: Header=BB116_2 Depth=1
	s_or_b64 exec, exec, s[20:21]
	v_add_u32_e32 v72, 1, v70
	v_add_u32_e32 v71, 1, v69
	v_cndmask_b32_e64 v70, v72, v70, s[18:19]
	v_cndmask_b32_e64 v69, v69, v71, s[18:19]
	v_cmp_ge_i32_e64 s[22:23], v70, v19
	s_waitcnt lgkmcnt(0)
	v_cmp_lt_u16_sdwa s[36:37], v68, v67 src0_sel:BYTE_0 src1_sel:BYTE_0
	v_cmp_lt_i32_e64 s[20:21], v69, v20
	s_or_b64 s[22:23], s[22:23], s[36:37]
	s_and_b64 s[20:21], s[20:21], s[22:23]
	s_xor_b64 s[22:23], s[20:21], -1
                                        ; implicit-def: $vgpr71
	s_and_saveexec_b64 s[36:37], s[22:23]
	s_xor_b64 s[22:23], exec, s[36:37]
	s_cbranch_execz .LBB116_48
; %bb.47:                               ;   in Loop: Header=BB116_2 Depth=1
	ds_read_u8 v71, v70 offset:1
.LBB116_48:                             ;   in Loop: Header=BB116_2 Depth=1
	s_or_saveexec_b64 s[22:23], s[22:23]
	v_mov_b32_e32 v72, v68
	s_xor_b64 exec, exec, s[22:23]
	s_cbranch_execz .LBB116_50
; %bb.49:                               ;   in Loop: Header=BB116_2 Depth=1
	ds_read_u8 v72, v69 offset:1
	s_waitcnt lgkmcnt(1)
	v_mov_b32_e32 v71, v67
.LBB116_50:                             ;   in Loop: Header=BB116_2 Depth=1
	s_or_b64 exec, exec, s[22:23]
	v_cndmask_b32_e64 v67, v67, v68, s[20:21]
	v_add_u32_e32 v68, 1, v69
	v_add_u32_e32 v73, 1, v70
	v_cndmask_b32_e64 v68, v69, v68, s[20:21]
	v_cndmask_b32_e64 v69, v73, v70, s[20:21]
	;; [unrolled: 1-line block ×3, first 2 shown]
	v_cmp_ge_i32_e64 s[18:19], v69, v19
	s_waitcnt lgkmcnt(0)
	v_cmp_lt_u16_sdwa s[20:21], v72, v71 src0_sel:BYTE_0 src1_sel:BYTE_0
	v_cndmask_b32_e64 v63, v63, v64, s[16:17]
	v_cmp_lt_i32_e64 s[16:17], v68, v20
	s_or_b64 s[18:19], s[18:19], s[20:21]
	s_and_b64 s[16:17], s[16:17], s[18:19]
	v_cndmask_b32_e64 v64, v71, v72, s[16:17]
	s_barrier
	ds_write_b8 v2, v63
	ds_write_b8 v2, v65 offset:1
	ds_write_b8 v2, v67 offset:2
	;; [unrolled: 1-line block ×3, first 2 shown]
	v_mov_b32_e32 v63, v41
	s_waitcnt lgkmcnt(0)
	s_barrier
	s_and_saveexec_b64 s[18:19], s[4:5]
	s_cbranch_execz .LBB116_54
; %bb.51:                               ;   in Loop: Header=BB116_2 Depth=1
	s_mov_b64 s[20:21], 0
	v_mov_b32_e32 v63, v41
	v_mov_b32_e32 v64, v35
.LBB116_52:                             ;   Parent Loop BB116_2 Depth=1
                                        ; =>  This Inner Loop Header: Depth=2
	v_sub_u32_e32 v65, v64, v63
	v_lshrrev_b32_e32 v66, 31, v65
	v_add_u32_e32 v65, v65, v66
	v_ashrrev_i32_e32 v65, 1, v65
	v_add_u32_e32 v65, v65, v63
	v_not_b32_e32 v67, v65
	v_add_u32_e32 v66, v9, v65
	v_add3_u32 v67, v10, v67, v21
	ds_read_u8 v66, v66
	ds_read_u8 v67, v67
	v_add_u32_e32 v68, 1, v65
	s_waitcnt lgkmcnt(0)
	v_cmp_lt_u16_e64 s[16:17], v67, v66
	s_nop 1
	v_cndmask_b32_e64 v64, v64, v65, s[16:17]
	v_cndmask_b32_e64 v63, v68, v63, s[16:17]
	v_cmp_ge_i32_e64 s[16:17], v63, v64
	s_or_b64 s[20:21], s[16:17], s[20:21]
	s_andn2_b64 exec, exec, s[20:21]
	s_cbranch_execnz .LBB116_52
; %bb.53:                               ;   in Loop: Header=BB116_2 Depth=1
	s_or_b64 exec, exec, s[20:21]
.LBB116_54:                             ;   in Loop: Header=BB116_2 Depth=1
	s_or_b64 exec, exec, s[18:19]
	v_add_u32_e32 v67, v63, v9
	v_sub_u32_e32 v68, v30, v63
	ds_read_u8 v63, v67
	ds_read_u8 v64, v68
	v_cmp_le_i32_e64 s[18:19], v21, v67
	v_cmp_gt_i32_e64 s[16:17], v22, v68
                                        ; implicit-def: $vgpr65
                                        ; implicit-def: $vgpr66
	s_waitcnt lgkmcnt(0)
	v_cmp_lt_u16_sdwa s[20:21], v64, v63 src0_sel:BYTE_0 src1_sel:BYTE_0
	s_or_b64 s[18:19], s[18:19], s[20:21]
	s_and_b64 s[16:17], s[16:17], s[18:19]
	s_xor_b64 s[18:19], s[16:17], -1
	s_and_saveexec_b64 s[20:21], s[18:19]
	s_xor_b64 s[18:19], exec, s[20:21]
	s_cbranch_execz .LBB116_56
; %bb.55:                               ;   in Loop: Header=BB116_2 Depth=1
	ds_read_u8 v66, v67 offset:1
	v_mov_b32_e32 v65, v64
.LBB116_56:                             ;   in Loop: Header=BB116_2 Depth=1
	s_andn2_saveexec_b64 s[18:19], s[18:19]
	s_cbranch_execz .LBB116_58
; %bb.57:                               ;   in Loop: Header=BB116_2 Depth=1
	ds_read_u8 v65, v68 offset:1
	s_waitcnt lgkmcnt(1)
	v_mov_b32_e32 v66, v63
.LBB116_58:                             ;   in Loop: Header=BB116_2 Depth=1
	s_or_b64 exec, exec, s[18:19]
	v_add_u32_e32 v70, 1, v67
	v_add_u32_e32 v69, 1, v68
	v_cndmask_b32_e64 v70, v70, v67, s[16:17]
	v_cndmask_b32_e64 v69, v68, v69, s[16:17]
	v_cmp_ge_i32_e64 s[20:21], v70, v21
	s_waitcnt lgkmcnt(0)
	v_cmp_lt_u16_sdwa s[22:23], v65, v66 src0_sel:BYTE_0 src1_sel:BYTE_0
	v_cmp_lt_i32_e64 s[18:19], v69, v22
	s_or_b64 s[20:21], s[20:21], s[22:23]
	s_and_b64 s[18:19], s[18:19], s[20:21]
	s_xor_b64 s[20:21], s[18:19], -1
                                        ; implicit-def: $vgpr67
	s_and_saveexec_b64 s[22:23], s[20:21]
	s_xor_b64 s[20:21], exec, s[22:23]
	s_cbranch_execz .LBB116_60
; %bb.59:                               ;   in Loop: Header=BB116_2 Depth=1
	ds_read_u8 v67, v70 offset:1
.LBB116_60:                             ;   in Loop: Header=BB116_2 Depth=1
	s_or_saveexec_b64 s[20:21], s[20:21]
	v_mov_b32_e32 v68, v65
	s_xor_b64 exec, exec, s[20:21]
	s_cbranch_execz .LBB116_62
; %bb.61:                               ;   in Loop: Header=BB116_2 Depth=1
	ds_read_u8 v68, v69 offset:1
	s_waitcnt lgkmcnt(1)
	v_mov_b32_e32 v67, v66
.LBB116_62:                             ;   in Loop: Header=BB116_2 Depth=1
	s_or_b64 exec, exec, s[20:21]
	v_add_u32_e32 v72, 1, v70
	v_add_u32_e32 v71, 1, v69
	v_cndmask_b32_e64 v70, v72, v70, s[18:19]
	v_cndmask_b32_e64 v69, v69, v71, s[18:19]
	v_cmp_ge_i32_e64 s[22:23], v70, v21
	s_waitcnt lgkmcnt(0)
	v_cmp_lt_u16_sdwa s[36:37], v68, v67 src0_sel:BYTE_0 src1_sel:BYTE_0
	v_cmp_lt_i32_e64 s[20:21], v69, v22
	s_or_b64 s[22:23], s[22:23], s[36:37]
	s_and_b64 s[20:21], s[20:21], s[22:23]
	s_xor_b64 s[22:23], s[20:21], -1
                                        ; implicit-def: $vgpr71
	s_and_saveexec_b64 s[36:37], s[22:23]
	s_xor_b64 s[22:23], exec, s[36:37]
	s_cbranch_execz .LBB116_64
; %bb.63:                               ;   in Loop: Header=BB116_2 Depth=1
	ds_read_u8 v71, v70 offset:1
.LBB116_64:                             ;   in Loop: Header=BB116_2 Depth=1
	s_or_saveexec_b64 s[22:23], s[22:23]
	v_mov_b32_e32 v72, v68
	s_xor_b64 exec, exec, s[22:23]
	s_cbranch_execz .LBB116_66
; %bb.65:                               ;   in Loop: Header=BB116_2 Depth=1
	ds_read_u8 v72, v69 offset:1
	s_waitcnt lgkmcnt(1)
	v_mov_b32_e32 v71, v67
.LBB116_66:                             ;   in Loop: Header=BB116_2 Depth=1
	s_or_b64 exec, exec, s[22:23]
	v_cndmask_b32_e64 v67, v67, v68, s[20:21]
	v_add_u32_e32 v68, 1, v69
	v_add_u32_e32 v73, 1, v70
	v_cndmask_b32_e64 v68, v69, v68, s[20:21]
	v_cndmask_b32_e64 v69, v73, v70, s[20:21]
	;; [unrolled: 1-line block ×3, first 2 shown]
	v_cmp_ge_i32_e64 s[18:19], v69, v21
	s_waitcnt lgkmcnt(0)
	v_cmp_lt_u16_sdwa s[20:21], v72, v71 src0_sel:BYTE_0 src1_sel:BYTE_0
	v_cndmask_b32_e64 v63, v63, v64, s[16:17]
	v_cmp_lt_i32_e64 s[16:17], v68, v22
	s_or_b64 s[18:19], s[18:19], s[20:21]
	s_and_b64 s[16:17], s[16:17], s[18:19]
	v_cndmask_b32_e64 v64, v71, v72, s[16:17]
	s_barrier
	ds_write_b8 v2, v63
	ds_write_b8 v2, v65 offset:1
	ds_write_b8 v2, v67 offset:2
	;; [unrolled: 1-line block ×3, first 2 shown]
	v_mov_b32_e32 v63, v42
	s_waitcnt lgkmcnt(0)
	s_barrier
	s_and_saveexec_b64 s[18:19], s[6:7]
	s_cbranch_execz .LBB116_70
; %bb.67:                               ;   in Loop: Header=BB116_2 Depth=1
	s_mov_b64 s[20:21], 0
	v_mov_b32_e32 v63, v42
	v_mov_b32_e32 v64, v36
.LBB116_68:                             ;   Parent Loop BB116_2 Depth=1
                                        ; =>  This Inner Loop Header: Depth=2
	v_sub_u32_e32 v65, v64, v63
	v_lshrrev_b32_e32 v66, 31, v65
	v_add_u32_e32 v65, v65, v66
	v_ashrrev_i32_e32 v65, 1, v65
	v_add_u32_e32 v65, v65, v63
	v_not_b32_e32 v67, v65
	v_add_u32_e32 v66, v11, v65
	v_add3_u32 v67, v12, v67, v23
	ds_read_u8 v66, v66
	ds_read_u8 v67, v67
	v_add_u32_e32 v68, 1, v65
	s_waitcnt lgkmcnt(0)
	v_cmp_lt_u16_e64 s[16:17], v67, v66
	s_nop 1
	v_cndmask_b32_e64 v64, v64, v65, s[16:17]
	v_cndmask_b32_e64 v63, v68, v63, s[16:17]
	v_cmp_ge_i32_e64 s[16:17], v63, v64
	s_or_b64 s[20:21], s[16:17], s[20:21]
	s_andn2_b64 exec, exec, s[20:21]
	s_cbranch_execnz .LBB116_68
; %bb.69:                               ;   in Loop: Header=BB116_2 Depth=1
	s_or_b64 exec, exec, s[20:21]
.LBB116_70:                             ;   in Loop: Header=BB116_2 Depth=1
	s_or_b64 exec, exec, s[18:19]
	v_add_u32_e32 v67, v63, v11
	v_sub_u32_e32 v68, v31, v63
	ds_read_u8 v63, v67
	ds_read_u8 v64, v68
	v_cmp_le_i32_e64 s[18:19], v23, v67
	v_cmp_gt_i32_e64 s[16:17], v24, v68
                                        ; implicit-def: $vgpr65
                                        ; implicit-def: $vgpr66
	s_waitcnt lgkmcnt(0)
	v_cmp_lt_u16_sdwa s[20:21], v64, v63 src0_sel:BYTE_0 src1_sel:BYTE_0
	s_or_b64 s[18:19], s[18:19], s[20:21]
	s_and_b64 s[16:17], s[16:17], s[18:19]
	s_xor_b64 s[18:19], s[16:17], -1
	s_and_saveexec_b64 s[20:21], s[18:19]
	s_xor_b64 s[18:19], exec, s[20:21]
	s_cbranch_execz .LBB116_72
; %bb.71:                               ;   in Loop: Header=BB116_2 Depth=1
	ds_read_u8 v66, v67 offset:1
	v_mov_b32_e32 v65, v64
.LBB116_72:                             ;   in Loop: Header=BB116_2 Depth=1
	s_andn2_saveexec_b64 s[18:19], s[18:19]
	s_cbranch_execz .LBB116_74
; %bb.73:                               ;   in Loop: Header=BB116_2 Depth=1
	ds_read_u8 v65, v68 offset:1
	s_waitcnt lgkmcnt(1)
	v_mov_b32_e32 v66, v63
.LBB116_74:                             ;   in Loop: Header=BB116_2 Depth=1
	s_or_b64 exec, exec, s[18:19]
	v_add_u32_e32 v70, 1, v67
	v_add_u32_e32 v69, 1, v68
	v_cndmask_b32_e64 v70, v70, v67, s[16:17]
	v_cndmask_b32_e64 v69, v68, v69, s[16:17]
	v_cmp_ge_i32_e64 s[20:21], v70, v23
	s_waitcnt lgkmcnt(0)
	v_cmp_lt_u16_sdwa s[22:23], v65, v66 src0_sel:BYTE_0 src1_sel:BYTE_0
	v_cmp_lt_i32_e64 s[18:19], v69, v24
	s_or_b64 s[20:21], s[20:21], s[22:23]
	s_and_b64 s[18:19], s[18:19], s[20:21]
	s_xor_b64 s[20:21], s[18:19], -1
                                        ; implicit-def: $vgpr67
	s_and_saveexec_b64 s[22:23], s[20:21]
	s_xor_b64 s[20:21], exec, s[22:23]
	s_cbranch_execz .LBB116_76
; %bb.75:                               ;   in Loop: Header=BB116_2 Depth=1
	ds_read_u8 v67, v70 offset:1
.LBB116_76:                             ;   in Loop: Header=BB116_2 Depth=1
	s_or_saveexec_b64 s[20:21], s[20:21]
	v_mov_b32_e32 v68, v65
	s_xor_b64 exec, exec, s[20:21]
	s_cbranch_execz .LBB116_78
; %bb.77:                               ;   in Loop: Header=BB116_2 Depth=1
	ds_read_u8 v68, v69 offset:1
	s_waitcnt lgkmcnt(1)
	v_mov_b32_e32 v67, v66
.LBB116_78:                             ;   in Loop: Header=BB116_2 Depth=1
	s_or_b64 exec, exec, s[20:21]
	v_add_u32_e32 v72, 1, v70
	v_add_u32_e32 v71, 1, v69
	v_cndmask_b32_e64 v70, v72, v70, s[18:19]
	v_cndmask_b32_e64 v69, v69, v71, s[18:19]
	v_cmp_ge_i32_e64 s[22:23], v70, v23
	s_waitcnt lgkmcnt(0)
	v_cmp_lt_u16_sdwa s[36:37], v68, v67 src0_sel:BYTE_0 src1_sel:BYTE_0
	v_cmp_lt_i32_e64 s[20:21], v69, v24
	s_or_b64 s[22:23], s[22:23], s[36:37]
	s_and_b64 s[20:21], s[20:21], s[22:23]
	s_xor_b64 s[22:23], s[20:21], -1
                                        ; implicit-def: $vgpr71
	s_and_saveexec_b64 s[36:37], s[22:23]
	s_xor_b64 s[22:23], exec, s[36:37]
	s_cbranch_execz .LBB116_80
; %bb.79:                               ;   in Loop: Header=BB116_2 Depth=1
	ds_read_u8 v71, v70 offset:1
.LBB116_80:                             ;   in Loop: Header=BB116_2 Depth=1
	s_or_saveexec_b64 s[22:23], s[22:23]
	v_mov_b32_e32 v72, v68
	s_xor_b64 exec, exec, s[22:23]
	s_cbranch_execz .LBB116_82
; %bb.81:                               ;   in Loop: Header=BB116_2 Depth=1
	ds_read_u8 v72, v69 offset:1
	s_waitcnt lgkmcnt(1)
	v_mov_b32_e32 v71, v67
.LBB116_82:                             ;   in Loop: Header=BB116_2 Depth=1
	s_or_b64 exec, exec, s[22:23]
	v_cndmask_b32_e64 v67, v67, v68, s[20:21]
	v_add_u32_e32 v68, 1, v69
	v_add_u32_e32 v73, 1, v70
	v_cndmask_b32_e64 v68, v69, v68, s[20:21]
	v_cndmask_b32_e64 v69, v73, v70, s[20:21]
	;; [unrolled: 1-line block ×3, first 2 shown]
	v_cmp_ge_i32_e64 s[18:19], v69, v23
	s_waitcnt lgkmcnt(0)
	v_cmp_lt_u16_sdwa s[20:21], v72, v71 src0_sel:BYTE_0 src1_sel:BYTE_0
	v_cndmask_b32_e64 v63, v63, v64, s[16:17]
	v_cmp_lt_i32_e64 s[16:17], v68, v24
	s_or_b64 s[18:19], s[18:19], s[20:21]
	s_and_b64 s[16:17], s[16:17], s[18:19]
	v_cndmask_b32_e64 v64, v71, v72, s[16:17]
	s_barrier
	ds_write_b8 v2, v63
	ds_write_b8 v2, v65 offset:1
	ds_write_b8 v2, v67 offset:2
	;; [unrolled: 1-line block ×3, first 2 shown]
	v_mov_b32_e32 v63, v43
	s_waitcnt lgkmcnt(0)
	s_barrier
	s_and_saveexec_b64 s[18:19], s[8:9]
	s_cbranch_execz .LBB116_86
; %bb.83:                               ;   in Loop: Header=BB116_2 Depth=1
	s_mov_b64 s[20:21], 0
	v_mov_b32_e32 v63, v43
	v_mov_b32_e32 v64, v37
.LBB116_84:                             ;   Parent Loop BB116_2 Depth=1
                                        ; =>  This Inner Loop Header: Depth=2
	v_sub_u32_e32 v65, v64, v63
	v_lshrrev_b32_e32 v66, 31, v65
	v_add_u32_e32 v65, v65, v66
	v_ashrrev_i32_e32 v65, 1, v65
	v_add_u32_e32 v65, v65, v63
	v_not_b32_e32 v67, v65
	v_add_u32_e32 v66, v13, v65
	v_add3_u32 v67, v14, v67, v25
	ds_read_u8 v66, v66
	ds_read_u8 v67, v67
	v_add_u32_e32 v68, 1, v65
	s_waitcnt lgkmcnt(0)
	v_cmp_lt_u16_e64 s[16:17], v67, v66
	s_nop 1
	v_cndmask_b32_e64 v64, v64, v65, s[16:17]
	v_cndmask_b32_e64 v63, v68, v63, s[16:17]
	v_cmp_ge_i32_e64 s[16:17], v63, v64
	s_or_b64 s[20:21], s[16:17], s[20:21]
	s_andn2_b64 exec, exec, s[20:21]
	s_cbranch_execnz .LBB116_84
; %bb.85:                               ;   in Loop: Header=BB116_2 Depth=1
	s_or_b64 exec, exec, s[20:21]
.LBB116_86:                             ;   in Loop: Header=BB116_2 Depth=1
	s_or_b64 exec, exec, s[18:19]
	v_add_u32_e32 v67, v63, v13
	v_sub_u32_e32 v68, v59, v63
	ds_read_u8 v63, v67
	ds_read_u8 v64, v68
	v_cmp_le_i32_e64 s[18:19], v25, v67
	v_cmp_gt_i32_e64 s[16:17], v26, v68
                                        ; implicit-def: $vgpr65
                                        ; implicit-def: $vgpr66
	s_waitcnt lgkmcnt(0)
	v_cmp_lt_u16_sdwa s[20:21], v64, v63 src0_sel:BYTE_0 src1_sel:BYTE_0
	s_or_b64 s[18:19], s[18:19], s[20:21]
	s_and_b64 s[16:17], s[16:17], s[18:19]
	s_xor_b64 s[18:19], s[16:17], -1
	s_and_saveexec_b64 s[20:21], s[18:19]
	s_xor_b64 s[18:19], exec, s[20:21]
	s_cbranch_execz .LBB116_88
; %bb.87:                               ;   in Loop: Header=BB116_2 Depth=1
	ds_read_u8 v66, v67 offset:1
	v_mov_b32_e32 v65, v64
.LBB116_88:                             ;   in Loop: Header=BB116_2 Depth=1
	s_andn2_saveexec_b64 s[18:19], s[18:19]
	s_cbranch_execz .LBB116_90
; %bb.89:                               ;   in Loop: Header=BB116_2 Depth=1
	ds_read_u8 v65, v68 offset:1
	s_waitcnt lgkmcnt(1)
	v_mov_b32_e32 v66, v63
.LBB116_90:                             ;   in Loop: Header=BB116_2 Depth=1
	s_or_b64 exec, exec, s[18:19]
	v_add_u32_e32 v70, 1, v67
	v_add_u32_e32 v69, 1, v68
	v_cndmask_b32_e64 v70, v70, v67, s[16:17]
	v_cndmask_b32_e64 v69, v68, v69, s[16:17]
	v_cmp_ge_i32_e64 s[20:21], v70, v25
	s_waitcnt lgkmcnt(0)
	v_cmp_lt_u16_sdwa s[22:23], v65, v66 src0_sel:BYTE_0 src1_sel:BYTE_0
	v_cmp_lt_i32_e64 s[18:19], v69, v26
	s_or_b64 s[20:21], s[20:21], s[22:23]
	s_and_b64 s[18:19], s[18:19], s[20:21]
	s_xor_b64 s[20:21], s[18:19], -1
                                        ; implicit-def: $vgpr67
	s_and_saveexec_b64 s[22:23], s[20:21]
	s_xor_b64 s[20:21], exec, s[22:23]
	s_cbranch_execz .LBB116_92
; %bb.91:                               ;   in Loop: Header=BB116_2 Depth=1
	ds_read_u8 v67, v70 offset:1
.LBB116_92:                             ;   in Loop: Header=BB116_2 Depth=1
	s_or_saveexec_b64 s[20:21], s[20:21]
	v_mov_b32_e32 v68, v65
	s_xor_b64 exec, exec, s[20:21]
	s_cbranch_execz .LBB116_94
; %bb.93:                               ;   in Loop: Header=BB116_2 Depth=1
	ds_read_u8 v68, v69 offset:1
	s_waitcnt lgkmcnt(1)
	v_mov_b32_e32 v67, v66
.LBB116_94:                             ;   in Loop: Header=BB116_2 Depth=1
	s_or_b64 exec, exec, s[20:21]
	v_add_u32_e32 v72, 1, v70
	v_add_u32_e32 v71, 1, v69
	v_cndmask_b32_e64 v70, v72, v70, s[18:19]
	v_cndmask_b32_e64 v69, v69, v71, s[18:19]
	v_cmp_ge_i32_e64 s[22:23], v70, v25
	s_waitcnt lgkmcnt(0)
	v_cmp_lt_u16_sdwa s[36:37], v68, v67 src0_sel:BYTE_0 src1_sel:BYTE_0
	v_cmp_lt_i32_e64 s[20:21], v69, v26
	s_or_b64 s[22:23], s[22:23], s[36:37]
	s_and_b64 s[20:21], s[20:21], s[22:23]
	s_xor_b64 s[22:23], s[20:21], -1
                                        ; implicit-def: $vgpr71
	s_and_saveexec_b64 s[36:37], s[22:23]
	s_xor_b64 s[22:23], exec, s[36:37]
	s_cbranch_execz .LBB116_96
; %bb.95:                               ;   in Loop: Header=BB116_2 Depth=1
	ds_read_u8 v71, v70 offset:1
.LBB116_96:                             ;   in Loop: Header=BB116_2 Depth=1
	s_or_saveexec_b64 s[22:23], s[22:23]
	v_mov_b32_e32 v72, v68
	s_xor_b64 exec, exec, s[22:23]
	s_cbranch_execz .LBB116_98
; %bb.97:                               ;   in Loop: Header=BB116_2 Depth=1
	ds_read_u8 v72, v69 offset:1
	s_waitcnt lgkmcnt(1)
	v_mov_b32_e32 v71, v67
.LBB116_98:                             ;   in Loop: Header=BB116_2 Depth=1
	s_or_b64 exec, exec, s[22:23]
	v_cndmask_b32_e64 v67, v67, v68, s[20:21]
	v_add_u32_e32 v68, 1, v69
	v_add_u32_e32 v73, 1, v70
	v_cndmask_b32_e64 v68, v69, v68, s[20:21]
	v_cndmask_b32_e64 v69, v73, v70, s[20:21]
	;; [unrolled: 1-line block ×3, first 2 shown]
	v_cmp_ge_i32_e64 s[18:19], v69, v25
	s_waitcnt lgkmcnt(0)
	v_cmp_lt_u16_sdwa s[20:21], v72, v71 src0_sel:BYTE_0 src1_sel:BYTE_0
	v_cndmask_b32_e64 v63, v63, v64, s[16:17]
	v_cmp_lt_i32_e64 s[16:17], v68, v26
	s_or_b64 s[18:19], s[18:19], s[20:21]
	s_and_b64 s[16:17], s[16:17], s[18:19]
	v_cndmask_b32_e64 v64, v71, v72, s[16:17]
	s_barrier
	ds_write_b8 v2, v63
	ds_write_b8 v2, v65 offset:1
	ds_write_b8 v2, v67 offset:2
	;; [unrolled: 1-line block ×3, first 2 shown]
	v_mov_b32_e32 v63, v48
	s_waitcnt lgkmcnt(0)
	s_barrier
	s_and_saveexec_b64 s[18:19], s[10:11]
	s_cbranch_execz .LBB116_102
; %bb.99:                               ;   in Loop: Header=BB116_2 Depth=1
	s_mov_b64 s[20:21], 0
	v_mov_b32_e32 v63, v48
	v_mov_b32_e32 v64, v49
.LBB116_100:                            ;   Parent Loop BB116_2 Depth=1
                                        ; =>  This Inner Loop Header: Depth=2
	v_sub_u32_e32 v65, v64, v63
	v_lshrrev_b32_e32 v66, 31, v65
	v_add_u32_e32 v65, v65, v66
	v_ashrrev_i32_e32 v65, 1, v65
	v_add_u32_e32 v65, v65, v63
	v_not_b32_e32 v67, v65
	v_add_u32_e32 v66, v44, v65
	v_add3_u32 v67, v45, v67, v46
	ds_read_u8 v66, v66
	ds_read_u8 v67, v67
	v_add_u32_e32 v68, 1, v65
	s_waitcnt lgkmcnt(0)
	v_cmp_lt_u16_e64 s[16:17], v67, v66
	s_nop 1
	v_cndmask_b32_e64 v64, v64, v65, s[16:17]
	v_cndmask_b32_e64 v63, v68, v63, s[16:17]
	v_cmp_ge_i32_e64 s[16:17], v63, v64
	s_or_b64 s[20:21], s[16:17], s[20:21]
	s_andn2_b64 exec, exec, s[20:21]
	s_cbranch_execnz .LBB116_100
; %bb.101:                              ;   in Loop: Header=BB116_2 Depth=1
	s_or_b64 exec, exec, s[20:21]
.LBB116_102:                            ;   in Loop: Header=BB116_2 Depth=1
	s_or_b64 exec, exec, s[18:19]
	v_add_u32_e32 v67, v63, v44
	v_sub_u32_e32 v68, v60, v63
	ds_read_u8 v63, v67
	ds_read_u8 v64, v68
	v_cmp_le_i32_e64 s[18:19], v46, v67
	v_cmp_gt_i32_e64 s[16:17], v47, v68
                                        ; implicit-def: $vgpr65
                                        ; implicit-def: $vgpr66
	s_waitcnt lgkmcnt(0)
	v_cmp_lt_u16_sdwa s[20:21], v64, v63 src0_sel:BYTE_0 src1_sel:BYTE_0
	s_or_b64 s[18:19], s[18:19], s[20:21]
	s_and_b64 s[16:17], s[16:17], s[18:19]
	s_xor_b64 s[18:19], s[16:17], -1
	s_and_saveexec_b64 s[20:21], s[18:19]
	s_xor_b64 s[18:19], exec, s[20:21]
	s_cbranch_execz .LBB116_104
; %bb.103:                              ;   in Loop: Header=BB116_2 Depth=1
	ds_read_u8 v66, v67 offset:1
	v_mov_b32_e32 v65, v64
.LBB116_104:                            ;   in Loop: Header=BB116_2 Depth=1
	s_andn2_saveexec_b64 s[18:19], s[18:19]
	s_cbranch_execz .LBB116_106
; %bb.105:                              ;   in Loop: Header=BB116_2 Depth=1
	ds_read_u8 v65, v68 offset:1
	s_waitcnt lgkmcnt(1)
	v_mov_b32_e32 v66, v63
.LBB116_106:                            ;   in Loop: Header=BB116_2 Depth=1
	s_or_b64 exec, exec, s[18:19]
	v_add_u32_e32 v70, 1, v67
	v_add_u32_e32 v69, 1, v68
	v_cndmask_b32_e64 v70, v70, v67, s[16:17]
	v_cndmask_b32_e64 v69, v68, v69, s[16:17]
	v_cmp_ge_i32_e64 s[20:21], v70, v46
	s_waitcnt lgkmcnt(0)
	v_cmp_lt_u16_sdwa s[22:23], v65, v66 src0_sel:BYTE_0 src1_sel:BYTE_0
	v_cmp_lt_i32_e64 s[18:19], v69, v47
	s_or_b64 s[20:21], s[20:21], s[22:23]
	s_and_b64 s[18:19], s[18:19], s[20:21]
	s_xor_b64 s[20:21], s[18:19], -1
                                        ; implicit-def: $vgpr67
	s_and_saveexec_b64 s[22:23], s[20:21]
	s_xor_b64 s[20:21], exec, s[22:23]
	s_cbranch_execz .LBB116_108
; %bb.107:                              ;   in Loop: Header=BB116_2 Depth=1
	ds_read_u8 v67, v70 offset:1
.LBB116_108:                            ;   in Loop: Header=BB116_2 Depth=1
	s_or_saveexec_b64 s[20:21], s[20:21]
	v_mov_b32_e32 v68, v65
	s_xor_b64 exec, exec, s[20:21]
	s_cbranch_execz .LBB116_110
; %bb.109:                              ;   in Loop: Header=BB116_2 Depth=1
	ds_read_u8 v68, v69 offset:1
	s_waitcnt lgkmcnt(1)
	v_mov_b32_e32 v67, v66
.LBB116_110:                            ;   in Loop: Header=BB116_2 Depth=1
	s_or_b64 exec, exec, s[20:21]
	v_add_u32_e32 v72, 1, v70
	v_add_u32_e32 v71, 1, v69
	v_cndmask_b32_e64 v70, v72, v70, s[18:19]
	v_cndmask_b32_e64 v69, v69, v71, s[18:19]
	v_cmp_ge_i32_e64 s[22:23], v70, v46
	s_waitcnt lgkmcnt(0)
	v_cmp_lt_u16_sdwa s[36:37], v68, v67 src0_sel:BYTE_0 src1_sel:BYTE_0
	v_cmp_lt_i32_e64 s[20:21], v69, v47
	s_or_b64 s[22:23], s[22:23], s[36:37]
	s_and_b64 s[20:21], s[20:21], s[22:23]
	s_xor_b64 s[22:23], s[20:21], -1
                                        ; implicit-def: $vgpr71
	s_and_saveexec_b64 s[36:37], s[22:23]
	s_xor_b64 s[22:23], exec, s[36:37]
	s_cbranch_execz .LBB116_112
; %bb.111:                              ;   in Loop: Header=BB116_2 Depth=1
	ds_read_u8 v71, v70 offset:1
.LBB116_112:                            ;   in Loop: Header=BB116_2 Depth=1
	s_or_saveexec_b64 s[22:23], s[22:23]
	v_mov_b32_e32 v72, v68
	s_xor_b64 exec, exec, s[22:23]
	s_cbranch_execz .LBB116_114
; %bb.113:                              ;   in Loop: Header=BB116_2 Depth=1
	ds_read_u8 v72, v69 offset:1
	s_waitcnt lgkmcnt(1)
	v_mov_b32_e32 v71, v67
.LBB116_114:                            ;   in Loop: Header=BB116_2 Depth=1
	s_or_b64 exec, exec, s[22:23]
	v_cndmask_b32_e64 v67, v67, v68, s[20:21]
	v_add_u32_e32 v68, 1, v69
	v_add_u32_e32 v73, 1, v70
	v_cndmask_b32_e64 v68, v69, v68, s[20:21]
	v_cndmask_b32_e64 v69, v73, v70, s[20:21]
	;; [unrolled: 1-line block ×3, first 2 shown]
	v_cmp_ge_i32_e64 s[18:19], v69, v46
	s_waitcnt lgkmcnt(0)
	v_cmp_lt_u16_sdwa s[20:21], v72, v71 src0_sel:BYTE_0 src1_sel:BYTE_0
	v_cndmask_b32_e64 v63, v63, v64, s[16:17]
	v_cmp_lt_i32_e64 s[16:17], v68, v47
	s_or_b64 s[18:19], s[18:19], s[20:21]
	s_and_b64 s[16:17], s[16:17], s[18:19]
	v_cndmask_b32_e64 v64, v71, v72, s[16:17]
	s_barrier
	ds_write_b8 v2, v63
	ds_write_b8 v2, v65 offset:1
	ds_write_b8 v2, v67 offset:2
	;; [unrolled: 1-line block ×3, first 2 shown]
	v_mov_b32_e32 v63, v55
	s_waitcnt lgkmcnt(0)
	s_barrier
	s_and_saveexec_b64 s[18:19], s[12:13]
	s_cbranch_execz .LBB116_118
; %bb.115:                              ;   in Loop: Header=BB116_2 Depth=1
	s_mov_b64 s[20:21], 0
	v_mov_b32_e32 v63, v55
	v_mov_b32_e32 v64, v56
.LBB116_116:                            ;   Parent Loop BB116_2 Depth=1
                                        ; =>  This Inner Loop Header: Depth=2
	v_sub_u32_e32 v65, v64, v63
	v_lshrrev_b32_e32 v66, 31, v65
	v_add_u32_e32 v65, v65, v66
	v_ashrrev_i32_e32 v65, 1, v65
	v_add_u32_e32 v65, v65, v63
	v_not_b32_e32 v67, v65
	v_add_u32_e32 v66, v51, v65
	v_add3_u32 v67, v52, v67, v53
	ds_read_u8 v66, v66
	ds_read_u8 v67, v67
	v_add_u32_e32 v68, 1, v65
	s_waitcnt lgkmcnt(0)
	v_cmp_lt_u16_e64 s[16:17], v67, v66
	s_nop 1
	v_cndmask_b32_e64 v64, v64, v65, s[16:17]
	v_cndmask_b32_e64 v63, v68, v63, s[16:17]
	v_cmp_ge_i32_e64 s[16:17], v63, v64
	s_or_b64 s[20:21], s[16:17], s[20:21]
	s_andn2_b64 exec, exec, s[20:21]
	s_cbranch_execnz .LBB116_116
; %bb.117:                              ;   in Loop: Header=BB116_2 Depth=1
	s_or_b64 exec, exec, s[20:21]
.LBB116_118:                            ;   in Loop: Header=BB116_2 Depth=1
	s_or_b64 exec, exec, s[18:19]
	v_add_u32_e32 v67, v63, v51
	v_sub_u32_e32 v68, v61, v63
	ds_read_u8 v63, v67
	ds_read_u8 v64, v68
	v_cmp_le_i32_e64 s[18:19], v53, v67
	v_cmp_gt_i32_e64 s[16:17], v54, v68
                                        ; implicit-def: $vgpr65
                                        ; implicit-def: $vgpr66
	s_waitcnt lgkmcnt(0)
	v_cmp_lt_u16_sdwa s[20:21], v64, v63 src0_sel:BYTE_0 src1_sel:BYTE_0
	s_or_b64 s[18:19], s[18:19], s[20:21]
	s_and_b64 s[16:17], s[16:17], s[18:19]
	s_xor_b64 s[18:19], s[16:17], -1
	s_and_saveexec_b64 s[20:21], s[18:19]
	s_xor_b64 s[18:19], exec, s[20:21]
	s_cbranch_execz .LBB116_120
; %bb.119:                              ;   in Loop: Header=BB116_2 Depth=1
	ds_read_u8 v66, v67 offset:1
	v_mov_b32_e32 v65, v64
.LBB116_120:                            ;   in Loop: Header=BB116_2 Depth=1
	s_andn2_saveexec_b64 s[18:19], s[18:19]
	s_cbranch_execz .LBB116_122
; %bb.121:                              ;   in Loop: Header=BB116_2 Depth=1
	ds_read_u8 v65, v68 offset:1
	s_waitcnt lgkmcnt(1)
	v_mov_b32_e32 v66, v63
.LBB116_122:                            ;   in Loop: Header=BB116_2 Depth=1
	s_or_b64 exec, exec, s[18:19]
	v_add_u32_e32 v70, 1, v67
	v_add_u32_e32 v69, 1, v68
	v_cndmask_b32_e64 v70, v70, v67, s[16:17]
	v_cndmask_b32_e64 v69, v68, v69, s[16:17]
	v_cmp_ge_i32_e64 s[20:21], v70, v53
	s_waitcnt lgkmcnt(0)
	v_cmp_lt_u16_sdwa s[22:23], v65, v66 src0_sel:BYTE_0 src1_sel:BYTE_0
	v_cmp_lt_i32_e64 s[18:19], v69, v54
	s_or_b64 s[20:21], s[20:21], s[22:23]
	s_and_b64 s[18:19], s[18:19], s[20:21]
	s_xor_b64 s[20:21], s[18:19], -1
                                        ; implicit-def: $vgpr67
	s_and_saveexec_b64 s[22:23], s[20:21]
	s_xor_b64 s[20:21], exec, s[22:23]
	s_cbranch_execz .LBB116_124
; %bb.123:                              ;   in Loop: Header=BB116_2 Depth=1
	ds_read_u8 v67, v70 offset:1
.LBB116_124:                            ;   in Loop: Header=BB116_2 Depth=1
	s_or_saveexec_b64 s[20:21], s[20:21]
	v_mov_b32_e32 v68, v65
	s_xor_b64 exec, exec, s[20:21]
	s_cbranch_execz .LBB116_126
; %bb.125:                              ;   in Loop: Header=BB116_2 Depth=1
	ds_read_u8 v68, v69 offset:1
	s_waitcnt lgkmcnt(1)
	v_mov_b32_e32 v67, v66
.LBB116_126:                            ;   in Loop: Header=BB116_2 Depth=1
	s_or_b64 exec, exec, s[20:21]
	v_add_u32_e32 v72, 1, v70
	v_add_u32_e32 v71, 1, v69
	v_cndmask_b32_e64 v70, v72, v70, s[18:19]
	v_cndmask_b32_e64 v69, v69, v71, s[18:19]
	v_cmp_ge_i32_e64 s[22:23], v70, v53
	s_waitcnt lgkmcnt(0)
	v_cmp_lt_u16_sdwa s[36:37], v68, v67 src0_sel:BYTE_0 src1_sel:BYTE_0
	v_cmp_lt_i32_e64 s[20:21], v69, v54
	s_or_b64 s[22:23], s[22:23], s[36:37]
	s_and_b64 s[20:21], s[20:21], s[22:23]
	s_xor_b64 s[22:23], s[20:21], -1
                                        ; implicit-def: $vgpr71
	s_and_saveexec_b64 s[36:37], s[22:23]
	s_xor_b64 s[22:23], exec, s[36:37]
	s_cbranch_execz .LBB116_128
; %bb.127:                              ;   in Loop: Header=BB116_2 Depth=1
	ds_read_u8 v71, v70 offset:1
.LBB116_128:                            ;   in Loop: Header=BB116_2 Depth=1
	s_or_saveexec_b64 s[22:23], s[22:23]
	v_mov_b32_e32 v72, v68
	s_xor_b64 exec, exec, s[22:23]
	s_cbranch_execz .LBB116_130
; %bb.129:                              ;   in Loop: Header=BB116_2 Depth=1
	ds_read_u8 v72, v69 offset:1
	s_waitcnt lgkmcnt(1)
	v_mov_b32_e32 v71, v67
.LBB116_130:                            ;   in Loop: Header=BB116_2 Depth=1
	s_or_b64 exec, exec, s[22:23]
	v_cndmask_b32_e64 v67, v67, v68, s[20:21]
	v_add_u32_e32 v68, 1, v69
	v_add_u32_e32 v73, 1, v70
	v_cndmask_b32_e64 v68, v69, v68, s[20:21]
	v_cndmask_b32_e64 v69, v73, v70, s[20:21]
	v_cndmask_b32_e64 v65, v66, v65, s[18:19]
	v_cmp_ge_i32_e64 s[18:19], v69, v53
	s_waitcnt lgkmcnt(0)
	v_cmp_lt_u16_sdwa s[20:21], v72, v71 src0_sel:BYTE_0 src1_sel:BYTE_0
	v_cndmask_b32_e64 v63, v63, v64, s[16:17]
	v_cmp_lt_i32_e64 s[16:17], v68, v54
	s_or_b64 s[18:19], s[18:19], s[20:21]
	s_and_b64 s[16:17], s[16:17], s[18:19]
	v_cndmask_b32_e64 v64, v71, v72, s[16:17]
	s_barrier
	ds_write_b8 v2, v63
	ds_write_b8 v2, v65 offset:1
	ds_write_b8 v2, v67 offset:2
	;; [unrolled: 1-line block ×3, first 2 shown]
	v_mov_b32_e32 v67, v57
	s_waitcnt lgkmcnt(0)
	s_barrier
	s_and_saveexec_b64 s[18:19], s[14:15]
	s_cbranch_execz .LBB116_134
; %bb.131:                              ;   in Loop: Header=BB116_2 Depth=1
	s_mov_b64 s[20:21], 0
	v_mov_b32_e32 v67, v57
	v_mov_b32_e32 v63, v58
.LBB116_132:                            ;   Parent Loop BB116_2 Depth=1
                                        ; =>  This Inner Loop Header: Depth=2
	v_sub_u32_e32 v64, v63, v67
	v_lshrrev_b32_e32 v65, 31, v64
	v_add_u32_e32 v64, v64, v65
	v_ashrrev_i32_e32 v64, 1, v64
	v_add_u32_e32 v64, v64, v67
	v_not_b32_e32 v65, v64
	v_add3_u32 v65, v2, v65, v50
	ds_read_u8 v66, v64
	ds_read_u8 v65, v65
	v_add_u32_e32 v68, 1, v64
	s_waitcnt lgkmcnt(0)
	v_cmp_lt_u16_e64 s[16:17], v65, v66
	s_nop 1
	v_cndmask_b32_e64 v63, v63, v64, s[16:17]
	v_cndmask_b32_e64 v67, v68, v67, s[16:17]
	v_cmp_ge_i32_e64 s[16:17], v67, v63
	s_or_b64 s[20:21], s[16:17], s[20:21]
	s_andn2_b64 exec, exec, s[20:21]
	s_cbranch_execnz .LBB116_132
; %bb.133:                              ;   in Loop: Header=BB116_2 Depth=1
	s_or_b64 exec, exec, s[20:21]
.LBB116_134:                            ;   in Loop: Header=BB116_2 Depth=1
	s_or_b64 exec, exec, s[18:19]
	v_sub_u32_e32 v68, v62, v67
	ds_read_u8 v63, v67
	ds_read_u8 v64, v68
	v_cmp_le_i32_e64 s[18:19], v50, v67
	v_cmp_gt_i32_e64 s[16:17], s34, v68
                                        ; implicit-def: $vgpr65
                                        ; implicit-def: $vgpr66
	s_waitcnt lgkmcnt(0)
	v_cmp_lt_u16_sdwa s[20:21], v64, v63 src0_sel:BYTE_0 src1_sel:BYTE_0
	s_or_b64 s[18:19], s[18:19], s[20:21]
	s_and_b64 s[16:17], s[16:17], s[18:19]
	s_xor_b64 s[18:19], s[16:17], -1
	s_and_saveexec_b64 s[20:21], s[18:19]
	s_xor_b64 s[18:19], exec, s[20:21]
	s_cbranch_execz .LBB116_136
; %bb.135:                              ;   in Loop: Header=BB116_2 Depth=1
	ds_read_u8 v66, v67 offset:1
	v_mov_b32_e32 v65, v64
.LBB116_136:                            ;   in Loop: Header=BB116_2 Depth=1
	s_andn2_saveexec_b64 s[18:19], s[18:19]
	s_cbranch_execz .LBB116_138
; %bb.137:                              ;   in Loop: Header=BB116_2 Depth=1
	ds_read_u8 v65, v68 offset:1
	s_waitcnt lgkmcnt(1)
	v_mov_b32_e32 v66, v63
.LBB116_138:                            ;   in Loop: Header=BB116_2 Depth=1
	s_or_b64 exec, exec, s[18:19]
	v_add_u32_e32 v70, 1, v67
	v_add_u32_e32 v69, 1, v68
	v_cndmask_b32_e64 v70, v70, v67, s[16:17]
	v_cndmask_b32_e64 v69, v68, v69, s[16:17]
	v_cmp_ge_i32_e64 s[20:21], v70, v50
	s_waitcnt lgkmcnt(0)
	v_cmp_lt_u16_sdwa s[22:23], v65, v66 src0_sel:BYTE_0 src1_sel:BYTE_0
	v_cmp_gt_i32_e64 s[18:19], s34, v69
	s_or_b64 s[20:21], s[20:21], s[22:23]
	s_and_b64 s[18:19], s[18:19], s[20:21]
	s_xor_b64 s[20:21], s[18:19], -1
                                        ; implicit-def: $vgpr67
	s_and_saveexec_b64 s[22:23], s[20:21]
	s_xor_b64 s[20:21], exec, s[22:23]
	s_cbranch_execz .LBB116_140
; %bb.139:                              ;   in Loop: Header=BB116_2 Depth=1
	ds_read_u8 v67, v70 offset:1
.LBB116_140:                            ;   in Loop: Header=BB116_2 Depth=1
	s_or_saveexec_b64 s[20:21], s[20:21]
	v_mov_b32_e32 v68, v65
	s_xor_b64 exec, exec, s[20:21]
	s_cbranch_execz .LBB116_142
; %bb.141:                              ;   in Loop: Header=BB116_2 Depth=1
	ds_read_u8 v68, v69 offset:1
	s_waitcnt lgkmcnt(1)
	v_mov_b32_e32 v67, v66
.LBB116_142:                            ;   in Loop: Header=BB116_2 Depth=1
	s_or_b64 exec, exec, s[20:21]
	v_add_u32_e32 v72, 1, v70
	v_add_u32_e32 v71, 1, v69
	v_cndmask_b32_e64 v72, v72, v70, s[18:19]
	v_cndmask_b32_e64 v69, v69, v71, s[18:19]
	v_cmp_ge_i32_e64 s[22:23], v72, v50
	s_waitcnt lgkmcnt(0)
	v_cmp_lt_u16_sdwa s[36:37], v68, v67 src0_sel:BYTE_0 src1_sel:BYTE_0
	v_cmp_gt_i32_e64 s[20:21], s34, v69
	s_or_b64 s[22:23], s[22:23], s[36:37]
	s_and_b64 s[20:21], s[20:21], s[22:23]
	s_xor_b64 s[22:23], s[20:21], -1
                                        ; implicit-def: $vgpr70
                                        ; implicit-def: $vgpr71
	s_and_saveexec_b64 s[36:37], s[22:23]
	s_xor_b64 s[22:23], exec, s[36:37]
	s_cbranch_execz .LBB116_144
; %bb.143:                              ;   in Loop: Header=BB116_2 Depth=1
	ds_read_u8 v70, v72 offset:1
	v_add_u32_e32 v71, 1, v72
                                        ; implicit-def: $vgpr72
.LBB116_144:                            ;   in Loop: Header=BB116_2 Depth=1
	s_or_saveexec_b64 s[22:23], s[22:23]
	v_mov_b32_e32 v73, v68
	s_xor_b64 exec, exec, s[22:23]
	s_cbranch_execz .LBB116_1
; %bb.145:                              ;   in Loop: Header=BB116_2 Depth=1
	ds_read_u8 v73, v69 offset:1
	v_add_u32_e32 v69, 1, v69
	v_mov_b32_e32 v71, v72
	s_waitcnt lgkmcnt(1)
	v_mov_b32_e32 v70, v67
	s_branch .LBB116_1
.LBB116_146:
	s_add_u32 s0, s26, s28
	s_addc_u32 s1, s27, 0
	v_lshl_add_u64 v[0:1], s[0:1], 0, v[0:1]
	global_store_byte v[0:1], v64, off
	global_store_byte v[0:1], v65, off offset:512
	global_store_byte v[0:1], v66, off offset:1024
	;; [unrolled: 1-line block ×3, first 2 shown]
	s_endpgm
	.section	.rodata,"a",@progbits
	.p2align	6, 0x0
	.amdhsa_kernel _Z16sort_keys_kernelIhLj512ELj4EN10test_utils4lessELj10EEvPKT_PS2_T2_
		.amdhsa_group_segment_fixed_size 2049
		.amdhsa_private_segment_fixed_size 0
		.amdhsa_kernarg_size 20
		.amdhsa_user_sgpr_count 2
		.amdhsa_user_sgpr_dispatch_ptr 0
		.amdhsa_user_sgpr_queue_ptr 0
		.amdhsa_user_sgpr_kernarg_segment_ptr 1
		.amdhsa_user_sgpr_dispatch_id 0
		.amdhsa_user_sgpr_kernarg_preload_length 0
		.amdhsa_user_sgpr_kernarg_preload_offset 0
		.amdhsa_user_sgpr_private_segment_size 0
		.amdhsa_uses_dynamic_stack 0
		.amdhsa_enable_private_segment 0
		.amdhsa_system_sgpr_workgroup_id_x 1
		.amdhsa_system_sgpr_workgroup_id_y 0
		.amdhsa_system_sgpr_workgroup_id_z 0
		.amdhsa_system_sgpr_workgroup_info 0
		.amdhsa_system_vgpr_workitem_id 0
		.amdhsa_next_free_vgpr 74
		.amdhsa_next_free_sgpr 38
		.amdhsa_accum_offset 76
		.amdhsa_reserve_vcc 1
		.amdhsa_float_round_mode_32 0
		.amdhsa_float_round_mode_16_64 0
		.amdhsa_float_denorm_mode_32 3
		.amdhsa_float_denorm_mode_16_64 3
		.amdhsa_dx10_clamp 1
		.amdhsa_ieee_mode 1
		.amdhsa_fp16_overflow 0
		.amdhsa_tg_split 0
		.amdhsa_exception_fp_ieee_invalid_op 0
		.amdhsa_exception_fp_denorm_src 0
		.amdhsa_exception_fp_ieee_div_zero 0
		.amdhsa_exception_fp_ieee_overflow 0
		.amdhsa_exception_fp_ieee_underflow 0
		.amdhsa_exception_fp_ieee_inexact 0
		.amdhsa_exception_int_div_zero 0
	.end_amdhsa_kernel
	.section	.text._Z16sort_keys_kernelIhLj512ELj4EN10test_utils4lessELj10EEvPKT_PS2_T2_,"axG",@progbits,_Z16sort_keys_kernelIhLj512ELj4EN10test_utils4lessELj10EEvPKT_PS2_T2_,comdat
.Lfunc_end116:
	.size	_Z16sort_keys_kernelIhLj512ELj4EN10test_utils4lessELj10EEvPKT_PS2_T2_, .Lfunc_end116-_Z16sort_keys_kernelIhLj512ELj4EN10test_utils4lessELj10EEvPKT_PS2_T2_
                                        ; -- End function
	.section	.AMDGPU.csdata,"",@progbits
; Kernel info:
; codeLenInByte = 6764
; NumSgprs: 44
; NumVgprs: 74
; NumAgprs: 0
; TotalNumVgprs: 74
; ScratchSize: 0
; MemoryBound: 0
; FloatMode: 240
; IeeeMode: 1
; LDSByteSize: 2049 bytes/workgroup (compile time only)
; SGPRBlocks: 5
; VGPRBlocks: 9
; NumSGPRsForWavesPerEU: 44
; NumVGPRsForWavesPerEU: 74
; AccumOffset: 76
; Occupancy: 6
; WaveLimiterHint : 1
; COMPUTE_PGM_RSRC2:SCRATCH_EN: 0
; COMPUTE_PGM_RSRC2:USER_SGPR: 2
; COMPUTE_PGM_RSRC2:TRAP_HANDLER: 0
; COMPUTE_PGM_RSRC2:TGID_X_EN: 1
; COMPUTE_PGM_RSRC2:TGID_Y_EN: 0
; COMPUTE_PGM_RSRC2:TGID_Z_EN: 0
; COMPUTE_PGM_RSRC2:TIDIG_COMP_CNT: 0
; COMPUTE_PGM_RSRC3_GFX90A:ACCUM_OFFSET: 18
; COMPUTE_PGM_RSRC3_GFX90A:TG_SPLIT: 0
	.section	.text._Z17sort_pairs_kernelIhLj512ELj4EN10test_utils4lessELj10EEvPKT_PS2_T2_,"axG",@progbits,_Z17sort_pairs_kernelIhLj512ELj4EN10test_utils4lessELj10EEvPKT_PS2_T2_,comdat
	.protected	_Z17sort_pairs_kernelIhLj512ELj4EN10test_utils4lessELj10EEvPKT_PS2_T2_ ; -- Begin function _Z17sort_pairs_kernelIhLj512ELj4EN10test_utils4lessELj10EEvPKT_PS2_T2_
	.globl	_Z17sort_pairs_kernelIhLj512ELj4EN10test_utils4lessELj10EEvPKT_PS2_T2_
	.p2align	8
	.type	_Z17sort_pairs_kernelIhLj512ELj4EN10test_utils4lessELj10EEvPKT_PS2_T2_,@function
_Z17sort_pairs_kernelIhLj512ELj4EN10test_utils4lessELj10EEvPKT_PS2_T2_: ; @_Z17sort_pairs_kernelIhLj512ELj4EN10test_utils4lessELj10EEvPKT_PS2_T2_
; %bb.0:
	s_load_dwordx4 s[36:39], s[0:1], 0x0
	s_lshl_b32 s33, s2, 11
	v_lshlrev_b32_e32 v2, 2, v0
	v_and_b32_e32 v3, 0x7f8, v2
	v_and_b32_e32 v5, 0x7f0, v2
	s_waitcnt lgkmcnt(0)
	s_add_u32 s0, s36, s33
	s_addc_u32 s1, s37, 0
	global_load_ubyte v41, v0, s[0:1] offset:512
	global_load_ubyte v42, v0, s[0:1] offset:1536
	;; [unrolled: 1-line block ×3, first 2 shown]
	global_load_ubyte v44, v0, s[0:1]
	v_or_b32_e32 v15, 4, v3
	v_add_u32_e32 v16, 8, v3
	v_and_b32_e32 v4, 4, v2
	v_or_b32_e32 v17, 8, v5
	v_add_u32_e32 v18, 16, v5
	v_sub_u32_e32 v36, v16, v15
	v_and_b32_e32 v6, 12, v2
	v_sub_u32_e32 v37, v18, v17
	v_sub_u32_e32 v46, v4, v36
	v_cmp_ge_i32_e32 vcc, v4, v36
	v_and_b32_e32 v7, 0x7e0, v2
	v_sub_u32_e32 v47, v6, v37
	v_cndmask_b32_e32 v36, 0, v46, vcc
	v_cmp_ge_i32_e32 vcc, v6, v37
	v_and_b32_e32 v9, 0x7c0, v2
	v_or_b32_e32 v19, 16, v7
	v_add_u32_e32 v20, 32, v7
	v_cndmask_b32_e32 v37, 0, v47, vcc
	s_movk_i32 s8, 0x100
	v_and_b32_e32 v8, 28, v2
	v_and_b32_e32 v11, 0x780, v2
	;; [unrolled: 1-line block ×3, first 2 shown]
	v_or_b32_e32 v21, 32, v9
	v_add_u32_e32 v22, 64, v9
	v_sub_u32_e32 v38, v20, v19
	v_and_b32_e32 v10, 60, v2
	v_or_b32_e32 v23, 64, v11
	v_add_u32_e32 v24, 0x80, v11
	v_or_b32_e32 v25, 0x80, v13
	v_add_u32_e32 v26, 0x100, v13
	v_sub_u32_e32 v39, v22, v21
	v_sub_u32_e32 v48, v8, v38
	v_cmp_ge_i32_e32 vcc, v8, v38
	v_and_b32_e32 v12, 0x7c, v2
	v_and_b32_e32 v14, 0xfc, v2
	v_sub_u32_e32 v40, v24, v23
	v_sub_u32_e32 v49, v10, v39
	v_cndmask_b32_e32 v38, 0, v48, vcc
	v_cmp_ge_i32_e32 vcc, v10, v39
	v_sub_u32_e32 v45, v25, v13
	v_sub_u32_e32 v50, v12, v40
	v_cndmask_b32_e32 v39, 0, v49, vcc
	v_cmp_ge_i32_e32 vcc, v12, v40
	v_and_b32_e32 v51, 0x3fc, v2
	v_sub_u32_e32 v31, v15, v3
	v_cndmask_b32_e32 v40, 0, v50, vcc
	v_and_b32_e32 v50, 0x400, v2
	v_or_b32_e32 v52, 0x200, v50
	v_add_u32_e32 v53, 0x400, v50
	v_sub_u32_e32 v54, v53, v52
	v_sub_u32_e32 v32, v17, v5
	;; [unrolled: 1-line block ×7, first 2 shown]
	v_cmp_ge_i32_e64 s[12:13], v51, v54
	v_min_i32_e32 v31, v4, v31
	v_min_i32_e32 v32, v6, v32
	;; [unrolled: 1-line block ×5, first 2 shown]
	v_cndmask_b32_e64 v54, 0, v56, s[12:13]
	v_min_i32_e32 v55, v51, v55
	v_min_i32_e32 v57, 0x400, v2
	s_mov_b32 s40, 0
	v_mov_b32_e32 v1, 0
	s_mov_b32 s41, 0xffff
	v_add_u32_e32 v27, v15, v4
	v_add_u32_e32 v28, v17, v6
	;; [unrolled: 1-line block ×4, first 2 shown]
	v_cmp_lt_i32_e32 vcc, v36, v31
	v_cmp_lt_i32_e64 s[0:1], v37, v32
	v_cmp_lt_i32_e64 s[2:3], v38, v33
	;; [unrolled: 1-line block ×3, first 2 shown]
	s_waitcnt vmcnt(3)
	v_lshlrev_b16_e32 v41, 8, v41
	s_waitcnt vmcnt(2)
	v_lshlrev_b16_e32 v42, 8, v42
	s_waitcnt vmcnt(1)
	v_add_u16_e32 v47, 1, v43
	s_waitcnt vmcnt(0)
	v_add_u16_e32 v46, 1, v44
	v_or_b32_e32 v44, v44, v41
	v_or_b32_sdwa v43, v43, v42 dst_sel:WORD_1 dst_unused:UNUSED_PAD src0_sel:DWORD src1_sel:DWORD
	v_or_b32_sdwa v41, v41, v46 dst_sel:DWORD dst_unused:UNUSED_PAD src0_sel:DWORD src1_sel:BYTE_0
	v_or_b32_sdwa v42, v42, v47 dst_sel:DWORD dst_unused:UNUSED_PAD src0_sel:DWORD src1_sel:BYTE_0
	v_add_u16_e32 v41, 0x100, v41
	v_add_u16_sdwa v42, v42, s8 dst_sel:WORD_1 dst_unused:UNUSED_PAD src0_sel:DWORD src1_sel:DWORD
	v_or_b32_sdwa v64, v44, v43 dst_sel:DWORD dst_unused:UNUSED_PAD src0_sel:WORD_0 src1_sel:DWORD
	v_or_b32_e32 v63, v41, v42
	v_sub_u32_e32 v41, v26, v25
	v_sub_u32_e32 v42, v14, v41
	v_cmp_ge_i32_e64 s[8:9], v14, v41
	v_and_b32_e32 v43, 0x600, v2
	v_add_u32_e32 v46, 0x200, v43
	v_cndmask_b32_e64 v41, 0, v42, s[8:9]
	v_min_i32_e32 v42, v14, v45
	v_or_b32_e32 v45, 0x100, v43
	v_and_b32_e32 v44, 0x1fc, v2
	v_sub_u32_e32 v47, v46, v45
	v_sub_u32_e32 v49, v44, v47
	v_cmp_ge_i32_e64 s[10:11], v44, v47
	v_sub_u32_e32 v48, v45, v43
	v_min_i32_e32 v48, v44, v48
	v_cndmask_b32_e64 v47, 0, v49, s[10:11]
	v_mov_b32_e32 v49, 0x400
	v_sub_u32_e64 v56, v2, v49 clamp
	v_cmp_lt_i32_e64 s[6:7], v40, v35
	v_cmp_lt_i32_e64 s[8:9], v41, v42
	;; [unrolled: 1-line block ×5, first 2 shown]
	s_mov_b32 s42, 0x7060405
	s_mov_b32 s43, 0xc0c0001
	s_movk_i32 s44, 0xff00
	s_mov_b32 s45, 0xffff0000
	s_mov_b32 s46, 0x7050604
	s_movk_i32 s47, 0x800
	v_add_u32_e32 v58, v23, v12
	v_add_u32_e32 v59, v25, v14
	;; [unrolled: 1-line block ×5, first 2 shown]
	s_branch .LBB117_2
.LBB117_1:                              ;   in Loop: Header=BB117_2 Depth=1
	s_or_b64 exec, exec, s[22:23]
	v_cndmask_b32_e64 v69, v69, v70, s[16:17]
	v_cndmask_b32_e64 v70, v72, v71, s[18:19]
	;; [unrolled: 1-line block ×4, first 2 shown]
	v_cmp_ge_i32_e64 s[18:19], v78, v49
	s_waitcnt lgkmcnt(0)
	v_cmp_lt_u16_sdwa s[20:21], v82, v79 src0_sel:BYTE_0 src1_sel:BYTE_0
	v_cndmask_b32_e64 v68, v67, v68, s[16:17]
	v_cmp_gt_i32_e64 s[16:17], s47, v77
	s_or_b64 s[18:19], s[18:19], s[20:21]
	s_and_b64 s[16:17], s[16:17], s[18:19]
	v_cndmask_b32_e64 v74, v78, v77, s[16:17]
	s_barrier
	ds_write_b8 v2, v64
	ds_write_b8 v2, v65 offset:1
	ds_write_b8 v2, v66 offset:2
	;; [unrolled: 1-line block ×3, first 2 shown]
	s_waitcnt lgkmcnt(0)
	s_barrier
	ds_read_u8 v65, v80
	ds_read_u8 v66, v74
	;; [unrolled: 1-line block ×4, first 2 shown]
	v_cndmask_b32_e64 v67, v79, v82, s[16:17]
	v_lshlrev_b16_e32 v73, 8, v70
	v_lshlrev_b16_e32 v64, 8, v67
	v_or_b32_sdwa v63, v69, v73 dst_sel:DWORD dst_unused:UNUSED_PAD src0_sel:BYTE_0 src1_sel:DWORD
	v_or_b32_sdwa v64, v71, v64 dst_sel:WORD_1 dst_unused:UNUSED_PAD src0_sel:BYTE_0 src1_sel:DWORD
	s_waitcnt lgkmcnt(2)
	v_lshlrev_b16_e32 v73, 8, v66
	v_or_b32_sdwa v64, v63, v64 dst_sel:DWORD dst_unused:UNUSED_PAD src0_sel:WORD_0 src1_sel:DWORD
	s_waitcnt lgkmcnt(0)
	v_lshlrev_b16_e32 v63, 8, v72
	v_or_b32_e32 v63, v68, v63
	v_or_b32_sdwa v73, v65, v73 dst_sel:WORD_1 dst_unused:UNUSED_PAD src0_sel:DWORD src1_sel:DWORD
	s_add_i32 s40, s40, 1
	s_cmp_eq_u32 s40, 10
	v_or_b32_sdwa v63, v63, v73 dst_sel:DWORD dst_unused:UNUSED_PAD src0_sel:WORD_0 src1_sel:DWORD
	s_cbranch_scc1 .LBB117_146
.LBB117_2:                              ; =>This Loop Header: Depth=1
                                        ;     Child Loop BB117_4 Depth 2
                                        ;     Child Loop BB117_20 Depth 2
	;; [unrolled: 1-line block ×9, first 2 shown]
	v_lshrrev_b32_e32 v66, 8, v64
	v_perm_b32 v65, v64, v64, s42
	v_cmp_lt_u16_sdwa s[16:17], v66, v64 src0_sel:BYTE_0 src1_sel:BYTE_0
	s_barrier
	s_nop 0
	v_cndmask_b32_e64 v64, v64, v65, s[16:17]
	v_lshrrev_b32_e32 v65, 16, v64
	v_perm_b32 v66, 0, v65, s43
	v_lshlrev_b32_e32 v66, 16, v66
	v_and_or_b32 v66, v64, s41, v66
	v_cmp_lt_u16_sdwa s[18:19], v64, v65 src0_sel:BYTE_3 src1_sel:BYTE_0
	s_nop 1
	v_cndmask_b32_e64 v66, v64, v66, s[18:19]
	v_min_u16_sdwa v64, v64, v65 dst_sel:DWORD dst_unused:UNUSED_PAD src0_sel:BYTE_3 src1_sel:BYTE_0
	v_and_b32_sdwa v67, v66, s44 dst_sel:DWORD dst_unused:UNUSED_PAD src0_sel:WORD_1 src1_sel:DWORD
	v_lshlrev_b16_e32 v68, 8, v64
	v_or_b32_sdwa v67, v66, v67 dst_sel:WORD_1 dst_unused:UNUSED_PAD src0_sel:BYTE_1 src1_sel:DWORD
	v_lshrrev_b32_e32 v65, 8, v66
	v_or_b32_sdwa v68, v66, v68 dst_sel:DWORD dst_unused:UNUSED_PAD src0_sel:BYTE_0 src1_sel:DWORD
	v_or_b32_sdwa v67, v68, v67 dst_sel:DWORD dst_unused:UNUSED_PAD src0_sel:WORD_0 src1_sel:DWORD
	v_cmp_lt_u16_sdwa s[20:21], v64, v65 src0_sel:DWORD src1_sel:BYTE_0
	v_min_u16_sdwa v64, v64, v65 dst_sel:DWORD dst_unused:UNUSED_PAD src0_sel:DWORD src1_sel:BYTE_0
	s_nop 0
	v_cndmask_b32_e64 v66, v66, v67, s[20:21]
	v_lshlrev_b16_e32 v67, 8, v66
	v_or_b32_e32 v65, v64, v67
	v_and_b32_e32 v65, 0xffff, v65
	v_and_or_b32 v65, v66, s45, v65
	v_cmp_lt_u16_sdwa s[22:23], v64, v66 src0_sel:DWORD src1_sel:BYTE_0
	s_nop 1
	v_cndmask_b32_e64 v64, v66, v65, s[22:23]
	v_lshrrev_b32_e32 v65, 16, v64
	v_perm_b32 v66, 0, v65, s43
	v_lshlrev_b32_e32 v66, 16, v66
	v_and_or_b32 v66, v64, s41, v66
	v_cmp_lt_u16_sdwa s[24:25], v64, v65 src0_sel:BYTE_3 src1_sel:BYTE_0
	s_nop 1
	v_cndmask_b32_e64 v66, v64, v66, s[24:25]
	v_min_u16_sdwa v64, v64, v65 dst_sel:DWORD dst_unused:UNUSED_PAD src0_sel:BYTE_3 src1_sel:BYTE_0
	v_and_b32_sdwa v67, v66, s44 dst_sel:DWORD dst_unused:UNUSED_PAD src0_sel:WORD_1 src1_sel:DWORD
	v_lshlrev_b16_e32 v68, 8, v64
	v_or_b32_sdwa v67, v66, v67 dst_sel:WORD_1 dst_unused:UNUSED_PAD src0_sel:BYTE_1 src1_sel:DWORD
	v_lshrrev_b32_e32 v65, 8, v66
	v_or_b32_sdwa v68, v66, v68 dst_sel:DWORD dst_unused:UNUSED_PAD src0_sel:BYTE_0 src1_sel:DWORD
	v_or_b32_sdwa v67, v68, v67 dst_sel:DWORD dst_unused:UNUSED_PAD src0_sel:WORD_0 src1_sel:DWORD
	v_cmp_lt_u16_sdwa s[26:27], v64, v65 src0_sel:DWORD src1_sel:BYTE_0
	v_mov_b32_e32 v65, v36
	s_nop 0
	v_cndmask_b32_e64 v64, v66, v67, s[26:27]
	ds_write_b32 v2, v64
	s_waitcnt lgkmcnt(0)
	s_barrier
	s_and_saveexec_b64 s[30:31], vcc
	s_cbranch_execz .LBB117_6
; %bb.3:                                ;   in Loop: Header=BB117_2 Depth=1
	s_mov_b64 s[34:35], 0
	v_mov_b32_e32 v65, v36
	v_mov_b32_e32 v64, v31
.LBB117_4:                              ;   Parent Loop BB117_2 Depth=1
                                        ; =>  This Inner Loop Header: Depth=2
	v_sub_u32_e32 v66, v64, v65
	v_lshrrev_b32_e32 v67, 31, v66
	v_add_u32_e32 v66, v66, v67
	v_ashrrev_i32_e32 v66, 1, v66
	v_add_u32_e32 v66, v66, v65
	v_not_b32_e32 v68, v66
	v_add_u32_e32 v67, v3, v66
	v_add3_u32 v68, v4, v68, v15
	ds_read_u8 v67, v67
	ds_read_u8 v68, v68
	v_add_u32_e32 v69, 1, v66
	s_waitcnt lgkmcnt(0)
	v_cmp_lt_u16_e64 s[28:29], v68, v67
	s_nop 1
	v_cndmask_b32_e64 v64, v64, v66, s[28:29]
	v_cndmask_b32_e64 v65, v69, v65, s[28:29]
	v_cmp_ge_i32_e64 s[28:29], v65, v64
	s_or_b64 s[34:35], s[28:29], s[34:35]
	s_andn2_b64 exec, exec, s[34:35]
	s_cbranch_execnz .LBB117_4
; %bb.5:                                ;   in Loop: Header=BB117_2 Depth=1
	s_or_b64 exec, exec, s[34:35]
.LBB117_6:                              ;   in Loop: Header=BB117_2 Depth=1
	s_or_b64 exec, exec, s[30:31]
	v_add_u32_e32 v64, v65, v3
	v_sub_u32_e32 v65, v27, v65
	ds_read_u8 v66, v64
	ds_read_u8 v67, v65
	v_cmp_le_i32_e64 s[30:31], v15, v64
	v_cmp_gt_i32_e64 s[28:29], v16, v65
                                        ; implicit-def: $vgpr68
                                        ; implicit-def: $vgpr69
	s_waitcnt lgkmcnt(0)
	v_cmp_lt_u16_sdwa s[34:35], v67, v66 src0_sel:BYTE_0 src1_sel:BYTE_0
	s_or_b64 s[30:31], s[30:31], s[34:35]
	s_and_b64 s[28:29], s[28:29], s[30:31]
	s_xor_b64 s[30:31], s[28:29], -1
	s_and_saveexec_b64 s[34:35], s[30:31]
	s_xor_b64 s[30:31], exec, s[34:35]
	s_cbranch_execz .LBB117_8
; %bb.7:                                ;   in Loop: Header=BB117_2 Depth=1
	ds_read_u8 v69, v64 offset:1
	v_mov_b32_e32 v68, v67
.LBB117_8:                              ;   in Loop: Header=BB117_2 Depth=1
	s_andn2_saveexec_b64 s[30:31], s[30:31]
	s_cbranch_execz .LBB117_10
; %bb.9:                                ;   in Loop: Header=BB117_2 Depth=1
	ds_read_u8 v68, v65 offset:1
	s_waitcnt lgkmcnt(1)
	v_mov_b32_e32 v69, v66
.LBB117_10:                             ;   in Loop: Header=BB117_2 Depth=1
	s_or_b64 exec, exec, s[30:31]
	v_add_u32_e32 v71, 1, v64
	v_add_u32_e32 v70, 1, v65
	v_cndmask_b32_e64 v71, v71, v64, s[28:29]
	v_cndmask_b32_e64 v70, v65, v70, s[28:29]
	v_cmp_ge_i32_e64 s[34:35], v71, v15
	s_waitcnt lgkmcnt(0)
	v_cmp_lt_u16_sdwa s[36:37], v68, v69 src0_sel:BYTE_0 src1_sel:BYTE_0
	v_cmp_lt_i32_e64 s[30:31], v70, v16
	s_or_b64 s[34:35], s[34:35], s[36:37]
	s_and_b64 s[30:31], s[30:31], s[34:35]
	s_xor_b64 s[34:35], s[30:31], -1
                                        ; implicit-def: $vgpr72
	s_and_saveexec_b64 s[36:37], s[34:35]
	s_xor_b64 s[34:35], exec, s[36:37]
	s_cbranch_execz .LBB117_12
; %bb.11:                               ;   in Loop: Header=BB117_2 Depth=1
	ds_read_u8 v72, v71 offset:1
.LBB117_12:                             ;   in Loop: Header=BB117_2 Depth=1
	s_or_saveexec_b64 s[34:35], s[34:35]
	v_mov_b32_e32 v74, v68
	s_xor_b64 exec, exec, s[34:35]
	s_cbranch_execz .LBB117_14
; %bb.13:                               ;   in Loop: Header=BB117_2 Depth=1
	ds_read_u8 v74, v70 offset:1
	s_waitcnt lgkmcnt(1)
	v_mov_b32_e32 v72, v69
.LBB117_14:                             ;   in Loop: Header=BB117_2 Depth=1
	s_or_b64 exec, exec, s[34:35]
	v_add_u32_e32 v76, 1, v71
	v_add_u32_e32 v73, 1, v70
	v_cndmask_b32_e64 v77, v76, v71, s[30:31]
	v_cndmask_b32_e64 v75, v70, v73, s[30:31]
	v_cmp_ge_i32_e64 s[36:37], v77, v15
	s_waitcnt lgkmcnt(0)
	v_cmp_lt_u16_sdwa s[48:49], v74, v72 src0_sel:BYTE_0 src1_sel:BYTE_0
	v_cmp_lt_i32_e64 s[34:35], v75, v16
	s_or_b64 s[36:37], s[36:37], s[48:49]
	s_and_b64 s[34:35], s[34:35], s[36:37]
	s_xor_b64 s[36:37], s[34:35], -1
                                        ; implicit-def: $vgpr73
	s_and_saveexec_b64 s[48:49], s[36:37]
	s_xor_b64 s[36:37], exec, s[48:49]
	s_cbranch_execz .LBB117_16
; %bb.15:                               ;   in Loop: Header=BB117_2 Depth=1
	ds_read_u8 v73, v77 offset:1
.LBB117_16:                             ;   in Loop: Header=BB117_2 Depth=1
	s_or_saveexec_b64 s[36:37], s[36:37]
	v_mov_b32_e32 v76, v74
	s_xor_b64 exec, exec, s[36:37]
	s_cbranch_execz .LBB117_18
; %bb.17:                               ;   in Loop: Header=BB117_2 Depth=1
	ds_read_u8 v76, v75 offset:1
	s_waitcnt lgkmcnt(1)
	v_mov_b32_e32 v73, v72
.LBB117_18:                             ;   in Loop: Header=BB117_2 Depth=1
	s_or_b64 exec, exec, s[36:37]
	v_perm_b32 v78, v63, v63, s42
	v_cndmask_b32_e64 v63, v63, v78, s[16:17]
	v_cndmask_b32_e64 v64, v64, v65, s[28:29]
	v_lshrrev_b32_e32 v65, 16, v63
	v_perm_b32 v65, 0, v65, s43
	v_lshlrev_b32_e32 v65, 16, v65
	v_and_or_b32 v65, v63, s41, v65
	v_cndmask_b32_e64 v63, v63, v65, s[18:19]
	v_perm_b32 v65, v63, v63, s46
	v_cndmask_b32_e64 v63, v63, v65, s[20:21]
	v_perm_b32 v65, 0, v63, s43
	v_and_or_b32 v65, v63, s45, v65
	v_cndmask_b32_e64 v63, v63, v65, s[22:23]
	v_lshrrev_b32_e32 v65, 16, v63
	v_add_u32_e32 v79, 1, v77
	v_perm_b32 v65, 0, v65, s43
	v_cndmask_b32_e64 v72, v72, v74, s[34:35]
	v_add_u32_e32 v74, 1, v75
	v_cndmask_b32_e64 v79, v79, v77, s[34:35]
	v_lshlrev_b32_e32 v65, 16, v65
	v_cndmask_b32_e64 v74, v75, v74, s[34:35]
	v_and_or_b32 v65, v63, s41, v65
	v_cmp_ge_i32_e64 s[18:19], v79, v15
	s_waitcnt lgkmcnt(0)
	v_cmp_lt_u16_sdwa s[20:21], v76, v73 src0_sel:BYTE_0 src1_sel:BYTE_0
	v_cndmask_b32_e64 v63, v63, v65, s[24:25]
	v_cmp_lt_i32_e64 s[16:17], v74, v16
	s_or_b64 s[18:19], s[18:19], s[20:21]
	v_perm_b32 v65, v63, v63, s46
	s_and_b64 s[16:17], s[16:17], s[18:19]
	v_cndmask_b32_e64 v63, v63, v65, s[26:27]
	v_cndmask_b32_e64 v65, v79, v74, s[16:17]
	;; [unrolled: 1-line block ×6, first 2 shown]
	s_barrier
	ds_write_b32 v2, v63
	s_waitcnt lgkmcnt(0)
	s_barrier
	ds_read_u8 v63, v65
	ds_read_u8 v64, v64
	;; [unrolled: 1-line block ×4, first 2 shown]
	v_cndmask_b32_e64 v70, v73, v76, s[16:17]
	s_waitcnt lgkmcnt(0)
	s_barrier
	ds_write_b8 v2, v67
	ds_write_b8 v2, v68 offset:1
	ds_write_b8 v2, v72 offset:2
	;; [unrolled: 1-line block ×3, first 2 shown]
	v_mov_b32_e32 v68, v37
	s_waitcnt lgkmcnt(0)
	s_barrier
	s_and_saveexec_b64 s[18:19], s[0:1]
	s_cbranch_execz .LBB117_22
; %bb.19:                               ;   in Loop: Header=BB117_2 Depth=1
	s_mov_b64 s[20:21], 0
	v_mov_b32_e32 v68, v37
	v_mov_b32_e32 v67, v32
.LBB117_20:                             ;   Parent Loop BB117_2 Depth=1
                                        ; =>  This Inner Loop Header: Depth=2
	v_sub_u32_e32 v69, v67, v68
	v_lshrrev_b32_e32 v70, 31, v69
	v_add_u32_e32 v69, v69, v70
	v_ashrrev_i32_e32 v69, 1, v69
	v_add_u32_e32 v69, v69, v68
	v_not_b32_e32 v71, v69
	v_add_u32_e32 v70, v5, v69
	v_add3_u32 v71, v6, v71, v17
	ds_read_u8 v70, v70
	ds_read_u8 v71, v71
	v_add_u32_e32 v72, 1, v69
	s_waitcnt lgkmcnt(0)
	v_cmp_lt_u16_e64 s[16:17], v71, v70
	s_nop 1
	v_cndmask_b32_e64 v67, v67, v69, s[16:17]
	v_cndmask_b32_e64 v68, v72, v68, s[16:17]
	v_cmp_ge_i32_e64 s[16:17], v68, v67
	s_or_b64 s[20:21], s[16:17], s[20:21]
	s_andn2_b64 exec, exec, s[20:21]
	s_cbranch_execnz .LBB117_20
; %bb.21:                               ;   in Loop: Header=BB117_2 Depth=1
	s_or_b64 exec, exec, s[20:21]
.LBB117_22:                             ;   in Loop: Header=BB117_2 Depth=1
	s_or_b64 exec, exec, s[18:19]
	v_add_u32_e32 v67, v68, v5
	v_sub_u32_e32 v68, v28, v68
	ds_read_u8 v69, v67
	ds_read_u8 v70, v68
	v_cmp_le_i32_e64 s[18:19], v17, v67
	v_cmp_gt_i32_e64 s[16:17], v18, v68
                                        ; implicit-def: $vgpr71
                                        ; implicit-def: $vgpr72
	s_waitcnt lgkmcnt(0)
	v_cmp_lt_u16_sdwa s[20:21], v70, v69 src0_sel:BYTE_0 src1_sel:BYTE_0
	s_or_b64 s[18:19], s[18:19], s[20:21]
	s_and_b64 s[16:17], s[16:17], s[18:19]
	s_xor_b64 s[18:19], s[16:17], -1
	s_and_saveexec_b64 s[20:21], s[18:19]
	s_xor_b64 s[18:19], exec, s[20:21]
	s_cbranch_execz .LBB117_24
; %bb.23:                               ;   in Loop: Header=BB117_2 Depth=1
	ds_read_u8 v72, v67 offset:1
	v_mov_b32_e32 v71, v70
.LBB117_24:                             ;   in Loop: Header=BB117_2 Depth=1
	s_andn2_saveexec_b64 s[18:19], s[18:19]
	s_cbranch_execz .LBB117_26
; %bb.25:                               ;   in Loop: Header=BB117_2 Depth=1
	ds_read_u8 v71, v68 offset:1
	s_waitcnt lgkmcnt(1)
	v_mov_b32_e32 v72, v69
.LBB117_26:                             ;   in Loop: Header=BB117_2 Depth=1
	s_or_b64 exec, exec, s[18:19]
	v_add_u32_e32 v74, 1, v67
	v_add_u32_e32 v73, 1, v68
	v_cndmask_b32_e64 v74, v74, v67, s[16:17]
	v_cndmask_b32_e64 v73, v68, v73, s[16:17]
	v_cmp_ge_i32_e64 s[20:21], v74, v17
	s_waitcnt lgkmcnt(0)
	v_cmp_lt_u16_sdwa s[22:23], v71, v72 src0_sel:BYTE_0 src1_sel:BYTE_0
	v_cmp_lt_i32_e64 s[18:19], v73, v18
	s_or_b64 s[20:21], s[20:21], s[22:23]
	s_and_b64 s[18:19], s[18:19], s[20:21]
	s_xor_b64 s[20:21], s[18:19], -1
                                        ; implicit-def: $vgpr75
	s_and_saveexec_b64 s[22:23], s[20:21]
	s_xor_b64 s[20:21], exec, s[22:23]
	s_cbranch_execz .LBB117_28
; %bb.27:                               ;   in Loop: Header=BB117_2 Depth=1
	ds_read_u8 v75, v74 offset:1
.LBB117_28:                             ;   in Loop: Header=BB117_2 Depth=1
	s_or_saveexec_b64 s[20:21], s[20:21]
	v_mov_b32_e32 v76, v71
	s_xor_b64 exec, exec, s[20:21]
	s_cbranch_execz .LBB117_30
; %bb.29:                               ;   in Loop: Header=BB117_2 Depth=1
	ds_read_u8 v76, v73 offset:1
	s_waitcnt lgkmcnt(1)
	v_mov_b32_e32 v75, v72
.LBB117_30:                             ;   in Loop: Header=BB117_2 Depth=1
	s_or_b64 exec, exec, s[20:21]
	v_add_u32_e32 v78, 1, v74
	v_add_u32_e32 v77, 1, v73
	v_cndmask_b32_e64 v78, v78, v74, s[18:19]
	v_cndmask_b32_e64 v77, v73, v77, s[18:19]
	v_cmp_ge_i32_e64 s[22:23], v78, v17
	s_waitcnt lgkmcnt(0)
	v_cmp_lt_u16_sdwa s[24:25], v76, v75 src0_sel:BYTE_0 src1_sel:BYTE_0
	v_cmp_lt_i32_e64 s[20:21], v77, v18
	s_or_b64 s[22:23], s[22:23], s[24:25]
	s_and_b64 s[20:21], s[20:21], s[22:23]
	s_xor_b64 s[22:23], s[20:21], -1
                                        ; implicit-def: $vgpr79
	s_and_saveexec_b64 s[24:25], s[22:23]
	s_xor_b64 s[22:23], exec, s[24:25]
	s_cbranch_execz .LBB117_32
; %bb.31:                               ;   in Loop: Header=BB117_2 Depth=1
	ds_read_u8 v79, v78 offset:1
.LBB117_32:                             ;   in Loop: Header=BB117_2 Depth=1
	s_or_saveexec_b64 s[22:23], s[22:23]
	v_mov_b32_e32 v80, v76
	s_xor_b64 exec, exec, s[22:23]
	s_cbranch_execz .LBB117_34
; %bb.33:                               ;   in Loop: Header=BB117_2 Depth=1
	ds_read_u8 v80, v77 offset:1
	s_waitcnt lgkmcnt(1)
	v_mov_b32_e32 v79, v75
.LBB117_34:                             ;   in Loop: Header=BB117_2 Depth=1
	s_or_b64 exec, exec, s[22:23]
	v_add_u32_e32 v81, 1, v78
	v_cndmask_b32_e64 v75, v75, v76, s[20:21]
	v_add_u32_e32 v76, 1, v77
	v_cndmask_b32_e64 v81, v81, v78, s[20:21]
	v_cndmask_b32_e64 v76, v77, v76, s[20:21]
	v_cndmask_b32_e64 v77, v78, v77, s[20:21]
	v_cndmask_b32_e64 v71, v72, v71, s[18:19]
	v_cndmask_b32_e64 v72, v74, v73, s[18:19]
	v_cmp_ge_i32_e64 s[18:19], v81, v17
	s_waitcnt lgkmcnt(0)
	v_cmp_lt_u16_sdwa s[20:21], v80, v79 src0_sel:BYTE_0 src1_sel:BYTE_0
	v_cndmask_b32_e64 v69, v69, v70, s[16:17]
	v_cndmask_b32_e64 v67, v67, v68, s[16:17]
	v_cmp_lt_i32_e64 s[16:17], v76, v18
	s_or_b64 s[18:19], s[18:19], s[20:21]
	s_and_b64 s[16:17], s[16:17], s[18:19]
	v_cndmask_b32_e64 v70, v81, v76, s[16:17]
	s_barrier
	ds_write_b8 v2, v64
	ds_write_b8 v2, v65 offset:1
	ds_write_b8 v2, v66 offset:2
	;; [unrolled: 1-line block ×3, first 2 shown]
	s_waitcnt lgkmcnt(0)
	s_barrier
	ds_read_u8 v63, v70
	ds_read_u8 v64, v67
	;; [unrolled: 1-line block ×4, first 2 shown]
	v_cndmask_b32_e64 v68, v79, v80, s[16:17]
	s_waitcnt lgkmcnt(0)
	s_barrier
	ds_write_b8 v2, v69
	ds_write_b8 v2, v71 offset:1
	ds_write_b8 v2, v75 offset:2
	;; [unrolled: 1-line block ×3, first 2 shown]
	v_mov_b32_e32 v68, v38
	s_waitcnt lgkmcnt(0)
	s_barrier
	s_and_saveexec_b64 s[18:19], s[2:3]
	s_cbranch_execz .LBB117_38
; %bb.35:                               ;   in Loop: Header=BB117_2 Depth=1
	s_mov_b64 s[20:21], 0
	v_mov_b32_e32 v68, v38
	v_mov_b32_e32 v67, v33
.LBB117_36:                             ;   Parent Loop BB117_2 Depth=1
                                        ; =>  This Inner Loop Header: Depth=2
	v_sub_u32_e32 v69, v67, v68
	v_lshrrev_b32_e32 v70, 31, v69
	v_add_u32_e32 v69, v69, v70
	v_ashrrev_i32_e32 v69, 1, v69
	v_add_u32_e32 v69, v69, v68
	v_not_b32_e32 v71, v69
	v_add_u32_e32 v70, v7, v69
	v_add3_u32 v71, v8, v71, v19
	ds_read_u8 v70, v70
	ds_read_u8 v71, v71
	v_add_u32_e32 v72, 1, v69
	s_waitcnt lgkmcnt(0)
	v_cmp_lt_u16_e64 s[16:17], v71, v70
	s_nop 1
	v_cndmask_b32_e64 v67, v67, v69, s[16:17]
	v_cndmask_b32_e64 v68, v72, v68, s[16:17]
	v_cmp_ge_i32_e64 s[16:17], v68, v67
	s_or_b64 s[20:21], s[16:17], s[20:21]
	s_andn2_b64 exec, exec, s[20:21]
	s_cbranch_execnz .LBB117_36
; %bb.37:                               ;   in Loop: Header=BB117_2 Depth=1
	s_or_b64 exec, exec, s[20:21]
.LBB117_38:                             ;   in Loop: Header=BB117_2 Depth=1
	s_or_b64 exec, exec, s[18:19]
	v_add_u32_e32 v67, v68, v7
	v_sub_u32_e32 v68, v29, v68
	ds_read_u8 v69, v67
	ds_read_u8 v70, v68
	v_cmp_le_i32_e64 s[18:19], v19, v67
	v_cmp_gt_i32_e64 s[16:17], v20, v68
                                        ; implicit-def: $vgpr71
                                        ; implicit-def: $vgpr72
	s_waitcnt lgkmcnt(0)
	v_cmp_lt_u16_sdwa s[20:21], v70, v69 src0_sel:BYTE_0 src1_sel:BYTE_0
	s_or_b64 s[18:19], s[18:19], s[20:21]
	s_and_b64 s[16:17], s[16:17], s[18:19]
	s_xor_b64 s[18:19], s[16:17], -1
	s_and_saveexec_b64 s[20:21], s[18:19]
	s_xor_b64 s[18:19], exec, s[20:21]
	s_cbranch_execz .LBB117_40
; %bb.39:                               ;   in Loop: Header=BB117_2 Depth=1
	ds_read_u8 v72, v67 offset:1
	v_mov_b32_e32 v71, v70
.LBB117_40:                             ;   in Loop: Header=BB117_2 Depth=1
	s_andn2_saveexec_b64 s[18:19], s[18:19]
	s_cbranch_execz .LBB117_42
; %bb.41:                               ;   in Loop: Header=BB117_2 Depth=1
	ds_read_u8 v71, v68 offset:1
	s_waitcnt lgkmcnt(1)
	v_mov_b32_e32 v72, v69
.LBB117_42:                             ;   in Loop: Header=BB117_2 Depth=1
	s_or_b64 exec, exec, s[18:19]
	v_add_u32_e32 v74, 1, v67
	v_add_u32_e32 v73, 1, v68
	v_cndmask_b32_e64 v74, v74, v67, s[16:17]
	v_cndmask_b32_e64 v73, v68, v73, s[16:17]
	v_cmp_ge_i32_e64 s[20:21], v74, v19
	s_waitcnt lgkmcnt(0)
	v_cmp_lt_u16_sdwa s[22:23], v71, v72 src0_sel:BYTE_0 src1_sel:BYTE_0
	v_cmp_lt_i32_e64 s[18:19], v73, v20
	s_or_b64 s[20:21], s[20:21], s[22:23]
	s_and_b64 s[18:19], s[18:19], s[20:21]
	s_xor_b64 s[20:21], s[18:19], -1
                                        ; implicit-def: $vgpr75
	s_and_saveexec_b64 s[22:23], s[20:21]
	s_xor_b64 s[20:21], exec, s[22:23]
	s_cbranch_execz .LBB117_44
; %bb.43:                               ;   in Loop: Header=BB117_2 Depth=1
	ds_read_u8 v75, v74 offset:1
.LBB117_44:                             ;   in Loop: Header=BB117_2 Depth=1
	s_or_saveexec_b64 s[20:21], s[20:21]
	v_mov_b32_e32 v76, v71
	s_xor_b64 exec, exec, s[20:21]
	s_cbranch_execz .LBB117_46
; %bb.45:                               ;   in Loop: Header=BB117_2 Depth=1
	ds_read_u8 v76, v73 offset:1
	s_waitcnt lgkmcnt(1)
	v_mov_b32_e32 v75, v72
.LBB117_46:                             ;   in Loop: Header=BB117_2 Depth=1
	s_or_b64 exec, exec, s[20:21]
	v_add_u32_e32 v78, 1, v74
	v_add_u32_e32 v77, 1, v73
	v_cndmask_b32_e64 v78, v78, v74, s[18:19]
	v_cndmask_b32_e64 v77, v73, v77, s[18:19]
	v_cmp_ge_i32_e64 s[22:23], v78, v19
	s_waitcnt lgkmcnt(0)
	v_cmp_lt_u16_sdwa s[24:25], v76, v75 src0_sel:BYTE_0 src1_sel:BYTE_0
	v_cmp_lt_i32_e64 s[20:21], v77, v20
	s_or_b64 s[22:23], s[22:23], s[24:25]
	s_and_b64 s[20:21], s[20:21], s[22:23]
	s_xor_b64 s[22:23], s[20:21], -1
                                        ; implicit-def: $vgpr79
	s_and_saveexec_b64 s[24:25], s[22:23]
	s_xor_b64 s[22:23], exec, s[24:25]
	s_cbranch_execz .LBB117_48
; %bb.47:                               ;   in Loop: Header=BB117_2 Depth=1
	ds_read_u8 v79, v78 offset:1
.LBB117_48:                             ;   in Loop: Header=BB117_2 Depth=1
	s_or_saveexec_b64 s[22:23], s[22:23]
	v_mov_b32_e32 v80, v76
	s_xor_b64 exec, exec, s[22:23]
	s_cbranch_execz .LBB117_50
; %bb.49:                               ;   in Loop: Header=BB117_2 Depth=1
	ds_read_u8 v80, v77 offset:1
	s_waitcnt lgkmcnt(1)
	v_mov_b32_e32 v79, v75
.LBB117_50:                             ;   in Loop: Header=BB117_2 Depth=1
	s_or_b64 exec, exec, s[22:23]
	v_add_u32_e32 v81, 1, v78
	v_cndmask_b32_e64 v75, v75, v76, s[20:21]
	v_add_u32_e32 v76, 1, v77
	v_cndmask_b32_e64 v81, v81, v78, s[20:21]
	v_cndmask_b32_e64 v76, v77, v76, s[20:21]
	;; [unrolled: 1-line block ×5, first 2 shown]
	v_cmp_ge_i32_e64 s[18:19], v81, v19
	s_waitcnt lgkmcnt(0)
	v_cmp_lt_u16_sdwa s[20:21], v80, v79 src0_sel:BYTE_0 src1_sel:BYTE_0
	v_cndmask_b32_e64 v69, v69, v70, s[16:17]
	v_cndmask_b32_e64 v67, v67, v68, s[16:17]
	v_cmp_lt_i32_e64 s[16:17], v76, v20
	s_or_b64 s[18:19], s[18:19], s[20:21]
	s_and_b64 s[16:17], s[16:17], s[18:19]
	v_cndmask_b32_e64 v70, v81, v76, s[16:17]
	s_barrier
	ds_write_b8 v2, v64
	ds_write_b8 v2, v65 offset:1
	ds_write_b8 v2, v66 offset:2
	;; [unrolled: 1-line block ×3, first 2 shown]
	s_waitcnt lgkmcnt(0)
	s_barrier
	ds_read_u8 v63, v70
	ds_read_u8 v64, v67
	;; [unrolled: 1-line block ×4, first 2 shown]
	v_cndmask_b32_e64 v68, v79, v80, s[16:17]
	s_waitcnt lgkmcnt(0)
	s_barrier
	ds_write_b8 v2, v69
	ds_write_b8 v2, v71 offset:1
	ds_write_b8 v2, v75 offset:2
	;; [unrolled: 1-line block ×3, first 2 shown]
	v_mov_b32_e32 v68, v39
	s_waitcnt lgkmcnt(0)
	s_barrier
	s_and_saveexec_b64 s[18:19], s[4:5]
	s_cbranch_execz .LBB117_54
; %bb.51:                               ;   in Loop: Header=BB117_2 Depth=1
	s_mov_b64 s[20:21], 0
	v_mov_b32_e32 v68, v39
	v_mov_b32_e32 v67, v34
.LBB117_52:                             ;   Parent Loop BB117_2 Depth=1
                                        ; =>  This Inner Loop Header: Depth=2
	v_sub_u32_e32 v69, v67, v68
	v_lshrrev_b32_e32 v70, 31, v69
	v_add_u32_e32 v69, v69, v70
	v_ashrrev_i32_e32 v69, 1, v69
	v_add_u32_e32 v69, v69, v68
	v_not_b32_e32 v71, v69
	v_add_u32_e32 v70, v9, v69
	v_add3_u32 v71, v10, v71, v21
	ds_read_u8 v70, v70
	ds_read_u8 v71, v71
	v_add_u32_e32 v72, 1, v69
	s_waitcnt lgkmcnt(0)
	v_cmp_lt_u16_e64 s[16:17], v71, v70
	s_nop 1
	v_cndmask_b32_e64 v67, v67, v69, s[16:17]
	v_cndmask_b32_e64 v68, v72, v68, s[16:17]
	v_cmp_ge_i32_e64 s[16:17], v68, v67
	s_or_b64 s[20:21], s[16:17], s[20:21]
	s_andn2_b64 exec, exec, s[20:21]
	s_cbranch_execnz .LBB117_52
; %bb.53:                               ;   in Loop: Header=BB117_2 Depth=1
	s_or_b64 exec, exec, s[20:21]
.LBB117_54:                             ;   in Loop: Header=BB117_2 Depth=1
	s_or_b64 exec, exec, s[18:19]
	v_add_u32_e32 v67, v68, v9
	v_sub_u32_e32 v68, v30, v68
	ds_read_u8 v69, v67
	ds_read_u8 v70, v68
	v_cmp_le_i32_e64 s[18:19], v21, v67
	v_cmp_gt_i32_e64 s[16:17], v22, v68
                                        ; implicit-def: $vgpr71
                                        ; implicit-def: $vgpr72
	s_waitcnt lgkmcnt(0)
	v_cmp_lt_u16_sdwa s[20:21], v70, v69 src0_sel:BYTE_0 src1_sel:BYTE_0
	s_or_b64 s[18:19], s[18:19], s[20:21]
	s_and_b64 s[16:17], s[16:17], s[18:19]
	s_xor_b64 s[18:19], s[16:17], -1
	s_and_saveexec_b64 s[20:21], s[18:19]
	s_xor_b64 s[18:19], exec, s[20:21]
	s_cbranch_execz .LBB117_56
; %bb.55:                               ;   in Loop: Header=BB117_2 Depth=1
	ds_read_u8 v72, v67 offset:1
	v_mov_b32_e32 v71, v70
.LBB117_56:                             ;   in Loop: Header=BB117_2 Depth=1
	s_andn2_saveexec_b64 s[18:19], s[18:19]
	s_cbranch_execz .LBB117_58
; %bb.57:                               ;   in Loop: Header=BB117_2 Depth=1
	ds_read_u8 v71, v68 offset:1
	s_waitcnt lgkmcnt(1)
	v_mov_b32_e32 v72, v69
.LBB117_58:                             ;   in Loop: Header=BB117_2 Depth=1
	s_or_b64 exec, exec, s[18:19]
	v_add_u32_e32 v74, 1, v67
	v_add_u32_e32 v73, 1, v68
	v_cndmask_b32_e64 v74, v74, v67, s[16:17]
	v_cndmask_b32_e64 v73, v68, v73, s[16:17]
	v_cmp_ge_i32_e64 s[20:21], v74, v21
	s_waitcnt lgkmcnt(0)
	v_cmp_lt_u16_sdwa s[22:23], v71, v72 src0_sel:BYTE_0 src1_sel:BYTE_0
	v_cmp_lt_i32_e64 s[18:19], v73, v22
	s_or_b64 s[20:21], s[20:21], s[22:23]
	s_and_b64 s[18:19], s[18:19], s[20:21]
	s_xor_b64 s[20:21], s[18:19], -1
                                        ; implicit-def: $vgpr75
	s_and_saveexec_b64 s[22:23], s[20:21]
	s_xor_b64 s[20:21], exec, s[22:23]
	s_cbranch_execz .LBB117_60
; %bb.59:                               ;   in Loop: Header=BB117_2 Depth=1
	ds_read_u8 v75, v74 offset:1
.LBB117_60:                             ;   in Loop: Header=BB117_2 Depth=1
	s_or_saveexec_b64 s[20:21], s[20:21]
	v_mov_b32_e32 v76, v71
	s_xor_b64 exec, exec, s[20:21]
	s_cbranch_execz .LBB117_62
; %bb.61:                               ;   in Loop: Header=BB117_2 Depth=1
	ds_read_u8 v76, v73 offset:1
	s_waitcnt lgkmcnt(1)
	v_mov_b32_e32 v75, v72
.LBB117_62:                             ;   in Loop: Header=BB117_2 Depth=1
	s_or_b64 exec, exec, s[20:21]
	v_add_u32_e32 v78, 1, v74
	v_add_u32_e32 v77, 1, v73
	v_cndmask_b32_e64 v78, v78, v74, s[18:19]
	v_cndmask_b32_e64 v77, v73, v77, s[18:19]
	v_cmp_ge_i32_e64 s[22:23], v78, v21
	s_waitcnt lgkmcnt(0)
	v_cmp_lt_u16_sdwa s[24:25], v76, v75 src0_sel:BYTE_0 src1_sel:BYTE_0
	v_cmp_lt_i32_e64 s[20:21], v77, v22
	s_or_b64 s[22:23], s[22:23], s[24:25]
	s_and_b64 s[20:21], s[20:21], s[22:23]
	s_xor_b64 s[22:23], s[20:21], -1
                                        ; implicit-def: $vgpr79
	s_and_saveexec_b64 s[24:25], s[22:23]
	s_xor_b64 s[22:23], exec, s[24:25]
	s_cbranch_execz .LBB117_64
; %bb.63:                               ;   in Loop: Header=BB117_2 Depth=1
	ds_read_u8 v79, v78 offset:1
.LBB117_64:                             ;   in Loop: Header=BB117_2 Depth=1
	s_or_saveexec_b64 s[22:23], s[22:23]
	v_mov_b32_e32 v80, v76
	s_xor_b64 exec, exec, s[22:23]
	s_cbranch_execz .LBB117_66
; %bb.65:                               ;   in Loop: Header=BB117_2 Depth=1
	ds_read_u8 v80, v77 offset:1
	s_waitcnt lgkmcnt(1)
	v_mov_b32_e32 v79, v75
.LBB117_66:                             ;   in Loop: Header=BB117_2 Depth=1
	s_or_b64 exec, exec, s[22:23]
	v_add_u32_e32 v81, 1, v78
	v_cndmask_b32_e64 v75, v75, v76, s[20:21]
	v_add_u32_e32 v76, 1, v77
	v_cndmask_b32_e64 v81, v81, v78, s[20:21]
	v_cndmask_b32_e64 v76, v77, v76, s[20:21]
	;; [unrolled: 1-line block ×5, first 2 shown]
	v_cmp_ge_i32_e64 s[18:19], v81, v21
	s_waitcnt lgkmcnt(0)
	v_cmp_lt_u16_sdwa s[20:21], v80, v79 src0_sel:BYTE_0 src1_sel:BYTE_0
	v_cndmask_b32_e64 v69, v69, v70, s[16:17]
	v_cndmask_b32_e64 v67, v67, v68, s[16:17]
	v_cmp_lt_i32_e64 s[16:17], v76, v22
	s_or_b64 s[18:19], s[18:19], s[20:21]
	s_and_b64 s[16:17], s[16:17], s[18:19]
	v_cndmask_b32_e64 v70, v81, v76, s[16:17]
	s_barrier
	ds_write_b8 v2, v64
	ds_write_b8 v2, v65 offset:1
	ds_write_b8 v2, v66 offset:2
	;; [unrolled: 1-line block ×3, first 2 shown]
	s_waitcnt lgkmcnt(0)
	s_barrier
	ds_read_u8 v63, v70
	ds_read_u8 v64, v67
	;; [unrolled: 1-line block ×4, first 2 shown]
	v_cndmask_b32_e64 v68, v79, v80, s[16:17]
	s_waitcnt lgkmcnt(0)
	s_barrier
	ds_write_b8 v2, v69
	ds_write_b8 v2, v71 offset:1
	ds_write_b8 v2, v75 offset:2
	;; [unrolled: 1-line block ×3, first 2 shown]
	v_mov_b32_e32 v68, v40
	s_waitcnt lgkmcnt(0)
	s_barrier
	s_and_saveexec_b64 s[18:19], s[6:7]
	s_cbranch_execz .LBB117_70
; %bb.67:                               ;   in Loop: Header=BB117_2 Depth=1
	s_mov_b64 s[20:21], 0
	v_mov_b32_e32 v68, v40
	v_mov_b32_e32 v67, v35
.LBB117_68:                             ;   Parent Loop BB117_2 Depth=1
                                        ; =>  This Inner Loop Header: Depth=2
	v_sub_u32_e32 v69, v67, v68
	v_lshrrev_b32_e32 v70, 31, v69
	v_add_u32_e32 v69, v69, v70
	v_ashrrev_i32_e32 v69, 1, v69
	v_add_u32_e32 v69, v69, v68
	v_not_b32_e32 v71, v69
	v_add_u32_e32 v70, v11, v69
	v_add3_u32 v71, v12, v71, v23
	ds_read_u8 v70, v70
	ds_read_u8 v71, v71
	v_add_u32_e32 v72, 1, v69
	s_waitcnt lgkmcnt(0)
	v_cmp_lt_u16_e64 s[16:17], v71, v70
	s_nop 1
	v_cndmask_b32_e64 v67, v67, v69, s[16:17]
	v_cndmask_b32_e64 v68, v72, v68, s[16:17]
	v_cmp_ge_i32_e64 s[16:17], v68, v67
	s_or_b64 s[20:21], s[16:17], s[20:21]
	s_andn2_b64 exec, exec, s[20:21]
	s_cbranch_execnz .LBB117_68
; %bb.69:                               ;   in Loop: Header=BB117_2 Depth=1
	s_or_b64 exec, exec, s[20:21]
.LBB117_70:                             ;   in Loop: Header=BB117_2 Depth=1
	s_or_b64 exec, exec, s[18:19]
	v_add_u32_e32 v67, v68, v11
	v_sub_u32_e32 v68, v58, v68
	ds_read_u8 v69, v67
	ds_read_u8 v70, v68
	v_cmp_le_i32_e64 s[18:19], v23, v67
	v_cmp_gt_i32_e64 s[16:17], v24, v68
                                        ; implicit-def: $vgpr71
                                        ; implicit-def: $vgpr72
	s_waitcnt lgkmcnt(0)
	v_cmp_lt_u16_sdwa s[20:21], v70, v69 src0_sel:BYTE_0 src1_sel:BYTE_0
	s_or_b64 s[18:19], s[18:19], s[20:21]
	s_and_b64 s[16:17], s[16:17], s[18:19]
	s_xor_b64 s[18:19], s[16:17], -1
	s_and_saveexec_b64 s[20:21], s[18:19]
	s_xor_b64 s[18:19], exec, s[20:21]
	s_cbranch_execz .LBB117_72
; %bb.71:                               ;   in Loop: Header=BB117_2 Depth=1
	ds_read_u8 v72, v67 offset:1
	v_mov_b32_e32 v71, v70
.LBB117_72:                             ;   in Loop: Header=BB117_2 Depth=1
	s_andn2_saveexec_b64 s[18:19], s[18:19]
	s_cbranch_execz .LBB117_74
; %bb.73:                               ;   in Loop: Header=BB117_2 Depth=1
	ds_read_u8 v71, v68 offset:1
	s_waitcnt lgkmcnt(1)
	v_mov_b32_e32 v72, v69
.LBB117_74:                             ;   in Loop: Header=BB117_2 Depth=1
	s_or_b64 exec, exec, s[18:19]
	v_add_u32_e32 v74, 1, v67
	v_add_u32_e32 v73, 1, v68
	v_cndmask_b32_e64 v74, v74, v67, s[16:17]
	v_cndmask_b32_e64 v73, v68, v73, s[16:17]
	v_cmp_ge_i32_e64 s[20:21], v74, v23
	s_waitcnt lgkmcnt(0)
	v_cmp_lt_u16_sdwa s[22:23], v71, v72 src0_sel:BYTE_0 src1_sel:BYTE_0
	v_cmp_lt_i32_e64 s[18:19], v73, v24
	s_or_b64 s[20:21], s[20:21], s[22:23]
	s_and_b64 s[18:19], s[18:19], s[20:21]
	s_xor_b64 s[20:21], s[18:19], -1
                                        ; implicit-def: $vgpr75
	s_and_saveexec_b64 s[22:23], s[20:21]
	s_xor_b64 s[20:21], exec, s[22:23]
	s_cbranch_execz .LBB117_76
; %bb.75:                               ;   in Loop: Header=BB117_2 Depth=1
	ds_read_u8 v75, v74 offset:1
.LBB117_76:                             ;   in Loop: Header=BB117_2 Depth=1
	s_or_saveexec_b64 s[20:21], s[20:21]
	v_mov_b32_e32 v76, v71
	s_xor_b64 exec, exec, s[20:21]
	s_cbranch_execz .LBB117_78
; %bb.77:                               ;   in Loop: Header=BB117_2 Depth=1
	ds_read_u8 v76, v73 offset:1
	s_waitcnt lgkmcnt(1)
	v_mov_b32_e32 v75, v72
.LBB117_78:                             ;   in Loop: Header=BB117_2 Depth=1
	s_or_b64 exec, exec, s[20:21]
	v_add_u32_e32 v78, 1, v74
	v_add_u32_e32 v77, 1, v73
	v_cndmask_b32_e64 v78, v78, v74, s[18:19]
	v_cndmask_b32_e64 v77, v73, v77, s[18:19]
	v_cmp_ge_i32_e64 s[22:23], v78, v23
	s_waitcnt lgkmcnt(0)
	v_cmp_lt_u16_sdwa s[24:25], v76, v75 src0_sel:BYTE_0 src1_sel:BYTE_0
	v_cmp_lt_i32_e64 s[20:21], v77, v24
	s_or_b64 s[22:23], s[22:23], s[24:25]
	s_and_b64 s[20:21], s[20:21], s[22:23]
	s_xor_b64 s[22:23], s[20:21], -1
                                        ; implicit-def: $vgpr79
	s_and_saveexec_b64 s[24:25], s[22:23]
	s_xor_b64 s[22:23], exec, s[24:25]
	s_cbranch_execz .LBB117_80
; %bb.79:                               ;   in Loop: Header=BB117_2 Depth=1
	ds_read_u8 v79, v78 offset:1
.LBB117_80:                             ;   in Loop: Header=BB117_2 Depth=1
	s_or_saveexec_b64 s[22:23], s[22:23]
	v_mov_b32_e32 v80, v76
	s_xor_b64 exec, exec, s[22:23]
	s_cbranch_execz .LBB117_82
; %bb.81:                               ;   in Loop: Header=BB117_2 Depth=1
	ds_read_u8 v80, v77 offset:1
	s_waitcnt lgkmcnt(1)
	v_mov_b32_e32 v79, v75
.LBB117_82:                             ;   in Loop: Header=BB117_2 Depth=1
	s_or_b64 exec, exec, s[22:23]
	v_add_u32_e32 v81, 1, v78
	v_cndmask_b32_e64 v75, v75, v76, s[20:21]
	v_add_u32_e32 v76, 1, v77
	v_cndmask_b32_e64 v81, v81, v78, s[20:21]
	v_cndmask_b32_e64 v76, v77, v76, s[20:21]
	;; [unrolled: 1-line block ×5, first 2 shown]
	v_cmp_ge_i32_e64 s[18:19], v81, v23
	s_waitcnt lgkmcnt(0)
	v_cmp_lt_u16_sdwa s[20:21], v80, v79 src0_sel:BYTE_0 src1_sel:BYTE_0
	v_cndmask_b32_e64 v69, v69, v70, s[16:17]
	v_cndmask_b32_e64 v67, v67, v68, s[16:17]
	v_cmp_lt_i32_e64 s[16:17], v76, v24
	s_or_b64 s[18:19], s[18:19], s[20:21]
	s_and_b64 s[16:17], s[16:17], s[18:19]
	v_cndmask_b32_e64 v70, v81, v76, s[16:17]
	s_barrier
	ds_write_b8 v2, v64
	ds_write_b8 v2, v65 offset:1
	ds_write_b8 v2, v66 offset:2
	;; [unrolled: 1-line block ×3, first 2 shown]
	s_waitcnt lgkmcnt(0)
	s_barrier
	ds_read_u8 v63, v70
	ds_read_u8 v64, v67
	;; [unrolled: 1-line block ×4, first 2 shown]
	v_cndmask_b32_e64 v68, v79, v80, s[16:17]
	s_waitcnt lgkmcnt(0)
	s_barrier
	ds_write_b8 v2, v69
	ds_write_b8 v2, v71 offset:1
	ds_write_b8 v2, v75 offset:2
	;; [unrolled: 1-line block ×3, first 2 shown]
	v_mov_b32_e32 v68, v41
	s_waitcnt lgkmcnt(0)
	s_barrier
	s_and_saveexec_b64 s[18:19], s[8:9]
	s_cbranch_execz .LBB117_86
; %bb.83:                               ;   in Loop: Header=BB117_2 Depth=1
	s_mov_b64 s[20:21], 0
	v_mov_b32_e32 v68, v41
	v_mov_b32_e32 v67, v42
.LBB117_84:                             ;   Parent Loop BB117_2 Depth=1
                                        ; =>  This Inner Loop Header: Depth=2
	v_sub_u32_e32 v69, v67, v68
	v_lshrrev_b32_e32 v70, 31, v69
	v_add_u32_e32 v69, v69, v70
	v_ashrrev_i32_e32 v69, 1, v69
	v_add_u32_e32 v69, v69, v68
	v_not_b32_e32 v71, v69
	v_add_u32_e32 v70, v13, v69
	v_add3_u32 v71, v14, v71, v25
	ds_read_u8 v70, v70
	ds_read_u8 v71, v71
	v_add_u32_e32 v72, 1, v69
	s_waitcnt lgkmcnt(0)
	v_cmp_lt_u16_e64 s[16:17], v71, v70
	s_nop 1
	v_cndmask_b32_e64 v67, v67, v69, s[16:17]
	v_cndmask_b32_e64 v68, v72, v68, s[16:17]
	v_cmp_ge_i32_e64 s[16:17], v68, v67
	s_or_b64 s[20:21], s[16:17], s[20:21]
	s_andn2_b64 exec, exec, s[20:21]
	s_cbranch_execnz .LBB117_84
; %bb.85:                               ;   in Loop: Header=BB117_2 Depth=1
	s_or_b64 exec, exec, s[20:21]
.LBB117_86:                             ;   in Loop: Header=BB117_2 Depth=1
	s_or_b64 exec, exec, s[18:19]
	v_add_u32_e32 v67, v68, v13
	v_sub_u32_e32 v68, v59, v68
	ds_read_u8 v69, v67
	ds_read_u8 v70, v68
	v_cmp_le_i32_e64 s[18:19], v25, v67
	v_cmp_gt_i32_e64 s[16:17], v26, v68
                                        ; implicit-def: $vgpr71
                                        ; implicit-def: $vgpr72
	s_waitcnt lgkmcnt(0)
	v_cmp_lt_u16_sdwa s[20:21], v70, v69 src0_sel:BYTE_0 src1_sel:BYTE_0
	s_or_b64 s[18:19], s[18:19], s[20:21]
	s_and_b64 s[16:17], s[16:17], s[18:19]
	s_xor_b64 s[18:19], s[16:17], -1
	s_and_saveexec_b64 s[20:21], s[18:19]
	s_xor_b64 s[18:19], exec, s[20:21]
	s_cbranch_execz .LBB117_88
; %bb.87:                               ;   in Loop: Header=BB117_2 Depth=1
	ds_read_u8 v72, v67 offset:1
	v_mov_b32_e32 v71, v70
.LBB117_88:                             ;   in Loop: Header=BB117_2 Depth=1
	s_andn2_saveexec_b64 s[18:19], s[18:19]
	s_cbranch_execz .LBB117_90
; %bb.89:                               ;   in Loop: Header=BB117_2 Depth=1
	ds_read_u8 v71, v68 offset:1
	s_waitcnt lgkmcnt(1)
	v_mov_b32_e32 v72, v69
.LBB117_90:                             ;   in Loop: Header=BB117_2 Depth=1
	s_or_b64 exec, exec, s[18:19]
	v_add_u32_e32 v74, 1, v67
	v_add_u32_e32 v73, 1, v68
	v_cndmask_b32_e64 v74, v74, v67, s[16:17]
	v_cndmask_b32_e64 v73, v68, v73, s[16:17]
	v_cmp_ge_i32_e64 s[20:21], v74, v25
	s_waitcnt lgkmcnt(0)
	v_cmp_lt_u16_sdwa s[22:23], v71, v72 src0_sel:BYTE_0 src1_sel:BYTE_0
	v_cmp_lt_i32_e64 s[18:19], v73, v26
	s_or_b64 s[20:21], s[20:21], s[22:23]
	s_and_b64 s[18:19], s[18:19], s[20:21]
	s_xor_b64 s[20:21], s[18:19], -1
                                        ; implicit-def: $vgpr75
	s_and_saveexec_b64 s[22:23], s[20:21]
	s_xor_b64 s[20:21], exec, s[22:23]
	s_cbranch_execz .LBB117_92
; %bb.91:                               ;   in Loop: Header=BB117_2 Depth=1
	ds_read_u8 v75, v74 offset:1
.LBB117_92:                             ;   in Loop: Header=BB117_2 Depth=1
	s_or_saveexec_b64 s[20:21], s[20:21]
	v_mov_b32_e32 v76, v71
	s_xor_b64 exec, exec, s[20:21]
	s_cbranch_execz .LBB117_94
; %bb.93:                               ;   in Loop: Header=BB117_2 Depth=1
	ds_read_u8 v76, v73 offset:1
	s_waitcnt lgkmcnt(1)
	v_mov_b32_e32 v75, v72
.LBB117_94:                             ;   in Loop: Header=BB117_2 Depth=1
	s_or_b64 exec, exec, s[20:21]
	v_add_u32_e32 v78, 1, v74
	v_add_u32_e32 v77, 1, v73
	v_cndmask_b32_e64 v78, v78, v74, s[18:19]
	v_cndmask_b32_e64 v77, v73, v77, s[18:19]
	v_cmp_ge_i32_e64 s[22:23], v78, v25
	s_waitcnt lgkmcnt(0)
	v_cmp_lt_u16_sdwa s[24:25], v76, v75 src0_sel:BYTE_0 src1_sel:BYTE_0
	v_cmp_lt_i32_e64 s[20:21], v77, v26
	s_or_b64 s[22:23], s[22:23], s[24:25]
	s_and_b64 s[20:21], s[20:21], s[22:23]
	s_xor_b64 s[22:23], s[20:21], -1
                                        ; implicit-def: $vgpr79
	s_and_saveexec_b64 s[24:25], s[22:23]
	s_xor_b64 s[22:23], exec, s[24:25]
	s_cbranch_execz .LBB117_96
; %bb.95:                               ;   in Loop: Header=BB117_2 Depth=1
	ds_read_u8 v79, v78 offset:1
.LBB117_96:                             ;   in Loop: Header=BB117_2 Depth=1
	s_or_saveexec_b64 s[22:23], s[22:23]
	v_mov_b32_e32 v80, v76
	s_xor_b64 exec, exec, s[22:23]
	s_cbranch_execz .LBB117_98
; %bb.97:                               ;   in Loop: Header=BB117_2 Depth=1
	ds_read_u8 v80, v77 offset:1
	s_waitcnt lgkmcnt(1)
	v_mov_b32_e32 v79, v75
.LBB117_98:                             ;   in Loop: Header=BB117_2 Depth=1
	s_or_b64 exec, exec, s[22:23]
	v_add_u32_e32 v81, 1, v78
	v_cndmask_b32_e64 v75, v75, v76, s[20:21]
	v_add_u32_e32 v76, 1, v77
	v_cndmask_b32_e64 v81, v81, v78, s[20:21]
	v_cndmask_b32_e64 v76, v77, v76, s[20:21]
	;; [unrolled: 1-line block ×5, first 2 shown]
	v_cmp_ge_i32_e64 s[18:19], v81, v25
	s_waitcnt lgkmcnt(0)
	v_cmp_lt_u16_sdwa s[20:21], v80, v79 src0_sel:BYTE_0 src1_sel:BYTE_0
	v_cndmask_b32_e64 v69, v69, v70, s[16:17]
	v_cndmask_b32_e64 v67, v67, v68, s[16:17]
	v_cmp_lt_i32_e64 s[16:17], v76, v26
	s_or_b64 s[18:19], s[18:19], s[20:21]
	s_and_b64 s[16:17], s[16:17], s[18:19]
	v_cndmask_b32_e64 v70, v81, v76, s[16:17]
	s_barrier
	ds_write_b8 v2, v64
	ds_write_b8 v2, v65 offset:1
	ds_write_b8 v2, v66 offset:2
	;; [unrolled: 1-line block ×3, first 2 shown]
	s_waitcnt lgkmcnt(0)
	s_barrier
	ds_read_u8 v63, v70
	ds_read_u8 v64, v67
	;; [unrolled: 1-line block ×4, first 2 shown]
	v_cndmask_b32_e64 v68, v79, v80, s[16:17]
	s_waitcnt lgkmcnt(0)
	s_barrier
	ds_write_b8 v2, v69
	ds_write_b8 v2, v71 offset:1
	ds_write_b8 v2, v75 offset:2
	;; [unrolled: 1-line block ×3, first 2 shown]
	v_mov_b32_e32 v68, v47
	s_waitcnt lgkmcnt(0)
	s_barrier
	s_and_saveexec_b64 s[18:19], s[10:11]
	s_cbranch_execz .LBB117_102
; %bb.99:                               ;   in Loop: Header=BB117_2 Depth=1
	s_mov_b64 s[20:21], 0
	v_mov_b32_e32 v68, v47
	v_mov_b32_e32 v67, v48
.LBB117_100:                            ;   Parent Loop BB117_2 Depth=1
                                        ; =>  This Inner Loop Header: Depth=2
	v_sub_u32_e32 v69, v67, v68
	v_lshrrev_b32_e32 v70, 31, v69
	v_add_u32_e32 v69, v69, v70
	v_ashrrev_i32_e32 v69, 1, v69
	v_add_u32_e32 v69, v69, v68
	v_not_b32_e32 v71, v69
	v_add_u32_e32 v70, v43, v69
	v_add3_u32 v71, v44, v71, v45
	ds_read_u8 v70, v70
	ds_read_u8 v71, v71
	v_add_u32_e32 v72, 1, v69
	s_waitcnt lgkmcnt(0)
	v_cmp_lt_u16_e64 s[16:17], v71, v70
	s_nop 1
	v_cndmask_b32_e64 v67, v67, v69, s[16:17]
	v_cndmask_b32_e64 v68, v72, v68, s[16:17]
	v_cmp_ge_i32_e64 s[16:17], v68, v67
	s_or_b64 s[20:21], s[16:17], s[20:21]
	s_andn2_b64 exec, exec, s[20:21]
	s_cbranch_execnz .LBB117_100
; %bb.101:                              ;   in Loop: Header=BB117_2 Depth=1
	s_or_b64 exec, exec, s[20:21]
.LBB117_102:                            ;   in Loop: Header=BB117_2 Depth=1
	s_or_b64 exec, exec, s[18:19]
	v_add_u32_e32 v67, v68, v43
	v_sub_u32_e32 v68, v60, v68
	ds_read_u8 v69, v67
	ds_read_u8 v70, v68
	v_cmp_le_i32_e64 s[18:19], v45, v67
	v_cmp_gt_i32_e64 s[16:17], v46, v68
                                        ; implicit-def: $vgpr71
                                        ; implicit-def: $vgpr72
	s_waitcnt lgkmcnt(0)
	v_cmp_lt_u16_sdwa s[20:21], v70, v69 src0_sel:BYTE_0 src1_sel:BYTE_0
	s_or_b64 s[18:19], s[18:19], s[20:21]
	s_and_b64 s[16:17], s[16:17], s[18:19]
	s_xor_b64 s[18:19], s[16:17], -1
	s_and_saveexec_b64 s[20:21], s[18:19]
	s_xor_b64 s[18:19], exec, s[20:21]
	s_cbranch_execz .LBB117_104
; %bb.103:                              ;   in Loop: Header=BB117_2 Depth=1
	ds_read_u8 v72, v67 offset:1
	v_mov_b32_e32 v71, v70
.LBB117_104:                            ;   in Loop: Header=BB117_2 Depth=1
	s_andn2_saveexec_b64 s[18:19], s[18:19]
	s_cbranch_execz .LBB117_106
; %bb.105:                              ;   in Loop: Header=BB117_2 Depth=1
	ds_read_u8 v71, v68 offset:1
	s_waitcnt lgkmcnt(1)
	v_mov_b32_e32 v72, v69
.LBB117_106:                            ;   in Loop: Header=BB117_2 Depth=1
	s_or_b64 exec, exec, s[18:19]
	v_add_u32_e32 v74, 1, v67
	v_add_u32_e32 v73, 1, v68
	v_cndmask_b32_e64 v74, v74, v67, s[16:17]
	v_cndmask_b32_e64 v73, v68, v73, s[16:17]
	v_cmp_ge_i32_e64 s[20:21], v74, v45
	s_waitcnt lgkmcnt(0)
	v_cmp_lt_u16_sdwa s[22:23], v71, v72 src0_sel:BYTE_0 src1_sel:BYTE_0
	v_cmp_lt_i32_e64 s[18:19], v73, v46
	s_or_b64 s[20:21], s[20:21], s[22:23]
	s_and_b64 s[18:19], s[18:19], s[20:21]
	s_xor_b64 s[20:21], s[18:19], -1
                                        ; implicit-def: $vgpr75
	s_and_saveexec_b64 s[22:23], s[20:21]
	s_xor_b64 s[20:21], exec, s[22:23]
	s_cbranch_execz .LBB117_108
; %bb.107:                              ;   in Loop: Header=BB117_2 Depth=1
	ds_read_u8 v75, v74 offset:1
.LBB117_108:                            ;   in Loop: Header=BB117_2 Depth=1
	s_or_saveexec_b64 s[20:21], s[20:21]
	v_mov_b32_e32 v76, v71
	s_xor_b64 exec, exec, s[20:21]
	s_cbranch_execz .LBB117_110
; %bb.109:                              ;   in Loop: Header=BB117_2 Depth=1
	ds_read_u8 v76, v73 offset:1
	s_waitcnt lgkmcnt(1)
	v_mov_b32_e32 v75, v72
.LBB117_110:                            ;   in Loop: Header=BB117_2 Depth=1
	s_or_b64 exec, exec, s[20:21]
	v_add_u32_e32 v78, 1, v74
	v_add_u32_e32 v77, 1, v73
	v_cndmask_b32_e64 v78, v78, v74, s[18:19]
	v_cndmask_b32_e64 v77, v73, v77, s[18:19]
	v_cmp_ge_i32_e64 s[22:23], v78, v45
	s_waitcnt lgkmcnt(0)
	v_cmp_lt_u16_sdwa s[24:25], v76, v75 src0_sel:BYTE_0 src1_sel:BYTE_0
	v_cmp_lt_i32_e64 s[20:21], v77, v46
	s_or_b64 s[22:23], s[22:23], s[24:25]
	s_and_b64 s[20:21], s[20:21], s[22:23]
	s_xor_b64 s[22:23], s[20:21], -1
                                        ; implicit-def: $vgpr79
	s_and_saveexec_b64 s[24:25], s[22:23]
	s_xor_b64 s[22:23], exec, s[24:25]
	s_cbranch_execz .LBB117_112
; %bb.111:                              ;   in Loop: Header=BB117_2 Depth=1
	ds_read_u8 v79, v78 offset:1
.LBB117_112:                            ;   in Loop: Header=BB117_2 Depth=1
	s_or_saveexec_b64 s[22:23], s[22:23]
	v_mov_b32_e32 v80, v76
	s_xor_b64 exec, exec, s[22:23]
	s_cbranch_execz .LBB117_114
; %bb.113:                              ;   in Loop: Header=BB117_2 Depth=1
	ds_read_u8 v80, v77 offset:1
	s_waitcnt lgkmcnt(1)
	v_mov_b32_e32 v79, v75
.LBB117_114:                            ;   in Loop: Header=BB117_2 Depth=1
	s_or_b64 exec, exec, s[22:23]
	v_add_u32_e32 v81, 1, v78
	v_cndmask_b32_e64 v75, v75, v76, s[20:21]
	v_add_u32_e32 v76, 1, v77
	v_cndmask_b32_e64 v81, v81, v78, s[20:21]
	v_cndmask_b32_e64 v76, v77, v76, s[20:21]
	;; [unrolled: 1-line block ×5, first 2 shown]
	v_cmp_ge_i32_e64 s[18:19], v81, v45
	s_waitcnt lgkmcnt(0)
	v_cmp_lt_u16_sdwa s[20:21], v80, v79 src0_sel:BYTE_0 src1_sel:BYTE_0
	v_cndmask_b32_e64 v69, v69, v70, s[16:17]
	v_cndmask_b32_e64 v67, v67, v68, s[16:17]
	v_cmp_lt_i32_e64 s[16:17], v76, v46
	s_or_b64 s[18:19], s[18:19], s[20:21]
	s_and_b64 s[16:17], s[16:17], s[18:19]
	v_cndmask_b32_e64 v70, v81, v76, s[16:17]
	s_barrier
	ds_write_b8 v2, v64
	ds_write_b8 v2, v65 offset:1
	ds_write_b8 v2, v66 offset:2
	;; [unrolled: 1-line block ×3, first 2 shown]
	s_waitcnt lgkmcnt(0)
	s_barrier
	ds_read_u8 v63, v70
	ds_read_u8 v64, v67
	;; [unrolled: 1-line block ×4, first 2 shown]
	v_cndmask_b32_e64 v68, v79, v80, s[16:17]
	s_waitcnt lgkmcnt(0)
	s_barrier
	ds_write_b8 v2, v69
	ds_write_b8 v2, v71 offset:1
	ds_write_b8 v2, v75 offset:2
	;; [unrolled: 1-line block ×3, first 2 shown]
	v_mov_b32_e32 v68, v54
	s_waitcnt lgkmcnt(0)
	s_barrier
	s_and_saveexec_b64 s[18:19], s[12:13]
	s_cbranch_execz .LBB117_118
; %bb.115:                              ;   in Loop: Header=BB117_2 Depth=1
	s_mov_b64 s[20:21], 0
	v_mov_b32_e32 v68, v54
	v_mov_b32_e32 v67, v55
.LBB117_116:                            ;   Parent Loop BB117_2 Depth=1
                                        ; =>  This Inner Loop Header: Depth=2
	v_sub_u32_e32 v69, v67, v68
	v_lshrrev_b32_e32 v70, 31, v69
	v_add_u32_e32 v69, v69, v70
	v_ashrrev_i32_e32 v69, 1, v69
	v_add_u32_e32 v69, v69, v68
	v_not_b32_e32 v71, v69
	v_add_u32_e32 v70, v50, v69
	v_add3_u32 v71, v51, v71, v52
	ds_read_u8 v70, v70
	ds_read_u8 v71, v71
	v_add_u32_e32 v72, 1, v69
	s_waitcnt lgkmcnt(0)
	v_cmp_lt_u16_e64 s[16:17], v71, v70
	s_nop 1
	v_cndmask_b32_e64 v67, v67, v69, s[16:17]
	v_cndmask_b32_e64 v68, v72, v68, s[16:17]
	v_cmp_ge_i32_e64 s[16:17], v68, v67
	s_or_b64 s[20:21], s[16:17], s[20:21]
	s_andn2_b64 exec, exec, s[20:21]
	s_cbranch_execnz .LBB117_116
; %bb.117:                              ;   in Loop: Header=BB117_2 Depth=1
	s_or_b64 exec, exec, s[20:21]
.LBB117_118:                            ;   in Loop: Header=BB117_2 Depth=1
	s_or_b64 exec, exec, s[18:19]
	v_add_u32_e32 v67, v68, v50
	v_sub_u32_e32 v68, v61, v68
	ds_read_u8 v69, v67
	ds_read_u8 v70, v68
	v_cmp_le_i32_e64 s[18:19], v52, v67
	v_cmp_gt_i32_e64 s[16:17], v53, v68
                                        ; implicit-def: $vgpr71
                                        ; implicit-def: $vgpr72
	s_waitcnt lgkmcnt(0)
	v_cmp_lt_u16_sdwa s[20:21], v70, v69 src0_sel:BYTE_0 src1_sel:BYTE_0
	s_or_b64 s[18:19], s[18:19], s[20:21]
	s_and_b64 s[16:17], s[16:17], s[18:19]
	s_xor_b64 s[18:19], s[16:17], -1
	s_and_saveexec_b64 s[20:21], s[18:19]
	s_xor_b64 s[18:19], exec, s[20:21]
	s_cbranch_execz .LBB117_120
; %bb.119:                              ;   in Loop: Header=BB117_2 Depth=1
	ds_read_u8 v72, v67 offset:1
	v_mov_b32_e32 v71, v70
.LBB117_120:                            ;   in Loop: Header=BB117_2 Depth=1
	s_andn2_saveexec_b64 s[18:19], s[18:19]
	s_cbranch_execz .LBB117_122
; %bb.121:                              ;   in Loop: Header=BB117_2 Depth=1
	ds_read_u8 v71, v68 offset:1
	s_waitcnt lgkmcnt(1)
	v_mov_b32_e32 v72, v69
.LBB117_122:                            ;   in Loop: Header=BB117_2 Depth=1
	s_or_b64 exec, exec, s[18:19]
	v_add_u32_e32 v74, 1, v67
	v_add_u32_e32 v73, 1, v68
	v_cndmask_b32_e64 v74, v74, v67, s[16:17]
	v_cndmask_b32_e64 v73, v68, v73, s[16:17]
	v_cmp_ge_i32_e64 s[20:21], v74, v52
	s_waitcnt lgkmcnt(0)
	v_cmp_lt_u16_sdwa s[22:23], v71, v72 src0_sel:BYTE_0 src1_sel:BYTE_0
	v_cmp_lt_i32_e64 s[18:19], v73, v53
	s_or_b64 s[20:21], s[20:21], s[22:23]
	s_and_b64 s[18:19], s[18:19], s[20:21]
	s_xor_b64 s[20:21], s[18:19], -1
                                        ; implicit-def: $vgpr75
	s_and_saveexec_b64 s[22:23], s[20:21]
	s_xor_b64 s[20:21], exec, s[22:23]
	s_cbranch_execz .LBB117_124
; %bb.123:                              ;   in Loop: Header=BB117_2 Depth=1
	ds_read_u8 v75, v74 offset:1
.LBB117_124:                            ;   in Loop: Header=BB117_2 Depth=1
	s_or_saveexec_b64 s[20:21], s[20:21]
	v_mov_b32_e32 v76, v71
	s_xor_b64 exec, exec, s[20:21]
	s_cbranch_execz .LBB117_126
; %bb.125:                              ;   in Loop: Header=BB117_2 Depth=1
	ds_read_u8 v76, v73 offset:1
	s_waitcnt lgkmcnt(1)
	v_mov_b32_e32 v75, v72
.LBB117_126:                            ;   in Loop: Header=BB117_2 Depth=1
	s_or_b64 exec, exec, s[20:21]
	v_add_u32_e32 v78, 1, v74
	v_add_u32_e32 v77, 1, v73
	v_cndmask_b32_e64 v78, v78, v74, s[18:19]
	v_cndmask_b32_e64 v77, v73, v77, s[18:19]
	v_cmp_ge_i32_e64 s[22:23], v78, v52
	s_waitcnt lgkmcnt(0)
	v_cmp_lt_u16_sdwa s[24:25], v76, v75 src0_sel:BYTE_0 src1_sel:BYTE_0
	v_cmp_lt_i32_e64 s[20:21], v77, v53
	s_or_b64 s[22:23], s[22:23], s[24:25]
	s_and_b64 s[20:21], s[20:21], s[22:23]
	s_xor_b64 s[22:23], s[20:21], -1
                                        ; implicit-def: $vgpr79
	s_and_saveexec_b64 s[24:25], s[22:23]
	s_xor_b64 s[22:23], exec, s[24:25]
	s_cbranch_execz .LBB117_128
; %bb.127:                              ;   in Loop: Header=BB117_2 Depth=1
	ds_read_u8 v79, v78 offset:1
.LBB117_128:                            ;   in Loop: Header=BB117_2 Depth=1
	s_or_saveexec_b64 s[22:23], s[22:23]
	v_mov_b32_e32 v80, v76
	s_xor_b64 exec, exec, s[22:23]
	s_cbranch_execz .LBB117_130
; %bb.129:                              ;   in Loop: Header=BB117_2 Depth=1
	ds_read_u8 v80, v77 offset:1
	s_waitcnt lgkmcnt(1)
	v_mov_b32_e32 v79, v75
.LBB117_130:                            ;   in Loop: Header=BB117_2 Depth=1
	s_or_b64 exec, exec, s[22:23]
	v_add_u32_e32 v81, 1, v78
	v_cndmask_b32_e64 v75, v75, v76, s[20:21]
	v_add_u32_e32 v76, 1, v77
	v_cndmask_b32_e64 v81, v81, v78, s[20:21]
	v_cndmask_b32_e64 v76, v77, v76, s[20:21]
	v_cndmask_b32_e64 v77, v78, v77, s[20:21]
	v_cndmask_b32_e64 v71, v72, v71, s[18:19]
	v_cndmask_b32_e64 v72, v74, v73, s[18:19]
	v_cmp_ge_i32_e64 s[18:19], v81, v52
	s_waitcnt lgkmcnt(0)
	v_cmp_lt_u16_sdwa s[20:21], v80, v79 src0_sel:BYTE_0 src1_sel:BYTE_0
	v_cndmask_b32_e64 v69, v69, v70, s[16:17]
	v_cndmask_b32_e64 v67, v67, v68, s[16:17]
	v_cmp_lt_i32_e64 s[16:17], v76, v53
	s_or_b64 s[18:19], s[18:19], s[20:21]
	s_and_b64 s[16:17], s[16:17], s[18:19]
	v_cndmask_b32_e64 v70, v81, v76, s[16:17]
	s_barrier
	ds_write_b8 v2, v64
	ds_write_b8 v2, v65 offset:1
	ds_write_b8 v2, v66 offset:2
	;; [unrolled: 1-line block ×3, first 2 shown]
	s_waitcnt lgkmcnt(0)
	s_barrier
	ds_read_u8 v63, v70
	ds_read_u8 v64, v67
	;; [unrolled: 1-line block ×4, first 2 shown]
	v_mov_b32_e32 v67, v56
	v_cndmask_b32_e64 v68, v79, v80, s[16:17]
	s_waitcnt lgkmcnt(0)
	s_barrier
	ds_write_b8 v2, v69
	ds_write_b8 v2, v71 offset:1
	ds_write_b8 v2, v75 offset:2
	;; [unrolled: 1-line block ×3, first 2 shown]
	s_waitcnt lgkmcnt(0)
	s_barrier
	s_and_saveexec_b64 s[18:19], s[14:15]
	s_cbranch_execz .LBB117_134
; %bb.131:                              ;   in Loop: Header=BB117_2 Depth=1
	s_mov_b64 s[20:21], 0
	v_mov_b32_e32 v67, v56
	v_mov_b32_e32 v68, v57
.LBB117_132:                            ;   Parent Loop BB117_2 Depth=1
                                        ; =>  This Inner Loop Header: Depth=2
	v_sub_u32_e32 v69, v68, v67
	v_lshrrev_b32_e32 v70, 31, v69
	v_add_u32_e32 v69, v69, v70
	v_ashrrev_i32_e32 v69, 1, v69
	v_add_u32_e32 v69, v69, v67
	v_not_b32_e32 v70, v69
	v_add3_u32 v70, v2, v70, v49
	ds_read_u8 v71, v69
	ds_read_u8 v70, v70
	v_add_u32_e32 v72, 1, v69
	s_waitcnt lgkmcnt(0)
	v_cmp_lt_u16_e64 s[16:17], v70, v71
	s_nop 1
	v_cndmask_b32_e64 v68, v68, v69, s[16:17]
	v_cndmask_b32_e64 v67, v72, v67, s[16:17]
	v_cmp_ge_i32_e64 s[16:17], v67, v68
	s_or_b64 s[20:21], s[16:17], s[20:21]
	s_andn2_b64 exec, exec, s[20:21]
	s_cbranch_execnz .LBB117_132
; %bb.133:                              ;   in Loop: Header=BB117_2 Depth=1
	s_or_b64 exec, exec, s[20:21]
.LBB117_134:                            ;   in Loop: Header=BB117_2 Depth=1
	s_or_b64 exec, exec, s[18:19]
	v_sub_u32_e32 v68, v62, v67
	ds_read_u8 v69, v67
	ds_read_u8 v70, v68
	v_cmp_le_i32_e64 s[18:19], v49, v67
	v_cmp_gt_i32_e64 s[16:17], s47, v68
                                        ; implicit-def: $vgpr71
                                        ; implicit-def: $vgpr72
	s_waitcnt lgkmcnt(0)
	v_cmp_lt_u16_sdwa s[20:21], v70, v69 src0_sel:BYTE_0 src1_sel:BYTE_0
	s_or_b64 s[18:19], s[18:19], s[20:21]
	s_and_b64 s[16:17], s[16:17], s[18:19]
	s_xor_b64 s[18:19], s[16:17], -1
	s_and_saveexec_b64 s[20:21], s[18:19]
	s_xor_b64 s[18:19], exec, s[20:21]
	s_cbranch_execz .LBB117_136
; %bb.135:                              ;   in Loop: Header=BB117_2 Depth=1
	ds_read_u8 v72, v67 offset:1
	v_mov_b32_e32 v71, v70
.LBB117_136:                            ;   in Loop: Header=BB117_2 Depth=1
	s_andn2_saveexec_b64 s[18:19], s[18:19]
	s_cbranch_execz .LBB117_138
; %bb.137:                              ;   in Loop: Header=BB117_2 Depth=1
	ds_read_u8 v71, v68 offset:1
	s_waitcnt lgkmcnt(1)
	v_mov_b32_e32 v72, v69
.LBB117_138:                            ;   in Loop: Header=BB117_2 Depth=1
	s_or_b64 exec, exec, s[18:19]
	v_add_u32_e32 v74, 1, v67
	v_add_u32_e32 v73, 1, v68
	v_cndmask_b32_e64 v74, v74, v67, s[16:17]
	v_cndmask_b32_e64 v73, v68, v73, s[16:17]
	v_cmp_ge_i32_e64 s[20:21], v74, v49
	s_waitcnt lgkmcnt(0)
	v_cmp_lt_u16_sdwa s[22:23], v71, v72 src0_sel:BYTE_0 src1_sel:BYTE_0
	v_cmp_gt_i32_e64 s[18:19], s47, v73
	s_or_b64 s[20:21], s[20:21], s[22:23]
	s_and_b64 s[18:19], s[18:19], s[20:21]
	s_xor_b64 s[20:21], s[18:19], -1
                                        ; implicit-def: $vgpr75
	s_and_saveexec_b64 s[22:23], s[20:21]
	s_xor_b64 s[20:21], exec, s[22:23]
	s_cbranch_execz .LBB117_140
; %bb.139:                              ;   in Loop: Header=BB117_2 Depth=1
	ds_read_u8 v75, v74 offset:1
.LBB117_140:                            ;   in Loop: Header=BB117_2 Depth=1
	s_or_saveexec_b64 s[20:21], s[20:21]
	v_mov_b32_e32 v76, v71
	s_xor_b64 exec, exec, s[20:21]
	s_cbranch_execz .LBB117_142
; %bb.141:                              ;   in Loop: Header=BB117_2 Depth=1
	ds_read_u8 v76, v73 offset:1
	s_waitcnt lgkmcnt(1)
	v_mov_b32_e32 v75, v72
.LBB117_142:                            ;   in Loop: Header=BB117_2 Depth=1
	s_or_b64 exec, exec, s[20:21]
	v_add_u32_e32 v78, 1, v74
	v_add_u32_e32 v77, 1, v73
	v_cndmask_b32_e64 v81, v78, v74, s[18:19]
	v_cndmask_b32_e64 v77, v73, v77, s[18:19]
	v_cmp_ge_i32_e64 s[22:23], v81, v49
	s_waitcnt lgkmcnt(0)
	v_cmp_lt_u16_sdwa s[24:25], v76, v75 src0_sel:BYTE_0 src1_sel:BYTE_0
	v_cmp_gt_i32_e64 s[20:21], s47, v77
	s_or_b64 s[22:23], s[22:23], s[24:25]
	s_and_b64 s[20:21], s[20:21], s[22:23]
	s_xor_b64 s[22:23], s[20:21], -1
                                        ; implicit-def: $vgpr79
                                        ; implicit-def: $vgpr78
	s_and_saveexec_b64 s[24:25], s[22:23]
	s_xor_b64 s[22:23], exec, s[24:25]
	s_cbranch_execz .LBB117_144
; %bb.143:                              ;   in Loop: Header=BB117_2 Depth=1
	ds_read_u8 v79, v81 offset:1
	v_add_u32_e32 v78, 1, v81
.LBB117_144:                            ;   in Loop: Header=BB117_2 Depth=1
	s_or_saveexec_b64 s[22:23], s[22:23]
	v_mov_b32_e32 v80, v81
	v_mov_b32_e32 v82, v76
	s_xor_b64 exec, exec, s[22:23]
	s_cbranch_execz .LBB117_1
; %bb.145:                              ;   in Loop: Header=BB117_2 Depth=1
	ds_read_u8 v82, v77 offset:1
	s_waitcnt lgkmcnt(1)
	v_add_u32_e32 v79, 1, v77
	v_mov_b32_e32 v80, v77
	v_mov_b32_e32 v78, v81
	;; [unrolled: 1-line block ×4, first 2 shown]
	s_branch .LBB117_1
.LBB117_146:
	s_add_u32 s0, s38, s33
	s_addc_u32 s1, s39, 0
	v_add_u16_e32 v2, v69, v68
	v_lshl_add_u64 v[0:1], s[0:1], 0, v[0:1]
	v_add_u16_e32 v3, v70, v72
	v_add_u16_e32 v4, v71, v65
	;; [unrolled: 1-line block ×3, first 2 shown]
	global_store_byte v[0:1], v2, off
	global_store_byte v[0:1], v3, off offset:512
	global_store_byte v[0:1], v4, off offset:1024
	;; [unrolled: 1-line block ×3, first 2 shown]
	s_endpgm
	.section	.rodata,"a",@progbits
	.p2align	6, 0x0
	.amdhsa_kernel _Z17sort_pairs_kernelIhLj512ELj4EN10test_utils4lessELj10EEvPKT_PS2_T2_
		.amdhsa_group_segment_fixed_size 2049
		.amdhsa_private_segment_fixed_size 0
		.amdhsa_kernarg_size 20
		.amdhsa_user_sgpr_count 2
		.amdhsa_user_sgpr_dispatch_ptr 0
		.amdhsa_user_sgpr_queue_ptr 0
		.amdhsa_user_sgpr_kernarg_segment_ptr 1
		.amdhsa_user_sgpr_dispatch_id 0
		.amdhsa_user_sgpr_kernarg_preload_length 0
		.amdhsa_user_sgpr_kernarg_preload_offset 0
		.amdhsa_user_sgpr_private_segment_size 0
		.amdhsa_uses_dynamic_stack 0
		.amdhsa_enable_private_segment 0
		.amdhsa_system_sgpr_workgroup_id_x 1
		.amdhsa_system_sgpr_workgroup_id_y 0
		.amdhsa_system_sgpr_workgroup_id_z 0
		.amdhsa_system_sgpr_workgroup_info 0
		.amdhsa_system_vgpr_workitem_id 0
		.amdhsa_next_free_vgpr 83
		.amdhsa_next_free_sgpr 50
		.amdhsa_accum_offset 84
		.amdhsa_reserve_vcc 1
		.amdhsa_float_round_mode_32 0
		.amdhsa_float_round_mode_16_64 0
		.amdhsa_float_denorm_mode_32 3
		.amdhsa_float_denorm_mode_16_64 3
		.amdhsa_dx10_clamp 1
		.amdhsa_ieee_mode 1
		.amdhsa_fp16_overflow 0
		.amdhsa_tg_split 0
		.amdhsa_exception_fp_ieee_invalid_op 0
		.amdhsa_exception_fp_denorm_src 0
		.amdhsa_exception_fp_ieee_div_zero 0
		.amdhsa_exception_fp_ieee_overflow 0
		.amdhsa_exception_fp_ieee_underflow 0
		.amdhsa_exception_fp_ieee_inexact 0
		.amdhsa_exception_int_div_zero 0
	.end_amdhsa_kernel
	.section	.text._Z17sort_pairs_kernelIhLj512ELj4EN10test_utils4lessELj10EEvPKT_PS2_T2_,"axG",@progbits,_Z17sort_pairs_kernelIhLj512ELj4EN10test_utils4lessELj10EEvPKT_PS2_T2_,comdat
.Lfunc_end117:
	.size	_Z17sort_pairs_kernelIhLj512ELj4EN10test_utils4lessELj10EEvPKT_PS2_T2_, .Lfunc_end117-_Z17sort_pairs_kernelIhLj512ELj4EN10test_utils4lessELj10EEvPKT_PS2_T2_
                                        ; -- End function
	.section	.AMDGPU.csdata,"",@progbits
; Kernel info:
; codeLenInByte = 7988
; NumSgprs: 56
; NumVgprs: 83
; NumAgprs: 0
; TotalNumVgprs: 83
; ScratchSize: 0
; MemoryBound: 0
; FloatMode: 240
; IeeeMode: 1
; LDSByteSize: 2049 bytes/workgroup (compile time only)
; SGPRBlocks: 6
; VGPRBlocks: 10
; NumSGPRsForWavesPerEU: 56
; NumVGPRsForWavesPerEU: 83
; AccumOffset: 84
; Occupancy: 5
; WaveLimiterHint : 1
; COMPUTE_PGM_RSRC2:SCRATCH_EN: 0
; COMPUTE_PGM_RSRC2:USER_SGPR: 2
; COMPUTE_PGM_RSRC2:TRAP_HANDLER: 0
; COMPUTE_PGM_RSRC2:TGID_X_EN: 1
; COMPUTE_PGM_RSRC2:TGID_Y_EN: 0
; COMPUTE_PGM_RSRC2:TGID_Z_EN: 0
; COMPUTE_PGM_RSRC2:TIDIG_COMP_CNT: 0
; COMPUTE_PGM_RSRC3_GFX90A:ACCUM_OFFSET: 20
; COMPUTE_PGM_RSRC3_GFX90A:TG_SPLIT: 0
	.section	.text._Z16sort_keys_kernelIhLj512ELj8EN10test_utils4lessELj10EEvPKT_PS2_T2_,"axG",@progbits,_Z16sort_keys_kernelIhLj512ELj8EN10test_utils4lessELj10EEvPKT_PS2_T2_,comdat
	.protected	_Z16sort_keys_kernelIhLj512ELj8EN10test_utils4lessELj10EEvPKT_PS2_T2_ ; -- Begin function _Z16sort_keys_kernelIhLj512ELj8EN10test_utils4lessELj10EEvPKT_PS2_T2_
	.globl	_Z16sort_keys_kernelIhLj512ELj8EN10test_utils4lessELj10EEvPKT_PS2_T2_
	.p2align	8
	.type	_Z16sort_keys_kernelIhLj512ELj8EN10test_utils4lessELj10EEvPKT_PS2_T2_,@function
_Z16sort_keys_kernelIhLj512ELj8EN10test_utils4lessELj10EEvPKT_PS2_T2_: ; @_Z16sort_keys_kernelIhLj512ELj8EN10test_utils4lessELj10EEvPKT_PS2_T2_
; %bb.0:
	s_load_dwordx4 s[36:39], s[0:1], 0x0
	s_lshl_b32 s33, s2, 12
	v_lshlrev_b32_e32 v2, 3, v0
	v_and_b32_e32 v31, 0xf00, v2
	v_or_b32_e32 v33, 0x80, v31
	s_waitcnt lgkmcnt(0)
	s_add_u32 s0, s36, s33
	s_addc_u32 s1, s37, 0
	global_load_ubyte v52, v0, s[0:1]
	global_load_ubyte v53, v0, s[0:1] offset:512
	global_load_ubyte v54, v0, s[0:1] offset:1024
	;; [unrolled: 1-line block ×7, first 2 shown]
	v_add_u32_e32 v34, 0x100, v31
	v_and_b32_e32 v32, 0xf8, v2
	v_sub_u32_e32 v35, v34, v33
	v_sub_u32_e32 v37, v32, v35
	v_cmp_ge_i32_e64 s[6:7], v32, v35
	v_and_b32_e32 v38, 0x1f8, v2
	v_and_b32_e32 v50, 0x800, v2
	v_cndmask_b32_e64 v35, 0, v37, s[6:7]
	v_and_b32_e32 v37, 0xe00, v2
	v_or_b32_e32 v39, 0x100, v37
	v_add_u32_e32 v40, 0x200, v37
	v_sub_u32_e32 v41, v40, v39
	v_sub_u32_e32 v43, v38, v41
	v_cmp_ge_i32_e64 s[8:9], v38, v41
	v_and_b32_e32 v3, 0xff0, v2
	v_and_b32_e32 v10, 0xfe0, v2
	v_cndmask_b32_e64 v41, 0, v43, s[8:9]
	v_and_b32_e32 v43, 0xc00, v2
	v_and_b32_e32 v17, 0xfc0, v2
	;; [unrolled: 1-line block ×3, first 2 shown]
	v_or_b32_e32 v45, 0x200, v43
	v_add_u32_e32 v46, 0x400, v43
	v_and_b32_e32 v51, 0x7f8, v2
	v_or_b32_e32 v5, 8, v3
	v_add_u32_e32 v6, 16, v3
	v_or_b32_e32 v12, 16, v10
	v_add_u32_e32 v13, 32, v10
	;; [unrolled: 2-line block ×4, first 2 shown]
	v_and_b32_e32 v44, 0x3f8, v2
	v_sub_u32_e32 v47, v46, v45
	v_and_b32_e32 v4, 8, v2
	v_sub_u32_e32 v7, v6, v5
	;; [unrolled: 2-line block ×5, first 2 shown]
	v_sub_u32_e32 v49, v44, v47
	v_cmp_ge_i32_e64 s[10:11], v44, v47
	v_sub_u32_e32 v8, v5, v3
	v_sub_u32_e32 v9, v4, v7
	v_cmp_ge_i32_e32 vcc, v4, v7
	v_sub_u32_e32 v15, v12, v10
	v_sub_u32_e32 v16, v11, v14
	v_cmp_ge_i32_e64 s[0:1], v11, v14
	v_sub_u32_e32 v22, v19, v17
	v_sub_u32_e32 v23, v18, v21
	v_cmp_ge_i32_e64 s[2:3], v18, v21
	;; [unrolled: 3-line block ×3, first 2 shown]
	v_sub_u32_e32 v36, v33, v31
	v_sub_u32_e32 v42, v39, v37
	;; [unrolled: 1-line block ×3, first 2 shown]
	v_cndmask_b32_e64 v47, 0, v49, s[10:11]
	v_mov_b32_e32 v49, 0x800
	v_cndmask_b32_e32 v7, 0, v9, vcc
	v_min_i32_e32 v8, v4, v8
	v_cndmask_b32_e64 v14, 0, v16, s[0:1]
	v_min_i32_e32 v15, v11, v15
	v_cndmask_b32_e64 v21, 0, v23, s[2:3]
	;; [unrolled: 2-line block ×3, first 2 shown]
	v_min_i32_e32 v29, v25, v29
	v_min_i32_e32 v36, v32, v36
	;; [unrolled: 1-line block ×4, first 2 shown]
	s_mov_b32 s34, 0
	v_mov_b32_e32 v1, 0
	s_waitcnt vmcnt(6)
	v_lshlrev_b16_e32 v53, 8, v53
	v_or_b32_e32 v60, v52, v53
	s_waitcnt vmcnt(4)
	v_lshlrev_b16_e32 v53, 8, v55
	v_or_b32_e32 v52, 0x400, v50
	v_or_b32_sdwa v54, v54, v53 dst_sel:WORD_1 dst_unused:UNUSED_PAD src0_sel:DWORD src1_sel:DWORD
	v_add_u32_e32 v53, 0x800, v50
	v_or_b32_sdwa v63, v60, v54 dst_sel:DWORD dst_unused:UNUSED_PAD src0_sel:WORD_0 src1_sel:DWORD
	v_sub_u32_e32 v54, v53, v52
	s_waitcnt vmcnt(2)
	v_lshlrev_b16_e32 v55, 8, v57
	v_or_b32_e32 v57, v56, v55
	v_sub_u32_e32 v55, v51, v54
	v_sub_u32_e32 v56, v52, v50
	v_cmp_ge_i32_e64 s[12:13], v51, v54
	v_cmp_lt_i32_e32 vcc, v7, v8
	v_add_u32_e32 v9, v5, v4
	v_cndmask_b32_e64 v54, 0, v55, s[12:13]
	v_min_i32_e32 v55, v51, v56
	s_waitcnt vmcnt(0)
	v_lshlrev_b16_e32 v56, 8, v59
	v_or_b32_sdwa v58, v58, v56 dst_sel:WORD_1 dst_unused:UNUSED_PAD src0_sel:DWORD src1_sel:DWORD
	v_sub_u32_e64 v56, v2, v49 clamp
	v_or_b32_sdwa v64, v57, v58 dst_sel:DWORD dst_unused:UNUSED_PAD src0_sel:WORD_0 src1_sel:DWORD
	v_min_i32_e32 v57, 0x800, v2
	v_cmp_lt_i32_e64 s[0:1], v14, v15
	v_add_u32_e32 v16, v12, v11
	v_cmp_lt_i32_e64 s[2:3], v21, v22
	v_add_u32_e32 v23, v19, v18
	;; [unrolled: 2-line block ×3, first 2 shown]
	v_cmp_lt_i32_e64 s[6:7], v35, v36
	v_cmp_lt_i32_e64 s[8:9], v41, v42
	v_cmp_lt_i32_e64 s[10:11], v47, v48
	v_cmp_lt_i32_e64 s[12:13], v54, v55
	v_cmp_lt_i32_e64 s[14:15], v56, v57
	s_mov_b32 s35, 0xffff
	s_mov_b32 s36, 0x7060405
	s_movk_i32 s37, 0xff
	s_mov_b32 s40, 0xc0c0001
	s_mov_b32 s41, 0x6070504
	s_movk_i32 s42, 0xff00
	s_mov_b32 s43, 0xffff0000
	s_movk_i32 s44, 0x1000
	v_add_u32_e32 v58, v33, v32
	v_add_u32_e32 v59, v39, v38
	;; [unrolled: 1-line block ×5, first 2 shown]
	s_branch .LBB118_2
.LBB118_1:                              ;   in Loop: Header=BB118_2 Depth=1
	s_or_b64 exec, exec, s[30:31]
	v_cndmask_b32_e64 v65, v66, v65, s[18:19]
	v_cndmask_b32_e64 v66, v67, v68, s[20:21]
	v_cmp_ge_i32_e64 s[18:19], v79, v49
	s_waitcnt lgkmcnt(0)
	v_cmp_lt_u16_sdwa s[20:21], v81, v78 src0_sel:BYTE_0 src1_sel:BYTE_0
	v_cndmask_b32_e64 v80, v63, v64, s[16:17]
	v_cndmask_b32_e64 v67, v69, v70, s[22:23]
	v_cmp_gt_i32_e64 s[16:17], s44, v77
	s_or_b64 s[18:19], s[18:19], s[20:21]
	s_and_b64 s[16:17], s[16:17], s[18:19]
	v_lshlrev_b16_e32 v63, 8, v65
	v_lshlrev_b16_e32 v64, 8, v67
	v_cndmask_b32_e64 v68, v71, v72, s[24:25]
	v_cndmask_b32_e64 v69, v73, v74, s[26:27]
	;; [unrolled: 1-line block ×3, first 2 shown]
	v_or_b32_sdwa v63, v80, v63 dst_sel:DWORD dst_unused:UNUSED_PAD src0_sel:BYTE_0 src1_sel:DWORD
	v_or_b32_sdwa v64, v66, v64 dst_sel:WORD_1 dst_unused:UNUSED_PAD src0_sel:BYTE_0 src1_sel:DWORD
	v_cndmask_b32_e64 v70, v75, v76, s[28:29]
	v_or_b32_sdwa v63, v63, v64 dst_sel:DWORD dst_unused:UNUSED_PAD src0_sel:WORD_0 src1_sel:DWORD
	v_lshlrev_b16_e32 v64, 8, v69
	v_lshlrev_b16_e32 v72, 8, v71
	s_add_i32 s34, s34, 1
	v_or_b32_sdwa v64, v68, v64 dst_sel:DWORD dst_unused:UNUSED_PAD src0_sel:BYTE_0 src1_sel:DWORD
	v_or_b32_sdwa v72, v70, v72 dst_sel:WORD_1 dst_unused:UNUSED_PAD src0_sel:BYTE_0 src1_sel:DWORD
	s_cmp_eq_u32 s34, 10
	v_or_b32_sdwa v64, v64, v72 dst_sel:DWORD dst_unused:UNUSED_PAD src0_sel:WORD_0 src1_sel:DWORD
	s_cbranch_scc1 .LBB118_290
.LBB118_2:                              ; =>This Loop Header: Depth=1
                                        ;     Child Loop BB118_4 Depth 2
                                        ;     Child Loop BB118_36 Depth 2
	;; [unrolled: 1-line block ×9, first 2 shown]
	v_lshrrev_b32_e32 v66, 8, v63
	v_perm_b32 v65, v63, v63, s36
	v_cmp_lt_u16_sdwa s[16:17], v66, v63 src0_sel:BYTE_0 src1_sel:BYTE_0
	v_min_u16_sdwa v69, v66, v63 dst_sel:DWORD dst_unused:UNUSED_PAD src0_sel:BYTE_0 src1_sel:BYTE_0
	s_nop 0
	v_cndmask_b32_e64 v65, v63, v65, s[16:17]
	v_lshrrev_b32_e32 v67, 16, v65
	v_perm_b32 v68, 0, v67, s40
	v_max_u16_sdwa v63, v66, v63 dst_sel:DWORD dst_unused:UNUSED_PAD src0_sel:BYTE_0 src1_sel:BYTE_0
	v_lshlrev_b32_e32 v66, 16, v68
	v_and_or_b32 v66, v65, s35, v66
	v_cmp_lt_u16_sdwa s[16:17], v65, v67 src0_sel:BYTE_3 src1_sel:BYTE_0
	v_max_u16_sdwa v70, v65, v67 dst_sel:DWORD dst_unused:UNUSED_PAD src0_sel:BYTE_3 src1_sel:BYTE_0
	v_perm_b32 v68, v64, v64, s36
	v_cndmask_b32_e64 v66, v65, v66, s[16:17]
	v_min_u16_sdwa v65, v65, v67 dst_sel:DWORD dst_unused:UNUSED_PAD src0_sel:BYTE_3 src1_sel:BYTE_0
	v_lshrrev_b32_e32 v67, 8, v64
	v_cmp_lt_u16_sdwa s[16:17], v67, v64 src0_sel:BYTE_0 src1_sel:BYTE_0
	v_max_u16_sdwa v71, v67, v64 dst_sel:DWORD dst_unused:UNUSED_PAD src0_sel:BYTE_0 src1_sel:BYTE_0
	v_and_b32_sdwa v73, v66, s42 dst_sel:DWORD dst_unused:UNUSED_PAD src0_sel:WORD_1 src1_sel:DWORD
	v_cndmask_b32_e64 v68, v64, v68, s[16:17]
	v_min_u16_sdwa v64, v67, v64 dst_sel:DWORD dst_unused:UNUSED_PAD src0_sel:BYTE_0 src1_sel:BYTE_0
	v_and_b32_sdwa v67, v68, s37 dst_sel:DWORD dst_unused:UNUSED_PAD src0_sel:WORD_1 src1_sel:DWORD
	v_perm_b32 v72, v68, v68, s41
	v_cmp_lt_u16_sdwa s[16:17], v68, v67 src0_sel:BYTE_3 src1_sel:DWORD
	v_max_u16_sdwa v74, v68, v67 dst_sel:DWORD dst_unused:UNUSED_PAD src0_sel:BYTE_3 src1_sel:DWORD
	v_min_u16_sdwa v67, v68, v67 dst_sel:DWORD dst_unused:UNUSED_PAD src0_sel:BYTE_3 src1_sel:DWORD
	v_cndmask_b32_e64 v72, v68, v72, s[16:17]
	v_lshlrev_b16_e32 v68, 8, v65
	v_or_b32_sdwa v73, v63, v73 dst_sel:WORD_1 dst_unused:UNUSED_PAD src0_sel:DWORD src1_sel:DWORD
	v_or_b32_sdwa v68, v66, v68 dst_sel:DWORD dst_unused:UNUSED_PAD src0_sel:BYTE_0 src1_sel:DWORD
	v_or_b32_sdwa v68, v68, v73 dst_sel:DWORD dst_unused:UNUSED_PAD src0_sel:WORD_0 src1_sel:DWORD
	v_cmp_lt_u16_e64 s[16:17], v65, v63
	v_and_b32_e32 v73, 0xffffff00, v72
	v_or_b32_e32 v73, v70, v73
	v_cndmask_b32_e64 v66, v66, v68, s[16:17]
	v_and_b32_sdwa v68, v66, s37 dst_sel:DWORD dst_unused:UNUSED_PAD src0_sel:WORD_1 src1_sel:DWORD
	v_lshlrev_b16_e32 v76, 8, v64
	v_and_b32_e32 v73, 0xffff, v73
	v_or_b32_sdwa v68, v68, v76 dst_sel:WORD_1 dst_unused:UNUSED_PAD src0_sel:DWORD src1_sel:DWORD
	v_and_or_b32 v73, v72, s43, v73
	v_and_or_b32 v68, v66, s35, v68
	v_cmp_lt_u16_e64 s[16:17], v64, v70
	v_max_u16_e32 v75, v65, v63
	v_min_u16_e32 v63, v65, v63
	v_cndmask_b32_e64 v66, v66, v68, s[16:17]
	v_cndmask_b32_e64 v68, v72, v73, s[16:17]
	v_and_b32_sdwa v72, v68, s42 dst_sel:DWORD dst_unused:UNUSED_PAD src0_sel:WORD_1 src1_sel:DWORD
	v_max_u16_e32 v73, v64, v70
	v_min_u16_e32 v64, v64, v70
	v_lshlrev_b16_e32 v70, 8, v67
	v_or_b32_sdwa v72, v71, v72 dst_sel:WORD_1 dst_unused:UNUSED_PAD src0_sel:DWORD src1_sel:DWORD
	v_or_b32_sdwa v70, v68, v70 dst_sel:DWORD dst_unused:UNUSED_PAD src0_sel:BYTE_0 src1_sel:DWORD
	v_or_b32_sdwa v70, v70, v72 dst_sel:DWORD dst_unused:UNUSED_PAD src0_sel:WORD_0 src1_sel:DWORD
	v_lshlrev_b16_e32 v72, 8, v69
	v_or_b32_e32 v72, v63, v72
	v_and_b32_e32 v72, 0xffff, v72
	v_cmp_lt_u16_e64 s[16:17], v67, v71
	v_and_or_b32 v72, v66, s43, v72
	s_barrier
	v_cndmask_b32_e64 v68, v68, v70, s[16:17]
	v_cmp_lt_u16_e64 s[16:17], v65, v69
	v_max_u16_e32 v70, v67, v71
	v_min_u16_e32 v67, v67, v71
	v_cndmask_b32_e64 v65, v66, v72, s[16:17]
	v_cndmask_b32_e64 v66, v69, v63, s[16:17]
	;; [unrolled: 1-line block ×3, first 2 shown]
	v_lshlrev_b16_e32 v69, 8, v75
	v_or_b32_sdwa v69, v64, v69 dst_sel:WORD_1 dst_unused:UNUSED_PAD src0_sel:DWORD src1_sel:DWORD
	v_cmp_lt_u16_e64 s[16:17], v64, v75
	v_and_or_b32 v69, v65, s35, v69
	v_max_u16_e32 v72, v64, v75
	v_cndmask_b32_e64 v65, v65, v69, s[16:17]
	v_lshlrev_b16_e32 v69, 8, v73
	v_or_b32_e32 v69, v67, v69
	v_and_b32_e32 v69, 0xffff, v69
	v_and_or_b32 v69, v68, s43, v69
	v_cmp_lt_u16_e64 s[16:17], v67, v73
	v_min_u16_e32 v64, v64, v75
	v_and_b32_sdwa v75, v65, s42 dst_sel:DWORD dst_unused:UNUSED_PAD src0_sel:WORD_1 src1_sel:DWORD
	v_cndmask_b32_e64 v68, v68, v69, s[16:17]
	v_max_u16_e32 v69, v67, v73
	v_min_u16_e32 v67, v67, v73
	v_lshlrev_b16_e32 v73, 8, v70
	v_or_b32_sdwa v73, v74, v73 dst_sel:WORD_1 dst_unused:UNUSED_PAD src0_sel:DWORD src1_sel:DWORD
	v_cmp_gt_u16_e64 s[16:17], v71, v74
	v_and_or_b32 v73, v68, s35, v73
	v_or_b32_sdwa v75, v63, v75 dst_sel:WORD_1 dst_unused:UNUSED_PAD src0_sel:DWORD src1_sel:DWORD
	v_cndmask_b32_e64 v68, v68, v73, s[16:17]
	v_lshlrev_b16_e32 v73, 8, v64
	v_or_b32_sdwa v73, v65, v73 dst_sel:DWORD dst_unused:UNUSED_PAD src0_sel:BYTE_0 src1_sel:DWORD
	v_cndmask_b32_e64 v71, v74, v70, s[16:17]
	v_cndmask_b32_e64 v70, v70, v74, s[16:17]
	v_or_b32_sdwa v73, v73, v75 dst_sel:DWORD dst_unused:UNUSED_PAD src0_sel:WORD_0 src1_sel:DWORD
	v_cmp_lt_u16_e64 s[16:17], v64, v63
	v_and_b32_e32 v74, 0xffffff00, v68
	v_or_b32_e32 v74, v72, v74
	v_cndmask_b32_e64 v65, v65, v73, s[16:17]
	v_and_b32_sdwa v73, v65, s37 dst_sel:DWORD dst_unused:UNUSED_PAD src0_sel:WORD_1 src1_sel:DWORD
	v_max_u16_e32 v75, v64, v63
	v_min_u16_e32 v63, v64, v63
	v_lshlrev_b16_e32 v64, 8, v67
	v_and_b32_e32 v74, 0xffff, v74
	v_or_b32_sdwa v64, v73, v64 dst_sel:WORD_1 dst_unused:UNUSED_PAD src0_sel:DWORD src1_sel:DWORD
	v_and_or_b32 v74, v68, s43, v74
	v_and_or_b32 v64, v65, s35, v64
	v_cmp_lt_u16_e64 s[16:17], v67, v72
	v_max_u16_e32 v73, v67, v72
	v_min_u16_e32 v67, v67, v72
	v_cndmask_b32_e64 v64, v65, v64, s[16:17]
	v_cndmask_b32_e64 v65, v68, v74, s[16:17]
	v_and_b32_sdwa v68, v65, s42 dst_sel:DWORD dst_unused:UNUSED_PAD src0_sel:WORD_1 src1_sel:DWORD
	v_lshlrev_b16_e32 v72, 8, v70
	v_or_b32_sdwa v68, v69, v68 dst_sel:WORD_1 dst_unused:UNUSED_PAD src0_sel:DWORD src1_sel:DWORD
	v_or_b32_sdwa v72, v65, v72 dst_sel:DWORD dst_unused:UNUSED_PAD src0_sel:BYTE_0 src1_sel:DWORD
	v_or_b32_sdwa v68, v72, v68 dst_sel:DWORD dst_unused:UNUSED_PAD src0_sel:WORD_0 src1_sel:DWORD
	v_lshlrev_b16_e32 v72, 8, v66
	v_or_b32_e32 v72, v63, v72
	v_and_b32_e32 v72, 0xffff, v72
	v_cmp_lt_u16_e64 s[16:17], v70, v69
	v_and_or_b32 v72, v64, s43, v72
	s_nop 0
	v_cndmask_b32_e64 v65, v65, v68, s[16:17]
	v_max_u16_e32 v68, v70, v69
	v_min_u16_e32 v69, v70, v69
	v_cmp_lt_u16_e64 s[16:17], v63, v66
	v_min_u16_e32 v70, v63, v66
	v_max_u16_e32 v63, v63, v66
	v_lshlrev_b16_e32 v66, 8, v75
	v_cndmask_b32_e64 v64, v64, v72, s[16:17]
	v_or_b32_sdwa v66, v67, v66 dst_sel:WORD_1 dst_unused:UNUSED_PAD src0_sel:DWORD src1_sel:DWORD
	v_cmp_lt_u16_e64 s[16:17], v67, v75
	v_and_or_b32 v66, v64, s35, v66
	v_max_u16_e32 v72, v67, v75
	v_cndmask_b32_e64 v64, v64, v66, s[16:17]
	v_lshlrev_b16_e32 v66, 8, v73
	v_or_b32_e32 v66, v69, v66
	v_and_b32_e32 v66, 0xffff, v66
	v_and_or_b32 v66, v65, s43, v66
	v_cmp_lt_u16_e64 s[16:17], v69, v73
	v_min_u16_e32 v67, v67, v75
	v_and_b32_sdwa v74, v64, s42 dst_sel:DWORD dst_unused:UNUSED_PAD src0_sel:WORD_1 src1_sel:DWORD
	v_cndmask_b32_e64 v65, v65, v66, s[16:17]
	v_max_u16_e32 v66, v69, v73
	v_min_u16_e32 v69, v69, v73
	v_lshlrev_b16_e32 v73, 8, v68
	v_or_b32_sdwa v73, v71, v73 dst_sel:WORD_1 dst_unused:UNUSED_PAD src0_sel:DWORD src1_sel:DWORD
	v_cmp_lt_u16_e64 s[16:17], v71, v68
	v_and_or_b32 v73, v65, s35, v73
	v_or_b32_sdwa v74, v63, v74 dst_sel:WORD_1 dst_unused:UNUSED_PAD src0_sel:DWORD src1_sel:DWORD
	v_cndmask_b32_e64 v65, v65, v73, s[16:17]
	v_max_u16_e32 v73, v71, v68
	v_min_u16_e32 v68, v71, v68
	v_lshlrev_b16_e32 v71, 8, v67
	v_or_b32_sdwa v71, v64, v71 dst_sel:DWORD dst_unused:UNUSED_PAD src0_sel:BYTE_0 src1_sel:DWORD
	v_or_b32_sdwa v71, v71, v74 dst_sel:DWORD dst_unused:UNUSED_PAD src0_sel:WORD_0 src1_sel:DWORD
	v_cmp_lt_u16_e64 s[16:17], v67, v63
	v_and_b32_e32 v74, 0xffffff00, v65
	v_or_b32_e32 v74, v72, v74
	v_cndmask_b32_e64 v64, v64, v71, s[16:17]
	v_and_b32_sdwa v71, v64, s37 dst_sel:DWORD dst_unused:UNUSED_PAD src0_sel:WORD_1 src1_sel:DWORD
	v_and_b32_e32 v74, 0xffff, v74
	v_lshlrev_b16_e32 v76, 8, v69
	v_and_or_b32 v74, v65, s43, v74
	v_or_b32_sdwa v71, v71, v76 dst_sel:WORD_1 dst_unused:UNUSED_PAD src0_sel:DWORD src1_sel:DWORD
	v_cmp_lt_u16_e64 s[16:17], v69, v72
	v_and_or_b32 v71, v64, s35, v71
	v_max_u16_e32 v75, v67, v63
	v_cndmask_b32_e64 v65, v65, v74, s[16:17]
	v_cndmask_b32_e64 v64, v64, v71, s[16:17]
	v_and_b32_sdwa v71, v65, s42 dst_sel:DWORD dst_unused:UNUSED_PAD src0_sel:WORD_1 src1_sel:DWORD
	v_max_u16_e32 v74, v69, v72
	v_min_u16_e32 v69, v69, v72
	v_lshlrev_b16_e32 v72, 8, v68
	v_or_b32_sdwa v71, v66, v71 dst_sel:WORD_1 dst_unused:UNUSED_PAD src0_sel:DWORD src1_sel:DWORD
	v_or_b32_sdwa v72, v65, v72 dst_sel:DWORD dst_unused:UNUSED_PAD src0_sel:BYTE_0 src1_sel:DWORD
	v_min_u16_e32 v63, v67, v63
	v_or_b32_sdwa v71, v72, v71 dst_sel:DWORD dst_unused:UNUSED_PAD src0_sel:WORD_0 src1_sel:DWORD
	v_lshlrev_b16_e32 v72, 8, v70
	v_or_b32_e32 v72, v63, v72
	v_and_b32_e32 v72, 0xffff, v72
	v_cmp_lt_u16_e64 s[16:17], v68, v66
	v_and_or_b32 v72, v64, s43, v72
	s_nop 0
	v_cndmask_b32_e64 v65, v65, v71, s[16:17]
	v_cmp_lt_u16_e64 s[16:17], v67, v70
	v_lshlrev_b16_e32 v67, 8, v75
	v_or_b32_sdwa v67, v69, v67 dst_sel:WORD_1 dst_unused:UNUSED_PAD src0_sel:DWORD src1_sel:DWORD
	v_cndmask_b32_e64 v64, v64, v72, s[16:17]
	v_cndmask_b32_e64 v63, v63, v70, s[16:17]
	v_and_or_b32 v67, v64, s35, v67
	v_cmp_lt_u16_e64 s[16:17], v69, v75
	v_max_u16_e32 v71, v68, v66
	v_min_u16_e32 v68, v68, v66
	v_cndmask_b32_e64 v64, v64, v67, s[16:17]
	v_lshlrev_b16_e32 v67, 8, v74
	v_or_b32_e32 v67, v68, v67
	v_and_b32_e32 v67, 0xffff, v67
	v_and_or_b32 v67, v65, s43, v67
	v_cmp_lt_u16_e64 s[16:17], v68, v74
	v_max_u16_e32 v70, v69, v75
	v_min_u16_e32 v69, v69, v75
	v_cndmask_b32_e64 v65, v65, v67, s[16:17]
	v_lshlrev_b16_e32 v72, 8, v71
	v_cmp_gt_u16_e64 s[16:17], v66, v73
	v_max_u16_e32 v67, v68, v74
	v_min_u16_e32 v68, v68, v74
	v_or_b32_sdwa v72, v73, v72 dst_sel:WORD_1 dst_unused:UNUSED_PAD src0_sel:DWORD src1_sel:DWORD
	v_and_b32_sdwa v74, v64, s42 dst_sel:DWORD dst_unused:UNUSED_PAD src0_sel:WORD_1 src1_sel:DWORD
	v_cndmask_b32_e64 v66, v71, v73, s[16:17]
	v_lshlrev_b16_e32 v71, 8, v69
	v_and_or_b32 v72, v65, s35, v72
	v_or_b32_sdwa v74, v63, v74 dst_sel:WORD_1 dst_unused:UNUSED_PAD src0_sel:DWORD src1_sel:DWORD
	v_or_b32_sdwa v71, v64, v71 dst_sel:DWORD dst_unused:UNUSED_PAD src0_sel:BYTE_0 src1_sel:DWORD
	v_cndmask_b32_e64 v65, v65, v72, s[16:17]
	v_or_b32_sdwa v71, v71, v74 dst_sel:DWORD dst_unused:UNUSED_PAD src0_sel:WORD_0 src1_sel:DWORD
	v_cmp_lt_u16_e64 s[16:17], v69, v63
	v_and_b32_e32 v69, 0xffffff00, v65
	v_or_b32_e32 v69, v70, v69
	v_cndmask_b32_e64 v63, v64, v71, s[16:17]
	v_and_b32_sdwa v64, v63, s37 dst_sel:DWORD dst_unused:UNUSED_PAD src0_sel:WORD_1 src1_sel:DWORD
	v_lshlrev_b16_e32 v71, 8, v68
	v_and_b32_e32 v69, 0xffff, v69
	v_or_b32_sdwa v64, v64, v71 dst_sel:WORD_1 dst_unused:UNUSED_PAD src0_sel:DWORD src1_sel:DWORD
	v_and_or_b32 v69, v65, s43, v69
	v_and_or_b32 v64, v63, s35, v64
	v_cmp_lt_u16_e64 s[16:17], v68, v70
	v_lshlrev_b16_e32 v68, 8, v66
	s_nop 0
	v_cndmask_b32_e64 v64, v63, v64, s[16:17]
	v_cndmask_b32_e64 v63, v65, v69, s[16:17]
	v_and_b32_sdwa v65, v63, s42 dst_sel:DWORD dst_unused:UNUSED_PAD src0_sel:WORD_1 src1_sel:DWORD
	v_or_b32_sdwa v65, v67, v65 dst_sel:WORD_1 dst_unused:UNUSED_PAD src0_sel:DWORD src1_sel:DWORD
	v_or_b32_sdwa v68, v63, v68 dst_sel:DWORD dst_unused:UNUSED_PAD src0_sel:BYTE_0 src1_sel:DWORD
	v_or_b32_sdwa v65, v68, v65 dst_sel:DWORD dst_unused:UNUSED_PAD src0_sel:WORD_0 src1_sel:DWORD
	v_cmp_lt_u16_e64 s[16:17], v66, v67
	s_nop 1
	v_cndmask_b32_e64 v65, v63, v65, s[16:17]
	v_mov_b32_e32 v63, v7
	ds_write_b64 v2, v[64:65]
	s_waitcnt lgkmcnt(0)
	s_barrier
	s_and_saveexec_b64 s[18:19], vcc
	s_cbranch_execz .LBB118_6
; %bb.3:                                ;   in Loop: Header=BB118_2 Depth=1
	s_mov_b64 s[20:21], 0
	v_mov_b32_e32 v63, v7
	v_mov_b32_e32 v64, v8
.LBB118_4:                              ;   Parent Loop BB118_2 Depth=1
                                        ; =>  This Inner Loop Header: Depth=2
	v_sub_u32_e32 v65, v64, v63
	v_lshrrev_b32_e32 v66, 31, v65
	v_add_u32_e32 v65, v65, v66
	v_ashrrev_i32_e32 v65, 1, v65
	v_add_u32_e32 v65, v65, v63
	v_not_b32_e32 v67, v65
	v_add_u32_e32 v66, v3, v65
	v_add3_u32 v67, v4, v67, v5
	ds_read_u8 v66, v66
	ds_read_u8 v67, v67
	v_add_u32_e32 v68, 1, v65
	s_waitcnt lgkmcnt(0)
	v_cmp_lt_u16_e64 s[16:17], v67, v66
	s_nop 1
	v_cndmask_b32_e64 v64, v64, v65, s[16:17]
	v_cndmask_b32_e64 v63, v68, v63, s[16:17]
	v_cmp_ge_i32_e64 s[16:17], v63, v64
	s_or_b64 s[20:21], s[16:17], s[20:21]
	s_andn2_b64 exec, exec, s[20:21]
	s_cbranch_execnz .LBB118_4
; %bb.5:                                ;   in Loop: Header=BB118_2 Depth=1
	s_or_b64 exec, exec, s[20:21]
.LBB118_6:                              ;   in Loop: Header=BB118_2 Depth=1
	s_or_b64 exec, exec, s[18:19]
	v_add_u32_e32 v67, v63, v3
	v_sub_u32_e32 v68, v9, v63
	ds_read_u8 v63, v67
	ds_read_u8 v64, v68
	v_cmp_le_i32_e64 s[18:19], v5, v67
	v_cmp_gt_i32_e64 s[16:17], v6, v68
                                        ; implicit-def: $vgpr65
                                        ; implicit-def: $vgpr66
	s_waitcnt lgkmcnt(0)
	v_cmp_lt_u16_sdwa s[20:21], v64, v63 src0_sel:BYTE_0 src1_sel:BYTE_0
	s_or_b64 s[18:19], s[18:19], s[20:21]
	s_and_b64 s[16:17], s[16:17], s[18:19]
	s_xor_b64 s[18:19], s[16:17], -1
	s_and_saveexec_b64 s[20:21], s[18:19]
	s_xor_b64 s[18:19], exec, s[20:21]
	s_cbranch_execz .LBB118_8
; %bb.7:                                ;   in Loop: Header=BB118_2 Depth=1
	ds_read_u8 v66, v67 offset:1
	v_mov_b32_e32 v65, v64
.LBB118_8:                              ;   in Loop: Header=BB118_2 Depth=1
	s_andn2_saveexec_b64 s[18:19], s[18:19]
	s_cbranch_execz .LBB118_10
; %bb.9:                                ;   in Loop: Header=BB118_2 Depth=1
	ds_read_u8 v65, v68 offset:1
	s_waitcnt lgkmcnt(1)
	v_mov_b32_e32 v66, v63
.LBB118_10:                             ;   in Loop: Header=BB118_2 Depth=1
	s_or_b64 exec, exec, s[18:19]
	v_add_u32_e32 v70, 1, v67
	v_add_u32_e32 v69, 1, v68
	v_cndmask_b32_e64 v70, v70, v67, s[16:17]
	v_cndmask_b32_e64 v69, v68, v69, s[16:17]
	v_cmp_ge_i32_e64 s[20:21], v70, v5
	s_waitcnt lgkmcnt(0)
	v_cmp_lt_u16_sdwa s[22:23], v65, v66 src0_sel:BYTE_0 src1_sel:BYTE_0
	v_cmp_lt_i32_e64 s[18:19], v69, v6
	s_or_b64 s[20:21], s[20:21], s[22:23]
	s_and_b64 s[18:19], s[18:19], s[20:21]
	s_xor_b64 s[20:21], s[18:19], -1
                                        ; implicit-def: $vgpr67
	s_and_saveexec_b64 s[22:23], s[20:21]
	s_xor_b64 s[20:21], exec, s[22:23]
	s_cbranch_execz .LBB118_12
; %bb.11:                               ;   in Loop: Header=BB118_2 Depth=1
	ds_read_u8 v67, v70 offset:1
.LBB118_12:                             ;   in Loop: Header=BB118_2 Depth=1
	s_or_saveexec_b64 s[20:21], s[20:21]
	v_mov_b32_e32 v68, v65
	s_xor_b64 exec, exec, s[20:21]
	s_cbranch_execz .LBB118_14
; %bb.13:                               ;   in Loop: Header=BB118_2 Depth=1
	ds_read_u8 v68, v69 offset:1
	s_waitcnt lgkmcnt(1)
	v_mov_b32_e32 v67, v66
.LBB118_14:                             ;   in Loop: Header=BB118_2 Depth=1
	s_or_b64 exec, exec, s[20:21]
	v_add_u32_e32 v72, 1, v70
	v_add_u32_e32 v71, 1, v69
	v_cndmask_b32_e64 v72, v72, v70, s[18:19]
	v_cndmask_b32_e64 v71, v69, v71, s[18:19]
	v_cmp_ge_i32_e64 s[22:23], v72, v5
	s_waitcnt lgkmcnt(0)
	v_cmp_lt_u16_sdwa s[24:25], v68, v67 src0_sel:BYTE_0 src1_sel:BYTE_0
	v_cmp_lt_i32_e64 s[20:21], v71, v6
	s_or_b64 s[22:23], s[22:23], s[24:25]
	s_and_b64 s[20:21], s[20:21], s[22:23]
	s_xor_b64 s[22:23], s[20:21], -1
                                        ; implicit-def: $vgpr69
	s_and_saveexec_b64 s[24:25], s[22:23]
	s_xor_b64 s[22:23], exec, s[24:25]
	s_cbranch_execz .LBB118_16
; %bb.15:                               ;   in Loop: Header=BB118_2 Depth=1
	ds_read_u8 v69, v72 offset:1
.LBB118_16:                             ;   in Loop: Header=BB118_2 Depth=1
	s_or_saveexec_b64 s[22:23], s[22:23]
	v_mov_b32_e32 v70, v68
	s_xor_b64 exec, exec, s[22:23]
	s_cbranch_execz .LBB118_18
; %bb.17:                               ;   in Loop: Header=BB118_2 Depth=1
	ds_read_u8 v70, v71 offset:1
	s_waitcnt lgkmcnt(1)
	v_mov_b32_e32 v69, v67
.LBB118_18:                             ;   in Loop: Header=BB118_2 Depth=1
	s_or_b64 exec, exec, s[22:23]
	v_add_u32_e32 v74, 1, v72
	v_add_u32_e32 v73, 1, v71
	v_cndmask_b32_e64 v74, v74, v72, s[20:21]
	v_cndmask_b32_e64 v73, v71, v73, s[20:21]
	v_cmp_ge_i32_e64 s[24:25], v74, v5
	s_waitcnt lgkmcnt(0)
	v_cmp_lt_u16_sdwa s[26:27], v70, v69 src0_sel:BYTE_0 src1_sel:BYTE_0
	v_cmp_lt_i32_e64 s[22:23], v73, v6
	s_or_b64 s[24:25], s[24:25], s[26:27]
	s_and_b64 s[22:23], s[22:23], s[24:25]
	s_xor_b64 s[24:25], s[22:23], -1
                                        ; implicit-def: $vgpr71
	s_and_saveexec_b64 s[26:27], s[24:25]
	s_xor_b64 s[24:25], exec, s[26:27]
	s_cbranch_execz .LBB118_20
; %bb.19:                               ;   in Loop: Header=BB118_2 Depth=1
	ds_read_u8 v71, v74 offset:1
.LBB118_20:                             ;   in Loop: Header=BB118_2 Depth=1
	s_or_saveexec_b64 s[24:25], s[24:25]
	v_mov_b32_e32 v72, v70
	s_xor_b64 exec, exec, s[24:25]
	s_cbranch_execz .LBB118_22
; %bb.21:                               ;   in Loop: Header=BB118_2 Depth=1
	ds_read_u8 v72, v73 offset:1
	s_waitcnt lgkmcnt(1)
	v_mov_b32_e32 v71, v69
.LBB118_22:                             ;   in Loop: Header=BB118_2 Depth=1
	s_or_b64 exec, exec, s[24:25]
	v_add_u32_e32 v76, 1, v74
	v_add_u32_e32 v75, 1, v73
	v_cndmask_b32_e64 v76, v76, v74, s[22:23]
	v_cndmask_b32_e64 v75, v73, v75, s[22:23]
	v_cmp_ge_i32_e64 s[26:27], v76, v5
	s_waitcnt lgkmcnt(0)
	v_cmp_lt_u16_sdwa s[28:29], v72, v71 src0_sel:BYTE_0 src1_sel:BYTE_0
	v_cmp_lt_i32_e64 s[24:25], v75, v6
	s_or_b64 s[26:27], s[26:27], s[28:29]
	s_and_b64 s[24:25], s[24:25], s[26:27]
	s_xor_b64 s[26:27], s[24:25], -1
                                        ; implicit-def: $vgpr73
	s_and_saveexec_b64 s[28:29], s[26:27]
	s_xor_b64 s[26:27], exec, s[28:29]
	s_cbranch_execz .LBB118_24
; %bb.23:                               ;   in Loop: Header=BB118_2 Depth=1
	ds_read_u8 v73, v76 offset:1
.LBB118_24:                             ;   in Loop: Header=BB118_2 Depth=1
	s_or_saveexec_b64 s[26:27], s[26:27]
	v_mov_b32_e32 v74, v72
	s_xor_b64 exec, exec, s[26:27]
	s_cbranch_execz .LBB118_26
; %bb.25:                               ;   in Loop: Header=BB118_2 Depth=1
	ds_read_u8 v74, v75 offset:1
	s_waitcnt lgkmcnt(1)
	v_mov_b32_e32 v73, v71
.LBB118_26:                             ;   in Loop: Header=BB118_2 Depth=1
	s_or_b64 exec, exec, s[26:27]
	v_add_u32_e32 v78, 1, v76
	v_add_u32_e32 v77, 1, v75
	v_cndmask_b32_e64 v79, v78, v76, s[24:25]
	v_cndmask_b32_e64 v77, v75, v77, s[24:25]
	v_cmp_ge_i32_e64 s[28:29], v79, v5
	s_waitcnt lgkmcnt(0)
	v_cmp_lt_u16_sdwa s[30:31], v74, v73 src0_sel:BYTE_0 src1_sel:BYTE_0
	v_cmp_lt_i32_e64 s[26:27], v77, v6
	s_or_b64 s[28:29], s[28:29], s[30:31]
	s_and_b64 s[26:27], s[26:27], s[28:29]
	s_xor_b64 s[28:29], s[26:27], -1
                                        ; implicit-def: $vgpr75
	s_and_saveexec_b64 s[30:31], s[28:29]
	s_xor_b64 s[28:29], exec, s[30:31]
	s_cbranch_execz .LBB118_28
; %bb.27:                               ;   in Loop: Header=BB118_2 Depth=1
	ds_read_u8 v75, v79 offset:1
.LBB118_28:                             ;   in Loop: Header=BB118_2 Depth=1
	s_or_saveexec_b64 s[28:29], s[28:29]
	v_mov_b32_e32 v76, v74
	s_xor_b64 exec, exec, s[28:29]
	s_cbranch_execz .LBB118_30
; %bb.29:                               ;   in Loop: Header=BB118_2 Depth=1
	ds_read_u8 v76, v77 offset:1
	s_waitcnt lgkmcnt(1)
	v_mov_b32_e32 v75, v73
.LBB118_30:                             ;   in Loop: Header=BB118_2 Depth=1
	s_or_b64 exec, exec, s[28:29]
	v_add_u32_e32 v80, 1, v79
	v_add_u32_e32 v78, 1, v77
	v_cndmask_b32_e64 v79, v80, v79, s[26:27]
	v_cndmask_b32_e64 v78, v77, v78, s[26:27]
	v_cmp_ge_i32_e64 s[30:31], v79, v5
	s_waitcnt lgkmcnt(0)
	v_cmp_lt_u16_sdwa s[46:47], v76, v75 src0_sel:BYTE_0 src1_sel:BYTE_0
	v_cmp_lt_i32_e64 s[28:29], v78, v6
	s_or_b64 s[30:31], s[30:31], s[46:47]
	s_and_b64 s[28:29], s[28:29], s[30:31]
	s_xor_b64 s[30:31], s[28:29], -1
                                        ; implicit-def: $vgpr77
	s_and_saveexec_b64 s[46:47], s[30:31]
	s_xor_b64 s[30:31], exec, s[46:47]
	s_cbranch_execz .LBB118_32
; %bb.31:                               ;   in Loop: Header=BB118_2 Depth=1
	ds_read_u8 v77, v79 offset:1
.LBB118_32:                             ;   in Loop: Header=BB118_2 Depth=1
	s_or_saveexec_b64 s[30:31], s[30:31]
	v_mov_b32_e32 v80, v76
	s_xor_b64 exec, exec, s[30:31]
	s_cbranch_execz .LBB118_34
; %bb.33:                               ;   in Loop: Header=BB118_2 Depth=1
	ds_read_u8 v80, v78 offset:1
	s_waitcnt lgkmcnt(1)
	v_mov_b32_e32 v77, v75
.LBB118_34:                             ;   in Loop: Header=BB118_2 Depth=1
	s_or_b64 exec, exec, s[30:31]
	v_cndmask_b32_e64 v75, v75, v76, s[28:29]
	v_add_u32_e32 v76, 1, v78
	v_add_u32_e32 v81, 1, v79
	v_cndmask_b32_e64 v76, v78, v76, s[28:29]
	v_cndmask_b32_e64 v78, v81, v79, s[28:29]
	;; [unrolled: 1-line block ×4, first 2 shown]
	v_cmp_ge_i32_e64 s[18:19], v78, v5
	s_waitcnt lgkmcnt(0)
	v_cmp_lt_u16_sdwa s[20:21], v80, v77 src0_sel:BYTE_0 src1_sel:BYTE_0
	v_cndmask_b32_e64 v69, v69, v70, s[22:23]
	v_cndmask_b32_e64 v63, v63, v64, s[16:17]
	v_cmp_lt_i32_e64 s[16:17], v76, v6
	s_or_b64 s[18:19], s[18:19], s[20:21]
	v_lshlrev_b16_e32 v64, 8, v65
	s_and_b64 s[16:17], s[16:17], s[18:19]
	v_or_b32_sdwa v63, v63, v64 dst_sel:DWORD dst_unused:UNUSED_PAD src0_sel:BYTE_0 src1_sel:DWORD
	v_lshlrev_b16_e32 v64, 8, v69
	v_cndmask_b32_e64 v73, v73, v74, s[26:27]
	v_cndmask_b32_e64 v66, v77, v80, s[16:17]
	v_or_b32_sdwa v64, v67, v64 dst_sel:WORD_1 dst_unused:UNUSED_PAD src0_sel:BYTE_0 src1_sel:DWORD
	v_cndmask_b32_e64 v71, v71, v72, s[24:25]
	v_or_b32_sdwa v64, v63, v64 dst_sel:DWORD dst_unused:UNUSED_PAD src0_sel:WORD_0 src1_sel:DWORD
	v_lshlrev_b16_e32 v63, 8, v73
	v_lshlrev_b16_e32 v65, 8, v66
	v_or_b32_sdwa v63, v71, v63 dst_sel:DWORD dst_unused:UNUSED_PAD src0_sel:BYTE_0 src1_sel:DWORD
	v_or_b32_sdwa v65, v75, v65 dst_sel:WORD_1 dst_unused:UNUSED_PAD src0_sel:BYTE_0 src1_sel:DWORD
	s_nop 0
	v_or_b32_sdwa v65, v63, v65 dst_sel:DWORD dst_unused:UNUSED_PAD src0_sel:WORD_0 src1_sel:DWORD
	v_mov_b32_e32 v63, v14
	s_barrier
	ds_write_b64 v2, v[64:65]
	s_waitcnt lgkmcnt(0)
	s_barrier
	s_and_saveexec_b64 s[18:19], s[0:1]
	s_cbranch_execz .LBB118_38
; %bb.35:                               ;   in Loop: Header=BB118_2 Depth=1
	s_mov_b64 s[20:21], 0
	v_mov_b32_e32 v63, v14
	v_mov_b32_e32 v64, v15
.LBB118_36:                             ;   Parent Loop BB118_2 Depth=1
                                        ; =>  This Inner Loop Header: Depth=2
	v_sub_u32_e32 v65, v64, v63
	v_lshrrev_b32_e32 v66, 31, v65
	v_add_u32_e32 v65, v65, v66
	v_ashrrev_i32_e32 v65, 1, v65
	v_add_u32_e32 v65, v65, v63
	v_not_b32_e32 v67, v65
	v_add_u32_e32 v66, v10, v65
	v_add3_u32 v67, v11, v67, v12
	ds_read_u8 v66, v66
	ds_read_u8 v67, v67
	v_add_u32_e32 v68, 1, v65
	s_waitcnt lgkmcnt(0)
	v_cmp_lt_u16_e64 s[16:17], v67, v66
	s_nop 1
	v_cndmask_b32_e64 v64, v64, v65, s[16:17]
	v_cndmask_b32_e64 v63, v68, v63, s[16:17]
	v_cmp_ge_i32_e64 s[16:17], v63, v64
	s_or_b64 s[20:21], s[16:17], s[20:21]
	s_andn2_b64 exec, exec, s[20:21]
	s_cbranch_execnz .LBB118_36
; %bb.37:                               ;   in Loop: Header=BB118_2 Depth=1
	s_or_b64 exec, exec, s[20:21]
.LBB118_38:                             ;   in Loop: Header=BB118_2 Depth=1
	s_or_b64 exec, exec, s[18:19]
	v_add_u32_e32 v67, v63, v10
	v_sub_u32_e32 v68, v16, v63
	ds_read_u8 v63, v67
	ds_read_u8 v64, v68
	v_cmp_le_i32_e64 s[18:19], v12, v67
	v_cmp_gt_i32_e64 s[16:17], v13, v68
                                        ; implicit-def: $vgpr65
                                        ; implicit-def: $vgpr66
	s_waitcnt lgkmcnt(0)
	v_cmp_lt_u16_sdwa s[20:21], v64, v63 src0_sel:BYTE_0 src1_sel:BYTE_0
	s_or_b64 s[18:19], s[18:19], s[20:21]
	s_and_b64 s[16:17], s[16:17], s[18:19]
	s_xor_b64 s[18:19], s[16:17], -1
	s_and_saveexec_b64 s[20:21], s[18:19]
	s_xor_b64 s[18:19], exec, s[20:21]
	s_cbranch_execz .LBB118_40
; %bb.39:                               ;   in Loop: Header=BB118_2 Depth=1
	ds_read_u8 v66, v67 offset:1
	v_mov_b32_e32 v65, v64
.LBB118_40:                             ;   in Loop: Header=BB118_2 Depth=1
	s_andn2_saveexec_b64 s[18:19], s[18:19]
	s_cbranch_execz .LBB118_42
; %bb.41:                               ;   in Loop: Header=BB118_2 Depth=1
	ds_read_u8 v65, v68 offset:1
	s_waitcnt lgkmcnt(1)
	v_mov_b32_e32 v66, v63
.LBB118_42:                             ;   in Loop: Header=BB118_2 Depth=1
	s_or_b64 exec, exec, s[18:19]
	v_add_u32_e32 v70, 1, v67
	v_add_u32_e32 v69, 1, v68
	v_cndmask_b32_e64 v70, v70, v67, s[16:17]
	v_cndmask_b32_e64 v69, v68, v69, s[16:17]
	v_cmp_ge_i32_e64 s[20:21], v70, v12
	s_waitcnt lgkmcnt(0)
	v_cmp_lt_u16_sdwa s[22:23], v65, v66 src0_sel:BYTE_0 src1_sel:BYTE_0
	v_cmp_lt_i32_e64 s[18:19], v69, v13
	s_or_b64 s[20:21], s[20:21], s[22:23]
	s_and_b64 s[18:19], s[18:19], s[20:21]
	s_xor_b64 s[20:21], s[18:19], -1
                                        ; implicit-def: $vgpr67
	s_and_saveexec_b64 s[22:23], s[20:21]
	s_xor_b64 s[20:21], exec, s[22:23]
	s_cbranch_execz .LBB118_44
; %bb.43:                               ;   in Loop: Header=BB118_2 Depth=1
	ds_read_u8 v67, v70 offset:1
.LBB118_44:                             ;   in Loop: Header=BB118_2 Depth=1
	s_or_saveexec_b64 s[20:21], s[20:21]
	v_mov_b32_e32 v68, v65
	s_xor_b64 exec, exec, s[20:21]
	s_cbranch_execz .LBB118_46
; %bb.45:                               ;   in Loop: Header=BB118_2 Depth=1
	ds_read_u8 v68, v69 offset:1
	s_waitcnt lgkmcnt(1)
	v_mov_b32_e32 v67, v66
.LBB118_46:                             ;   in Loop: Header=BB118_2 Depth=1
	s_or_b64 exec, exec, s[20:21]
	v_add_u32_e32 v72, 1, v70
	v_add_u32_e32 v71, 1, v69
	v_cndmask_b32_e64 v72, v72, v70, s[18:19]
	v_cndmask_b32_e64 v71, v69, v71, s[18:19]
	v_cmp_ge_i32_e64 s[22:23], v72, v12
	s_waitcnt lgkmcnt(0)
	v_cmp_lt_u16_sdwa s[24:25], v68, v67 src0_sel:BYTE_0 src1_sel:BYTE_0
	v_cmp_lt_i32_e64 s[20:21], v71, v13
	s_or_b64 s[22:23], s[22:23], s[24:25]
	s_and_b64 s[20:21], s[20:21], s[22:23]
	s_xor_b64 s[22:23], s[20:21], -1
                                        ; implicit-def: $vgpr69
	s_and_saveexec_b64 s[24:25], s[22:23]
	s_xor_b64 s[22:23], exec, s[24:25]
	s_cbranch_execz .LBB118_48
; %bb.47:                               ;   in Loop: Header=BB118_2 Depth=1
	ds_read_u8 v69, v72 offset:1
.LBB118_48:                             ;   in Loop: Header=BB118_2 Depth=1
	s_or_saveexec_b64 s[22:23], s[22:23]
	v_mov_b32_e32 v70, v68
	s_xor_b64 exec, exec, s[22:23]
	s_cbranch_execz .LBB118_50
; %bb.49:                               ;   in Loop: Header=BB118_2 Depth=1
	ds_read_u8 v70, v71 offset:1
	s_waitcnt lgkmcnt(1)
	v_mov_b32_e32 v69, v67
.LBB118_50:                             ;   in Loop: Header=BB118_2 Depth=1
	s_or_b64 exec, exec, s[22:23]
	v_add_u32_e32 v74, 1, v72
	v_add_u32_e32 v73, 1, v71
	v_cndmask_b32_e64 v74, v74, v72, s[20:21]
	v_cndmask_b32_e64 v73, v71, v73, s[20:21]
	v_cmp_ge_i32_e64 s[24:25], v74, v12
	s_waitcnt lgkmcnt(0)
	v_cmp_lt_u16_sdwa s[26:27], v70, v69 src0_sel:BYTE_0 src1_sel:BYTE_0
	v_cmp_lt_i32_e64 s[22:23], v73, v13
	s_or_b64 s[24:25], s[24:25], s[26:27]
	s_and_b64 s[22:23], s[22:23], s[24:25]
	s_xor_b64 s[24:25], s[22:23], -1
                                        ; implicit-def: $vgpr71
	s_and_saveexec_b64 s[26:27], s[24:25]
	s_xor_b64 s[24:25], exec, s[26:27]
	s_cbranch_execz .LBB118_52
; %bb.51:                               ;   in Loop: Header=BB118_2 Depth=1
	ds_read_u8 v71, v74 offset:1
.LBB118_52:                             ;   in Loop: Header=BB118_2 Depth=1
	s_or_saveexec_b64 s[24:25], s[24:25]
	v_mov_b32_e32 v72, v70
	s_xor_b64 exec, exec, s[24:25]
	s_cbranch_execz .LBB118_54
; %bb.53:                               ;   in Loop: Header=BB118_2 Depth=1
	ds_read_u8 v72, v73 offset:1
	s_waitcnt lgkmcnt(1)
	v_mov_b32_e32 v71, v69
.LBB118_54:                             ;   in Loop: Header=BB118_2 Depth=1
	s_or_b64 exec, exec, s[24:25]
	v_add_u32_e32 v76, 1, v74
	v_add_u32_e32 v75, 1, v73
	v_cndmask_b32_e64 v76, v76, v74, s[22:23]
	v_cndmask_b32_e64 v75, v73, v75, s[22:23]
	v_cmp_ge_i32_e64 s[26:27], v76, v12
	s_waitcnt lgkmcnt(0)
	v_cmp_lt_u16_sdwa s[28:29], v72, v71 src0_sel:BYTE_0 src1_sel:BYTE_0
	v_cmp_lt_i32_e64 s[24:25], v75, v13
	s_or_b64 s[26:27], s[26:27], s[28:29]
	s_and_b64 s[24:25], s[24:25], s[26:27]
	s_xor_b64 s[26:27], s[24:25], -1
                                        ; implicit-def: $vgpr73
	s_and_saveexec_b64 s[28:29], s[26:27]
	s_xor_b64 s[26:27], exec, s[28:29]
	s_cbranch_execz .LBB118_56
; %bb.55:                               ;   in Loop: Header=BB118_2 Depth=1
	ds_read_u8 v73, v76 offset:1
.LBB118_56:                             ;   in Loop: Header=BB118_2 Depth=1
	s_or_saveexec_b64 s[26:27], s[26:27]
	v_mov_b32_e32 v74, v72
	s_xor_b64 exec, exec, s[26:27]
	s_cbranch_execz .LBB118_58
; %bb.57:                               ;   in Loop: Header=BB118_2 Depth=1
	ds_read_u8 v74, v75 offset:1
	s_waitcnt lgkmcnt(1)
	v_mov_b32_e32 v73, v71
.LBB118_58:                             ;   in Loop: Header=BB118_2 Depth=1
	s_or_b64 exec, exec, s[26:27]
	v_add_u32_e32 v78, 1, v76
	v_add_u32_e32 v77, 1, v75
	v_cndmask_b32_e64 v79, v78, v76, s[24:25]
	v_cndmask_b32_e64 v77, v75, v77, s[24:25]
	v_cmp_ge_i32_e64 s[28:29], v79, v12
	s_waitcnt lgkmcnt(0)
	v_cmp_lt_u16_sdwa s[30:31], v74, v73 src0_sel:BYTE_0 src1_sel:BYTE_0
	v_cmp_lt_i32_e64 s[26:27], v77, v13
	s_or_b64 s[28:29], s[28:29], s[30:31]
	s_and_b64 s[26:27], s[26:27], s[28:29]
	s_xor_b64 s[28:29], s[26:27], -1
                                        ; implicit-def: $vgpr75
	s_and_saveexec_b64 s[30:31], s[28:29]
	s_xor_b64 s[28:29], exec, s[30:31]
	s_cbranch_execz .LBB118_60
; %bb.59:                               ;   in Loop: Header=BB118_2 Depth=1
	ds_read_u8 v75, v79 offset:1
.LBB118_60:                             ;   in Loop: Header=BB118_2 Depth=1
	s_or_saveexec_b64 s[28:29], s[28:29]
	v_mov_b32_e32 v76, v74
	s_xor_b64 exec, exec, s[28:29]
	s_cbranch_execz .LBB118_62
; %bb.61:                               ;   in Loop: Header=BB118_2 Depth=1
	ds_read_u8 v76, v77 offset:1
	s_waitcnt lgkmcnt(1)
	v_mov_b32_e32 v75, v73
.LBB118_62:                             ;   in Loop: Header=BB118_2 Depth=1
	s_or_b64 exec, exec, s[28:29]
	v_add_u32_e32 v80, 1, v79
	v_add_u32_e32 v78, 1, v77
	v_cndmask_b32_e64 v79, v80, v79, s[26:27]
	v_cndmask_b32_e64 v78, v77, v78, s[26:27]
	v_cmp_ge_i32_e64 s[30:31], v79, v12
	s_waitcnt lgkmcnt(0)
	v_cmp_lt_u16_sdwa s[46:47], v76, v75 src0_sel:BYTE_0 src1_sel:BYTE_0
	v_cmp_lt_i32_e64 s[28:29], v78, v13
	s_or_b64 s[30:31], s[30:31], s[46:47]
	s_and_b64 s[28:29], s[28:29], s[30:31]
	s_xor_b64 s[30:31], s[28:29], -1
                                        ; implicit-def: $vgpr77
	s_and_saveexec_b64 s[46:47], s[30:31]
	s_xor_b64 s[30:31], exec, s[46:47]
	s_cbranch_execz .LBB118_64
; %bb.63:                               ;   in Loop: Header=BB118_2 Depth=1
	ds_read_u8 v77, v79 offset:1
.LBB118_64:                             ;   in Loop: Header=BB118_2 Depth=1
	s_or_saveexec_b64 s[30:31], s[30:31]
	v_mov_b32_e32 v80, v76
	s_xor_b64 exec, exec, s[30:31]
	s_cbranch_execz .LBB118_66
; %bb.65:                               ;   in Loop: Header=BB118_2 Depth=1
	ds_read_u8 v80, v78 offset:1
	s_waitcnt lgkmcnt(1)
	v_mov_b32_e32 v77, v75
.LBB118_66:                             ;   in Loop: Header=BB118_2 Depth=1
	s_or_b64 exec, exec, s[30:31]
	v_cndmask_b32_e64 v75, v75, v76, s[28:29]
	v_add_u32_e32 v76, 1, v78
	v_add_u32_e32 v81, 1, v79
	v_cndmask_b32_e64 v76, v78, v76, s[28:29]
	v_cndmask_b32_e64 v78, v81, v79, s[28:29]
	;; [unrolled: 1-line block ×4, first 2 shown]
	v_cmp_ge_i32_e64 s[18:19], v78, v12
	s_waitcnt lgkmcnt(0)
	v_cmp_lt_u16_sdwa s[20:21], v80, v77 src0_sel:BYTE_0 src1_sel:BYTE_0
	v_cndmask_b32_e64 v69, v69, v70, s[22:23]
	v_cndmask_b32_e64 v63, v63, v64, s[16:17]
	v_cmp_lt_i32_e64 s[16:17], v76, v13
	s_or_b64 s[18:19], s[18:19], s[20:21]
	v_lshlrev_b16_e32 v64, 8, v65
	s_and_b64 s[16:17], s[16:17], s[18:19]
	v_or_b32_sdwa v63, v63, v64 dst_sel:DWORD dst_unused:UNUSED_PAD src0_sel:BYTE_0 src1_sel:DWORD
	v_lshlrev_b16_e32 v64, 8, v69
	v_cndmask_b32_e64 v73, v73, v74, s[26:27]
	v_cndmask_b32_e64 v66, v77, v80, s[16:17]
	v_or_b32_sdwa v64, v67, v64 dst_sel:WORD_1 dst_unused:UNUSED_PAD src0_sel:BYTE_0 src1_sel:DWORD
	v_cndmask_b32_e64 v71, v71, v72, s[24:25]
	v_or_b32_sdwa v64, v63, v64 dst_sel:DWORD dst_unused:UNUSED_PAD src0_sel:WORD_0 src1_sel:DWORD
	v_lshlrev_b16_e32 v63, 8, v73
	v_lshlrev_b16_e32 v65, 8, v66
	v_or_b32_sdwa v63, v71, v63 dst_sel:DWORD dst_unused:UNUSED_PAD src0_sel:BYTE_0 src1_sel:DWORD
	v_or_b32_sdwa v65, v75, v65 dst_sel:WORD_1 dst_unused:UNUSED_PAD src0_sel:BYTE_0 src1_sel:DWORD
	s_nop 0
	v_or_b32_sdwa v65, v63, v65 dst_sel:DWORD dst_unused:UNUSED_PAD src0_sel:WORD_0 src1_sel:DWORD
	v_mov_b32_e32 v63, v21
	s_barrier
	ds_write_b64 v2, v[64:65]
	s_waitcnt lgkmcnt(0)
	s_barrier
	s_and_saveexec_b64 s[18:19], s[2:3]
	s_cbranch_execz .LBB118_70
; %bb.67:                               ;   in Loop: Header=BB118_2 Depth=1
	s_mov_b64 s[20:21], 0
	v_mov_b32_e32 v63, v21
	v_mov_b32_e32 v64, v22
.LBB118_68:                             ;   Parent Loop BB118_2 Depth=1
                                        ; =>  This Inner Loop Header: Depth=2
	v_sub_u32_e32 v65, v64, v63
	v_lshrrev_b32_e32 v66, 31, v65
	v_add_u32_e32 v65, v65, v66
	v_ashrrev_i32_e32 v65, 1, v65
	v_add_u32_e32 v65, v65, v63
	v_not_b32_e32 v67, v65
	v_add_u32_e32 v66, v17, v65
	v_add3_u32 v67, v18, v67, v19
	ds_read_u8 v66, v66
	ds_read_u8 v67, v67
	v_add_u32_e32 v68, 1, v65
	s_waitcnt lgkmcnt(0)
	v_cmp_lt_u16_e64 s[16:17], v67, v66
	s_nop 1
	v_cndmask_b32_e64 v64, v64, v65, s[16:17]
	v_cndmask_b32_e64 v63, v68, v63, s[16:17]
	v_cmp_ge_i32_e64 s[16:17], v63, v64
	s_or_b64 s[20:21], s[16:17], s[20:21]
	s_andn2_b64 exec, exec, s[20:21]
	s_cbranch_execnz .LBB118_68
; %bb.69:                               ;   in Loop: Header=BB118_2 Depth=1
	s_or_b64 exec, exec, s[20:21]
.LBB118_70:                             ;   in Loop: Header=BB118_2 Depth=1
	s_or_b64 exec, exec, s[18:19]
	v_add_u32_e32 v67, v63, v17
	v_sub_u32_e32 v68, v23, v63
	ds_read_u8 v63, v67
	ds_read_u8 v64, v68
	v_cmp_le_i32_e64 s[18:19], v19, v67
	v_cmp_gt_i32_e64 s[16:17], v20, v68
                                        ; implicit-def: $vgpr65
                                        ; implicit-def: $vgpr66
	s_waitcnt lgkmcnt(0)
	v_cmp_lt_u16_sdwa s[20:21], v64, v63 src0_sel:BYTE_0 src1_sel:BYTE_0
	s_or_b64 s[18:19], s[18:19], s[20:21]
	s_and_b64 s[16:17], s[16:17], s[18:19]
	s_xor_b64 s[18:19], s[16:17], -1
	s_and_saveexec_b64 s[20:21], s[18:19]
	s_xor_b64 s[18:19], exec, s[20:21]
	s_cbranch_execz .LBB118_72
; %bb.71:                               ;   in Loop: Header=BB118_2 Depth=1
	ds_read_u8 v66, v67 offset:1
	v_mov_b32_e32 v65, v64
.LBB118_72:                             ;   in Loop: Header=BB118_2 Depth=1
	s_andn2_saveexec_b64 s[18:19], s[18:19]
	s_cbranch_execz .LBB118_74
; %bb.73:                               ;   in Loop: Header=BB118_2 Depth=1
	ds_read_u8 v65, v68 offset:1
	s_waitcnt lgkmcnt(1)
	v_mov_b32_e32 v66, v63
.LBB118_74:                             ;   in Loop: Header=BB118_2 Depth=1
	s_or_b64 exec, exec, s[18:19]
	v_add_u32_e32 v70, 1, v67
	v_add_u32_e32 v69, 1, v68
	v_cndmask_b32_e64 v70, v70, v67, s[16:17]
	v_cndmask_b32_e64 v69, v68, v69, s[16:17]
	v_cmp_ge_i32_e64 s[20:21], v70, v19
	s_waitcnt lgkmcnt(0)
	v_cmp_lt_u16_sdwa s[22:23], v65, v66 src0_sel:BYTE_0 src1_sel:BYTE_0
	v_cmp_lt_i32_e64 s[18:19], v69, v20
	s_or_b64 s[20:21], s[20:21], s[22:23]
	s_and_b64 s[18:19], s[18:19], s[20:21]
	s_xor_b64 s[20:21], s[18:19], -1
                                        ; implicit-def: $vgpr67
	s_and_saveexec_b64 s[22:23], s[20:21]
	s_xor_b64 s[20:21], exec, s[22:23]
	s_cbranch_execz .LBB118_76
; %bb.75:                               ;   in Loop: Header=BB118_2 Depth=1
	ds_read_u8 v67, v70 offset:1
.LBB118_76:                             ;   in Loop: Header=BB118_2 Depth=1
	s_or_saveexec_b64 s[20:21], s[20:21]
	v_mov_b32_e32 v68, v65
	s_xor_b64 exec, exec, s[20:21]
	s_cbranch_execz .LBB118_78
; %bb.77:                               ;   in Loop: Header=BB118_2 Depth=1
	ds_read_u8 v68, v69 offset:1
	s_waitcnt lgkmcnt(1)
	v_mov_b32_e32 v67, v66
.LBB118_78:                             ;   in Loop: Header=BB118_2 Depth=1
	s_or_b64 exec, exec, s[20:21]
	v_add_u32_e32 v72, 1, v70
	v_add_u32_e32 v71, 1, v69
	v_cndmask_b32_e64 v72, v72, v70, s[18:19]
	v_cndmask_b32_e64 v71, v69, v71, s[18:19]
	v_cmp_ge_i32_e64 s[22:23], v72, v19
	s_waitcnt lgkmcnt(0)
	v_cmp_lt_u16_sdwa s[24:25], v68, v67 src0_sel:BYTE_0 src1_sel:BYTE_0
	v_cmp_lt_i32_e64 s[20:21], v71, v20
	s_or_b64 s[22:23], s[22:23], s[24:25]
	s_and_b64 s[20:21], s[20:21], s[22:23]
	s_xor_b64 s[22:23], s[20:21], -1
                                        ; implicit-def: $vgpr69
	s_and_saveexec_b64 s[24:25], s[22:23]
	s_xor_b64 s[22:23], exec, s[24:25]
	s_cbranch_execz .LBB118_80
; %bb.79:                               ;   in Loop: Header=BB118_2 Depth=1
	ds_read_u8 v69, v72 offset:1
.LBB118_80:                             ;   in Loop: Header=BB118_2 Depth=1
	s_or_saveexec_b64 s[22:23], s[22:23]
	v_mov_b32_e32 v70, v68
	s_xor_b64 exec, exec, s[22:23]
	s_cbranch_execz .LBB118_82
; %bb.81:                               ;   in Loop: Header=BB118_2 Depth=1
	ds_read_u8 v70, v71 offset:1
	s_waitcnt lgkmcnt(1)
	v_mov_b32_e32 v69, v67
.LBB118_82:                             ;   in Loop: Header=BB118_2 Depth=1
	s_or_b64 exec, exec, s[22:23]
	v_add_u32_e32 v74, 1, v72
	v_add_u32_e32 v73, 1, v71
	v_cndmask_b32_e64 v74, v74, v72, s[20:21]
	v_cndmask_b32_e64 v73, v71, v73, s[20:21]
	v_cmp_ge_i32_e64 s[24:25], v74, v19
	s_waitcnt lgkmcnt(0)
	v_cmp_lt_u16_sdwa s[26:27], v70, v69 src0_sel:BYTE_0 src1_sel:BYTE_0
	v_cmp_lt_i32_e64 s[22:23], v73, v20
	s_or_b64 s[24:25], s[24:25], s[26:27]
	s_and_b64 s[22:23], s[22:23], s[24:25]
	s_xor_b64 s[24:25], s[22:23], -1
                                        ; implicit-def: $vgpr71
	s_and_saveexec_b64 s[26:27], s[24:25]
	s_xor_b64 s[24:25], exec, s[26:27]
	s_cbranch_execz .LBB118_84
; %bb.83:                               ;   in Loop: Header=BB118_2 Depth=1
	ds_read_u8 v71, v74 offset:1
.LBB118_84:                             ;   in Loop: Header=BB118_2 Depth=1
	s_or_saveexec_b64 s[24:25], s[24:25]
	v_mov_b32_e32 v72, v70
	s_xor_b64 exec, exec, s[24:25]
	s_cbranch_execz .LBB118_86
; %bb.85:                               ;   in Loop: Header=BB118_2 Depth=1
	ds_read_u8 v72, v73 offset:1
	s_waitcnt lgkmcnt(1)
	v_mov_b32_e32 v71, v69
.LBB118_86:                             ;   in Loop: Header=BB118_2 Depth=1
	s_or_b64 exec, exec, s[24:25]
	v_add_u32_e32 v76, 1, v74
	v_add_u32_e32 v75, 1, v73
	v_cndmask_b32_e64 v76, v76, v74, s[22:23]
	v_cndmask_b32_e64 v75, v73, v75, s[22:23]
	v_cmp_ge_i32_e64 s[26:27], v76, v19
	s_waitcnt lgkmcnt(0)
	v_cmp_lt_u16_sdwa s[28:29], v72, v71 src0_sel:BYTE_0 src1_sel:BYTE_0
	v_cmp_lt_i32_e64 s[24:25], v75, v20
	s_or_b64 s[26:27], s[26:27], s[28:29]
	s_and_b64 s[24:25], s[24:25], s[26:27]
	s_xor_b64 s[26:27], s[24:25], -1
                                        ; implicit-def: $vgpr73
	s_and_saveexec_b64 s[28:29], s[26:27]
	s_xor_b64 s[26:27], exec, s[28:29]
	s_cbranch_execz .LBB118_88
; %bb.87:                               ;   in Loop: Header=BB118_2 Depth=1
	ds_read_u8 v73, v76 offset:1
.LBB118_88:                             ;   in Loop: Header=BB118_2 Depth=1
	s_or_saveexec_b64 s[26:27], s[26:27]
	v_mov_b32_e32 v74, v72
	s_xor_b64 exec, exec, s[26:27]
	s_cbranch_execz .LBB118_90
; %bb.89:                               ;   in Loop: Header=BB118_2 Depth=1
	ds_read_u8 v74, v75 offset:1
	s_waitcnt lgkmcnt(1)
	v_mov_b32_e32 v73, v71
.LBB118_90:                             ;   in Loop: Header=BB118_2 Depth=1
	s_or_b64 exec, exec, s[26:27]
	v_add_u32_e32 v78, 1, v76
	v_add_u32_e32 v77, 1, v75
	v_cndmask_b32_e64 v79, v78, v76, s[24:25]
	v_cndmask_b32_e64 v77, v75, v77, s[24:25]
	v_cmp_ge_i32_e64 s[28:29], v79, v19
	s_waitcnt lgkmcnt(0)
	v_cmp_lt_u16_sdwa s[30:31], v74, v73 src0_sel:BYTE_0 src1_sel:BYTE_0
	v_cmp_lt_i32_e64 s[26:27], v77, v20
	s_or_b64 s[28:29], s[28:29], s[30:31]
	s_and_b64 s[26:27], s[26:27], s[28:29]
	s_xor_b64 s[28:29], s[26:27], -1
                                        ; implicit-def: $vgpr75
	s_and_saveexec_b64 s[30:31], s[28:29]
	s_xor_b64 s[28:29], exec, s[30:31]
	s_cbranch_execz .LBB118_92
; %bb.91:                               ;   in Loop: Header=BB118_2 Depth=1
	ds_read_u8 v75, v79 offset:1
.LBB118_92:                             ;   in Loop: Header=BB118_2 Depth=1
	s_or_saveexec_b64 s[28:29], s[28:29]
	v_mov_b32_e32 v76, v74
	s_xor_b64 exec, exec, s[28:29]
	s_cbranch_execz .LBB118_94
; %bb.93:                               ;   in Loop: Header=BB118_2 Depth=1
	ds_read_u8 v76, v77 offset:1
	s_waitcnt lgkmcnt(1)
	v_mov_b32_e32 v75, v73
.LBB118_94:                             ;   in Loop: Header=BB118_2 Depth=1
	s_or_b64 exec, exec, s[28:29]
	v_add_u32_e32 v80, 1, v79
	v_add_u32_e32 v78, 1, v77
	v_cndmask_b32_e64 v79, v80, v79, s[26:27]
	v_cndmask_b32_e64 v78, v77, v78, s[26:27]
	v_cmp_ge_i32_e64 s[30:31], v79, v19
	s_waitcnt lgkmcnt(0)
	v_cmp_lt_u16_sdwa s[46:47], v76, v75 src0_sel:BYTE_0 src1_sel:BYTE_0
	v_cmp_lt_i32_e64 s[28:29], v78, v20
	s_or_b64 s[30:31], s[30:31], s[46:47]
	s_and_b64 s[28:29], s[28:29], s[30:31]
	s_xor_b64 s[30:31], s[28:29], -1
                                        ; implicit-def: $vgpr77
	s_and_saveexec_b64 s[46:47], s[30:31]
	s_xor_b64 s[30:31], exec, s[46:47]
	s_cbranch_execz .LBB118_96
; %bb.95:                               ;   in Loop: Header=BB118_2 Depth=1
	ds_read_u8 v77, v79 offset:1
.LBB118_96:                             ;   in Loop: Header=BB118_2 Depth=1
	s_or_saveexec_b64 s[30:31], s[30:31]
	v_mov_b32_e32 v80, v76
	s_xor_b64 exec, exec, s[30:31]
	s_cbranch_execz .LBB118_98
; %bb.97:                               ;   in Loop: Header=BB118_2 Depth=1
	ds_read_u8 v80, v78 offset:1
	s_waitcnt lgkmcnt(1)
	v_mov_b32_e32 v77, v75
.LBB118_98:                             ;   in Loop: Header=BB118_2 Depth=1
	s_or_b64 exec, exec, s[30:31]
	v_cndmask_b32_e64 v75, v75, v76, s[28:29]
	v_add_u32_e32 v76, 1, v78
	v_add_u32_e32 v81, 1, v79
	v_cndmask_b32_e64 v76, v78, v76, s[28:29]
	v_cndmask_b32_e64 v78, v81, v79, s[28:29]
	;; [unrolled: 1-line block ×4, first 2 shown]
	v_cmp_ge_i32_e64 s[18:19], v78, v19
	s_waitcnt lgkmcnt(0)
	v_cmp_lt_u16_sdwa s[20:21], v80, v77 src0_sel:BYTE_0 src1_sel:BYTE_0
	v_cndmask_b32_e64 v69, v69, v70, s[22:23]
	v_cndmask_b32_e64 v63, v63, v64, s[16:17]
	v_cmp_lt_i32_e64 s[16:17], v76, v20
	s_or_b64 s[18:19], s[18:19], s[20:21]
	v_lshlrev_b16_e32 v64, 8, v65
	s_and_b64 s[16:17], s[16:17], s[18:19]
	v_or_b32_sdwa v63, v63, v64 dst_sel:DWORD dst_unused:UNUSED_PAD src0_sel:BYTE_0 src1_sel:DWORD
	v_lshlrev_b16_e32 v64, 8, v69
	v_cndmask_b32_e64 v73, v73, v74, s[26:27]
	v_cndmask_b32_e64 v66, v77, v80, s[16:17]
	v_or_b32_sdwa v64, v67, v64 dst_sel:WORD_1 dst_unused:UNUSED_PAD src0_sel:BYTE_0 src1_sel:DWORD
	v_cndmask_b32_e64 v71, v71, v72, s[24:25]
	v_or_b32_sdwa v64, v63, v64 dst_sel:DWORD dst_unused:UNUSED_PAD src0_sel:WORD_0 src1_sel:DWORD
	v_lshlrev_b16_e32 v63, 8, v73
	v_lshlrev_b16_e32 v65, 8, v66
	v_or_b32_sdwa v63, v71, v63 dst_sel:DWORD dst_unused:UNUSED_PAD src0_sel:BYTE_0 src1_sel:DWORD
	v_or_b32_sdwa v65, v75, v65 dst_sel:WORD_1 dst_unused:UNUSED_PAD src0_sel:BYTE_0 src1_sel:DWORD
	s_nop 0
	v_or_b32_sdwa v65, v63, v65 dst_sel:DWORD dst_unused:UNUSED_PAD src0_sel:WORD_0 src1_sel:DWORD
	v_mov_b32_e32 v63, v28
	s_barrier
	ds_write_b64 v2, v[64:65]
	s_waitcnt lgkmcnt(0)
	s_barrier
	s_and_saveexec_b64 s[18:19], s[4:5]
	s_cbranch_execz .LBB118_102
; %bb.99:                               ;   in Loop: Header=BB118_2 Depth=1
	s_mov_b64 s[20:21], 0
	v_mov_b32_e32 v63, v28
	v_mov_b32_e32 v64, v29
.LBB118_100:                            ;   Parent Loop BB118_2 Depth=1
                                        ; =>  This Inner Loop Header: Depth=2
	v_sub_u32_e32 v65, v64, v63
	v_lshrrev_b32_e32 v66, 31, v65
	v_add_u32_e32 v65, v65, v66
	v_ashrrev_i32_e32 v65, 1, v65
	v_add_u32_e32 v65, v65, v63
	v_not_b32_e32 v67, v65
	v_add_u32_e32 v66, v24, v65
	v_add3_u32 v67, v25, v67, v26
	ds_read_u8 v66, v66
	ds_read_u8 v67, v67
	v_add_u32_e32 v68, 1, v65
	s_waitcnt lgkmcnt(0)
	v_cmp_lt_u16_e64 s[16:17], v67, v66
	s_nop 1
	v_cndmask_b32_e64 v64, v64, v65, s[16:17]
	v_cndmask_b32_e64 v63, v68, v63, s[16:17]
	v_cmp_ge_i32_e64 s[16:17], v63, v64
	s_or_b64 s[20:21], s[16:17], s[20:21]
	s_andn2_b64 exec, exec, s[20:21]
	s_cbranch_execnz .LBB118_100
; %bb.101:                              ;   in Loop: Header=BB118_2 Depth=1
	s_or_b64 exec, exec, s[20:21]
.LBB118_102:                            ;   in Loop: Header=BB118_2 Depth=1
	s_or_b64 exec, exec, s[18:19]
	v_add_u32_e32 v67, v63, v24
	v_sub_u32_e32 v68, v30, v63
	ds_read_u8 v63, v67
	ds_read_u8 v64, v68
	v_cmp_le_i32_e64 s[18:19], v26, v67
	v_cmp_gt_i32_e64 s[16:17], v27, v68
                                        ; implicit-def: $vgpr65
                                        ; implicit-def: $vgpr66
	s_waitcnt lgkmcnt(0)
	v_cmp_lt_u16_sdwa s[20:21], v64, v63 src0_sel:BYTE_0 src1_sel:BYTE_0
	s_or_b64 s[18:19], s[18:19], s[20:21]
	s_and_b64 s[16:17], s[16:17], s[18:19]
	s_xor_b64 s[18:19], s[16:17], -1
	s_and_saveexec_b64 s[20:21], s[18:19]
	s_xor_b64 s[18:19], exec, s[20:21]
	s_cbranch_execz .LBB118_104
; %bb.103:                              ;   in Loop: Header=BB118_2 Depth=1
	ds_read_u8 v66, v67 offset:1
	v_mov_b32_e32 v65, v64
.LBB118_104:                            ;   in Loop: Header=BB118_2 Depth=1
	s_andn2_saveexec_b64 s[18:19], s[18:19]
	s_cbranch_execz .LBB118_106
; %bb.105:                              ;   in Loop: Header=BB118_2 Depth=1
	ds_read_u8 v65, v68 offset:1
	s_waitcnt lgkmcnt(1)
	v_mov_b32_e32 v66, v63
.LBB118_106:                            ;   in Loop: Header=BB118_2 Depth=1
	s_or_b64 exec, exec, s[18:19]
	v_add_u32_e32 v70, 1, v67
	v_add_u32_e32 v69, 1, v68
	v_cndmask_b32_e64 v70, v70, v67, s[16:17]
	v_cndmask_b32_e64 v69, v68, v69, s[16:17]
	v_cmp_ge_i32_e64 s[20:21], v70, v26
	s_waitcnt lgkmcnt(0)
	v_cmp_lt_u16_sdwa s[22:23], v65, v66 src0_sel:BYTE_0 src1_sel:BYTE_0
	v_cmp_lt_i32_e64 s[18:19], v69, v27
	s_or_b64 s[20:21], s[20:21], s[22:23]
	s_and_b64 s[18:19], s[18:19], s[20:21]
	s_xor_b64 s[20:21], s[18:19], -1
                                        ; implicit-def: $vgpr67
	s_and_saveexec_b64 s[22:23], s[20:21]
	s_xor_b64 s[20:21], exec, s[22:23]
	s_cbranch_execz .LBB118_108
; %bb.107:                              ;   in Loop: Header=BB118_2 Depth=1
	ds_read_u8 v67, v70 offset:1
.LBB118_108:                            ;   in Loop: Header=BB118_2 Depth=1
	s_or_saveexec_b64 s[20:21], s[20:21]
	v_mov_b32_e32 v68, v65
	s_xor_b64 exec, exec, s[20:21]
	s_cbranch_execz .LBB118_110
; %bb.109:                              ;   in Loop: Header=BB118_2 Depth=1
	ds_read_u8 v68, v69 offset:1
	s_waitcnt lgkmcnt(1)
	v_mov_b32_e32 v67, v66
.LBB118_110:                            ;   in Loop: Header=BB118_2 Depth=1
	s_or_b64 exec, exec, s[20:21]
	v_add_u32_e32 v72, 1, v70
	v_add_u32_e32 v71, 1, v69
	v_cndmask_b32_e64 v72, v72, v70, s[18:19]
	v_cndmask_b32_e64 v71, v69, v71, s[18:19]
	v_cmp_ge_i32_e64 s[22:23], v72, v26
	s_waitcnt lgkmcnt(0)
	v_cmp_lt_u16_sdwa s[24:25], v68, v67 src0_sel:BYTE_0 src1_sel:BYTE_0
	v_cmp_lt_i32_e64 s[20:21], v71, v27
	s_or_b64 s[22:23], s[22:23], s[24:25]
	s_and_b64 s[20:21], s[20:21], s[22:23]
	s_xor_b64 s[22:23], s[20:21], -1
                                        ; implicit-def: $vgpr69
	s_and_saveexec_b64 s[24:25], s[22:23]
	s_xor_b64 s[22:23], exec, s[24:25]
	s_cbranch_execz .LBB118_112
; %bb.111:                              ;   in Loop: Header=BB118_2 Depth=1
	ds_read_u8 v69, v72 offset:1
.LBB118_112:                            ;   in Loop: Header=BB118_2 Depth=1
	s_or_saveexec_b64 s[22:23], s[22:23]
	v_mov_b32_e32 v70, v68
	s_xor_b64 exec, exec, s[22:23]
	s_cbranch_execz .LBB118_114
; %bb.113:                              ;   in Loop: Header=BB118_2 Depth=1
	ds_read_u8 v70, v71 offset:1
	s_waitcnt lgkmcnt(1)
	v_mov_b32_e32 v69, v67
.LBB118_114:                            ;   in Loop: Header=BB118_2 Depth=1
	s_or_b64 exec, exec, s[22:23]
	v_add_u32_e32 v74, 1, v72
	v_add_u32_e32 v73, 1, v71
	v_cndmask_b32_e64 v74, v74, v72, s[20:21]
	v_cndmask_b32_e64 v73, v71, v73, s[20:21]
	v_cmp_ge_i32_e64 s[24:25], v74, v26
	s_waitcnt lgkmcnt(0)
	v_cmp_lt_u16_sdwa s[26:27], v70, v69 src0_sel:BYTE_0 src1_sel:BYTE_0
	v_cmp_lt_i32_e64 s[22:23], v73, v27
	s_or_b64 s[24:25], s[24:25], s[26:27]
	s_and_b64 s[22:23], s[22:23], s[24:25]
	s_xor_b64 s[24:25], s[22:23], -1
                                        ; implicit-def: $vgpr71
	s_and_saveexec_b64 s[26:27], s[24:25]
	s_xor_b64 s[24:25], exec, s[26:27]
	s_cbranch_execz .LBB118_116
; %bb.115:                              ;   in Loop: Header=BB118_2 Depth=1
	ds_read_u8 v71, v74 offset:1
.LBB118_116:                            ;   in Loop: Header=BB118_2 Depth=1
	s_or_saveexec_b64 s[24:25], s[24:25]
	v_mov_b32_e32 v72, v70
	s_xor_b64 exec, exec, s[24:25]
	s_cbranch_execz .LBB118_118
; %bb.117:                              ;   in Loop: Header=BB118_2 Depth=1
	ds_read_u8 v72, v73 offset:1
	s_waitcnt lgkmcnt(1)
	v_mov_b32_e32 v71, v69
.LBB118_118:                            ;   in Loop: Header=BB118_2 Depth=1
	s_or_b64 exec, exec, s[24:25]
	v_add_u32_e32 v76, 1, v74
	v_add_u32_e32 v75, 1, v73
	v_cndmask_b32_e64 v76, v76, v74, s[22:23]
	v_cndmask_b32_e64 v75, v73, v75, s[22:23]
	v_cmp_ge_i32_e64 s[26:27], v76, v26
	s_waitcnt lgkmcnt(0)
	v_cmp_lt_u16_sdwa s[28:29], v72, v71 src0_sel:BYTE_0 src1_sel:BYTE_0
	v_cmp_lt_i32_e64 s[24:25], v75, v27
	s_or_b64 s[26:27], s[26:27], s[28:29]
	s_and_b64 s[24:25], s[24:25], s[26:27]
	s_xor_b64 s[26:27], s[24:25], -1
                                        ; implicit-def: $vgpr73
	s_and_saveexec_b64 s[28:29], s[26:27]
	s_xor_b64 s[26:27], exec, s[28:29]
	s_cbranch_execz .LBB118_120
; %bb.119:                              ;   in Loop: Header=BB118_2 Depth=1
	ds_read_u8 v73, v76 offset:1
.LBB118_120:                            ;   in Loop: Header=BB118_2 Depth=1
	s_or_saveexec_b64 s[26:27], s[26:27]
	v_mov_b32_e32 v74, v72
	s_xor_b64 exec, exec, s[26:27]
	s_cbranch_execz .LBB118_122
; %bb.121:                              ;   in Loop: Header=BB118_2 Depth=1
	ds_read_u8 v74, v75 offset:1
	s_waitcnt lgkmcnt(1)
	v_mov_b32_e32 v73, v71
.LBB118_122:                            ;   in Loop: Header=BB118_2 Depth=1
	s_or_b64 exec, exec, s[26:27]
	v_add_u32_e32 v78, 1, v76
	v_add_u32_e32 v77, 1, v75
	v_cndmask_b32_e64 v79, v78, v76, s[24:25]
	v_cndmask_b32_e64 v77, v75, v77, s[24:25]
	v_cmp_ge_i32_e64 s[28:29], v79, v26
	s_waitcnt lgkmcnt(0)
	v_cmp_lt_u16_sdwa s[30:31], v74, v73 src0_sel:BYTE_0 src1_sel:BYTE_0
	v_cmp_lt_i32_e64 s[26:27], v77, v27
	s_or_b64 s[28:29], s[28:29], s[30:31]
	s_and_b64 s[26:27], s[26:27], s[28:29]
	s_xor_b64 s[28:29], s[26:27], -1
                                        ; implicit-def: $vgpr75
	s_and_saveexec_b64 s[30:31], s[28:29]
	s_xor_b64 s[28:29], exec, s[30:31]
	s_cbranch_execz .LBB118_124
; %bb.123:                              ;   in Loop: Header=BB118_2 Depth=1
	ds_read_u8 v75, v79 offset:1
.LBB118_124:                            ;   in Loop: Header=BB118_2 Depth=1
	s_or_saveexec_b64 s[28:29], s[28:29]
	v_mov_b32_e32 v76, v74
	s_xor_b64 exec, exec, s[28:29]
	s_cbranch_execz .LBB118_126
; %bb.125:                              ;   in Loop: Header=BB118_2 Depth=1
	ds_read_u8 v76, v77 offset:1
	s_waitcnt lgkmcnt(1)
	v_mov_b32_e32 v75, v73
.LBB118_126:                            ;   in Loop: Header=BB118_2 Depth=1
	s_or_b64 exec, exec, s[28:29]
	v_add_u32_e32 v80, 1, v79
	v_add_u32_e32 v78, 1, v77
	v_cndmask_b32_e64 v79, v80, v79, s[26:27]
	v_cndmask_b32_e64 v78, v77, v78, s[26:27]
	v_cmp_ge_i32_e64 s[30:31], v79, v26
	s_waitcnt lgkmcnt(0)
	v_cmp_lt_u16_sdwa s[46:47], v76, v75 src0_sel:BYTE_0 src1_sel:BYTE_0
	v_cmp_lt_i32_e64 s[28:29], v78, v27
	s_or_b64 s[30:31], s[30:31], s[46:47]
	s_and_b64 s[28:29], s[28:29], s[30:31]
	s_xor_b64 s[30:31], s[28:29], -1
                                        ; implicit-def: $vgpr77
	s_and_saveexec_b64 s[46:47], s[30:31]
	s_xor_b64 s[30:31], exec, s[46:47]
	s_cbranch_execz .LBB118_128
; %bb.127:                              ;   in Loop: Header=BB118_2 Depth=1
	ds_read_u8 v77, v79 offset:1
.LBB118_128:                            ;   in Loop: Header=BB118_2 Depth=1
	s_or_saveexec_b64 s[30:31], s[30:31]
	v_mov_b32_e32 v80, v76
	s_xor_b64 exec, exec, s[30:31]
	s_cbranch_execz .LBB118_130
; %bb.129:                              ;   in Loop: Header=BB118_2 Depth=1
	ds_read_u8 v80, v78 offset:1
	s_waitcnt lgkmcnt(1)
	v_mov_b32_e32 v77, v75
.LBB118_130:                            ;   in Loop: Header=BB118_2 Depth=1
	s_or_b64 exec, exec, s[30:31]
	v_cndmask_b32_e64 v75, v75, v76, s[28:29]
	v_add_u32_e32 v76, 1, v78
	v_add_u32_e32 v81, 1, v79
	v_cndmask_b32_e64 v76, v78, v76, s[28:29]
	v_cndmask_b32_e64 v78, v81, v79, s[28:29]
	;; [unrolled: 1-line block ×4, first 2 shown]
	v_cmp_ge_i32_e64 s[18:19], v78, v26
	s_waitcnt lgkmcnt(0)
	v_cmp_lt_u16_sdwa s[20:21], v80, v77 src0_sel:BYTE_0 src1_sel:BYTE_0
	v_cndmask_b32_e64 v69, v69, v70, s[22:23]
	v_cndmask_b32_e64 v63, v63, v64, s[16:17]
	v_cmp_lt_i32_e64 s[16:17], v76, v27
	s_or_b64 s[18:19], s[18:19], s[20:21]
	v_lshlrev_b16_e32 v64, 8, v65
	s_and_b64 s[16:17], s[16:17], s[18:19]
	v_or_b32_sdwa v63, v63, v64 dst_sel:DWORD dst_unused:UNUSED_PAD src0_sel:BYTE_0 src1_sel:DWORD
	v_lshlrev_b16_e32 v64, 8, v69
	v_cndmask_b32_e64 v73, v73, v74, s[26:27]
	v_cndmask_b32_e64 v66, v77, v80, s[16:17]
	v_or_b32_sdwa v64, v67, v64 dst_sel:WORD_1 dst_unused:UNUSED_PAD src0_sel:BYTE_0 src1_sel:DWORD
	v_cndmask_b32_e64 v71, v71, v72, s[24:25]
	v_or_b32_sdwa v64, v63, v64 dst_sel:DWORD dst_unused:UNUSED_PAD src0_sel:WORD_0 src1_sel:DWORD
	v_lshlrev_b16_e32 v63, 8, v73
	v_lshlrev_b16_e32 v65, 8, v66
	v_or_b32_sdwa v63, v71, v63 dst_sel:DWORD dst_unused:UNUSED_PAD src0_sel:BYTE_0 src1_sel:DWORD
	v_or_b32_sdwa v65, v75, v65 dst_sel:WORD_1 dst_unused:UNUSED_PAD src0_sel:BYTE_0 src1_sel:DWORD
	s_nop 0
	v_or_b32_sdwa v65, v63, v65 dst_sel:DWORD dst_unused:UNUSED_PAD src0_sel:WORD_0 src1_sel:DWORD
	v_mov_b32_e32 v63, v35
	s_barrier
	ds_write_b64 v2, v[64:65]
	s_waitcnt lgkmcnt(0)
	s_barrier
	s_and_saveexec_b64 s[18:19], s[6:7]
	s_cbranch_execz .LBB118_134
; %bb.131:                              ;   in Loop: Header=BB118_2 Depth=1
	s_mov_b64 s[20:21], 0
	v_mov_b32_e32 v63, v35
	v_mov_b32_e32 v64, v36
.LBB118_132:                            ;   Parent Loop BB118_2 Depth=1
                                        ; =>  This Inner Loop Header: Depth=2
	v_sub_u32_e32 v65, v64, v63
	v_lshrrev_b32_e32 v66, 31, v65
	v_add_u32_e32 v65, v65, v66
	v_ashrrev_i32_e32 v65, 1, v65
	v_add_u32_e32 v65, v65, v63
	v_not_b32_e32 v67, v65
	v_add_u32_e32 v66, v31, v65
	v_add3_u32 v67, v32, v67, v33
	ds_read_u8 v66, v66
	ds_read_u8 v67, v67
	v_add_u32_e32 v68, 1, v65
	s_waitcnt lgkmcnt(0)
	v_cmp_lt_u16_e64 s[16:17], v67, v66
	s_nop 1
	v_cndmask_b32_e64 v64, v64, v65, s[16:17]
	v_cndmask_b32_e64 v63, v68, v63, s[16:17]
	v_cmp_ge_i32_e64 s[16:17], v63, v64
	s_or_b64 s[20:21], s[16:17], s[20:21]
	s_andn2_b64 exec, exec, s[20:21]
	s_cbranch_execnz .LBB118_132
; %bb.133:                              ;   in Loop: Header=BB118_2 Depth=1
	s_or_b64 exec, exec, s[20:21]
.LBB118_134:                            ;   in Loop: Header=BB118_2 Depth=1
	s_or_b64 exec, exec, s[18:19]
	v_add_u32_e32 v67, v63, v31
	v_sub_u32_e32 v68, v58, v63
	ds_read_u8 v63, v67
	ds_read_u8 v64, v68
	v_cmp_le_i32_e64 s[18:19], v33, v67
	v_cmp_gt_i32_e64 s[16:17], v34, v68
                                        ; implicit-def: $vgpr65
                                        ; implicit-def: $vgpr66
	s_waitcnt lgkmcnt(0)
	v_cmp_lt_u16_sdwa s[20:21], v64, v63 src0_sel:BYTE_0 src1_sel:BYTE_0
	s_or_b64 s[18:19], s[18:19], s[20:21]
	s_and_b64 s[16:17], s[16:17], s[18:19]
	s_xor_b64 s[18:19], s[16:17], -1
	s_and_saveexec_b64 s[20:21], s[18:19]
	s_xor_b64 s[18:19], exec, s[20:21]
	s_cbranch_execz .LBB118_136
; %bb.135:                              ;   in Loop: Header=BB118_2 Depth=1
	ds_read_u8 v66, v67 offset:1
	v_mov_b32_e32 v65, v64
.LBB118_136:                            ;   in Loop: Header=BB118_2 Depth=1
	s_andn2_saveexec_b64 s[18:19], s[18:19]
	s_cbranch_execz .LBB118_138
; %bb.137:                              ;   in Loop: Header=BB118_2 Depth=1
	ds_read_u8 v65, v68 offset:1
	s_waitcnt lgkmcnt(1)
	v_mov_b32_e32 v66, v63
.LBB118_138:                            ;   in Loop: Header=BB118_2 Depth=1
	s_or_b64 exec, exec, s[18:19]
	v_add_u32_e32 v70, 1, v67
	v_add_u32_e32 v69, 1, v68
	v_cndmask_b32_e64 v70, v70, v67, s[16:17]
	v_cndmask_b32_e64 v69, v68, v69, s[16:17]
	v_cmp_ge_i32_e64 s[20:21], v70, v33
	s_waitcnt lgkmcnt(0)
	v_cmp_lt_u16_sdwa s[22:23], v65, v66 src0_sel:BYTE_0 src1_sel:BYTE_0
	v_cmp_lt_i32_e64 s[18:19], v69, v34
	s_or_b64 s[20:21], s[20:21], s[22:23]
	s_and_b64 s[18:19], s[18:19], s[20:21]
	s_xor_b64 s[20:21], s[18:19], -1
                                        ; implicit-def: $vgpr67
	s_and_saveexec_b64 s[22:23], s[20:21]
	s_xor_b64 s[20:21], exec, s[22:23]
	s_cbranch_execz .LBB118_140
; %bb.139:                              ;   in Loop: Header=BB118_2 Depth=1
	ds_read_u8 v67, v70 offset:1
.LBB118_140:                            ;   in Loop: Header=BB118_2 Depth=1
	s_or_saveexec_b64 s[20:21], s[20:21]
	v_mov_b32_e32 v68, v65
	s_xor_b64 exec, exec, s[20:21]
	s_cbranch_execz .LBB118_142
; %bb.141:                              ;   in Loop: Header=BB118_2 Depth=1
	ds_read_u8 v68, v69 offset:1
	s_waitcnt lgkmcnt(1)
	v_mov_b32_e32 v67, v66
.LBB118_142:                            ;   in Loop: Header=BB118_2 Depth=1
	s_or_b64 exec, exec, s[20:21]
	v_add_u32_e32 v72, 1, v70
	v_add_u32_e32 v71, 1, v69
	v_cndmask_b32_e64 v72, v72, v70, s[18:19]
	v_cndmask_b32_e64 v71, v69, v71, s[18:19]
	v_cmp_ge_i32_e64 s[22:23], v72, v33
	s_waitcnt lgkmcnt(0)
	v_cmp_lt_u16_sdwa s[24:25], v68, v67 src0_sel:BYTE_0 src1_sel:BYTE_0
	v_cmp_lt_i32_e64 s[20:21], v71, v34
	s_or_b64 s[22:23], s[22:23], s[24:25]
	s_and_b64 s[20:21], s[20:21], s[22:23]
	s_xor_b64 s[22:23], s[20:21], -1
                                        ; implicit-def: $vgpr69
	s_and_saveexec_b64 s[24:25], s[22:23]
	s_xor_b64 s[22:23], exec, s[24:25]
	s_cbranch_execz .LBB118_144
; %bb.143:                              ;   in Loop: Header=BB118_2 Depth=1
	ds_read_u8 v69, v72 offset:1
.LBB118_144:                            ;   in Loop: Header=BB118_2 Depth=1
	s_or_saveexec_b64 s[22:23], s[22:23]
	v_mov_b32_e32 v70, v68
	s_xor_b64 exec, exec, s[22:23]
	s_cbranch_execz .LBB118_146
; %bb.145:                              ;   in Loop: Header=BB118_2 Depth=1
	ds_read_u8 v70, v71 offset:1
	s_waitcnt lgkmcnt(1)
	v_mov_b32_e32 v69, v67
.LBB118_146:                            ;   in Loop: Header=BB118_2 Depth=1
	s_or_b64 exec, exec, s[22:23]
	v_add_u32_e32 v74, 1, v72
	v_add_u32_e32 v73, 1, v71
	v_cndmask_b32_e64 v74, v74, v72, s[20:21]
	v_cndmask_b32_e64 v73, v71, v73, s[20:21]
	v_cmp_ge_i32_e64 s[24:25], v74, v33
	s_waitcnt lgkmcnt(0)
	v_cmp_lt_u16_sdwa s[26:27], v70, v69 src0_sel:BYTE_0 src1_sel:BYTE_0
	v_cmp_lt_i32_e64 s[22:23], v73, v34
	s_or_b64 s[24:25], s[24:25], s[26:27]
	s_and_b64 s[22:23], s[22:23], s[24:25]
	s_xor_b64 s[24:25], s[22:23], -1
                                        ; implicit-def: $vgpr71
	s_and_saveexec_b64 s[26:27], s[24:25]
	s_xor_b64 s[24:25], exec, s[26:27]
	s_cbranch_execz .LBB118_148
; %bb.147:                              ;   in Loop: Header=BB118_2 Depth=1
	ds_read_u8 v71, v74 offset:1
.LBB118_148:                            ;   in Loop: Header=BB118_2 Depth=1
	s_or_saveexec_b64 s[24:25], s[24:25]
	v_mov_b32_e32 v72, v70
	s_xor_b64 exec, exec, s[24:25]
	s_cbranch_execz .LBB118_150
; %bb.149:                              ;   in Loop: Header=BB118_2 Depth=1
	ds_read_u8 v72, v73 offset:1
	s_waitcnt lgkmcnt(1)
	v_mov_b32_e32 v71, v69
.LBB118_150:                            ;   in Loop: Header=BB118_2 Depth=1
	s_or_b64 exec, exec, s[24:25]
	v_add_u32_e32 v76, 1, v74
	v_add_u32_e32 v75, 1, v73
	v_cndmask_b32_e64 v76, v76, v74, s[22:23]
	v_cndmask_b32_e64 v75, v73, v75, s[22:23]
	v_cmp_ge_i32_e64 s[26:27], v76, v33
	s_waitcnt lgkmcnt(0)
	v_cmp_lt_u16_sdwa s[28:29], v72, v71 src0_sel:BYTE_0 src1_sel:BYTE_0
	v_cmp_lt_i32_e64 s[24:25], v75, v34
	s_or_b64 s[26:27], s[26:27], s[28:29]
	s_and_b64 s[24:25], s[24:25], s[26:27]
	s_xor_b64 s[26:27], s[24:25], -1
                                        ; implicit-def: $vgpr73
	s_and_saveexec_b64 s[28:29], s[26:27]
	s_xor_b64 s[26:27], exec, s[28:29]
	s_cbranch_execz .LBB118_152
; %bb.151:                              ;   in Loop: Header=BB118_2 Depth=1
	ds_read_u8 v73, v76 offset:1
.LBB118_152:                            ;   in Loop: Header=BB118_2 Depth=1
	s_or_saveexec_b64 s[26:27], s[26:27]
	v_mov_b32_e32 v74, v72
	s_xor_b64 exec, exec, s[26:27]
	s_cbranch_execz .LBB118_154
; %bb.153:                              ;   in Loop: Header=BB118_2 Depth=1
	ds_read_u8 v74, v75 offset:1
	s_waitcnt lgkmcnt(1)
	v_mov_b32_e32 v73, v71
.LBB118_154:                            ;   in Loop: Header=BB118_2 Depth=1
	s_or_b64 exec, exec, s[26:27]
	v_add_u32_e32 v78, 1, v76
	v_add_u32_e32 v77, 1, v75
	v_cndmask_b32_e64 v79, v78, v76, s[24:25]
	v_cndmask_b32_e64 v77, v75, v77, s[24:25]
	v_cmp_ge_i32_e64 s[28:29], v79, v33
	s_waitcnt lgkmcnt(0)
	v_cmp_lt_u16_sdwa s[30:31], v74, v73 src0_sel:BYTE_0 src1_sel:BYTE_0
	v_cmp_lt_i32_e64 s[26:27], v77, v34
	s_or_b64 s[28:29], s[28:29], s[30:31]
	s_and_b64 s[26:27], s[26:27], s[28:29]
	s_xor_b64 s[28:29], s[26:27], -1
                                        ; implicit-def: $vgpr75
	s_and_saveexec_b64 s[30:31], s[28:29]
	s_xor_b64 s[28:29], exec, s[30:31]
	s_cbranch_execz .LBB118_156
; %bb.155:                              ;   in Loop: Header=BB118_2 Depth=1
	ds_read_u8 v75, v79 offset:1
.LBB118_156:                            ;   in Loop: Header=BB118_2 Depth=1
	s_or_saveexec_b64 s[28:29], s[28:29]
	v_mov_b32_e32 v76, v74
	s_xor_b64 exec, exec, s[28:29]
	s_cbranch_execz .LBB118_158
; %bb.157:                              ;   in Loop: Header=BB118_2 Depth=1
	ds_read_u8 v76, v77 offset:1
	s_waitcnt lgkmcnt(1)
	v_mov_b32_e32 v75, v73
.LBB118_158:                            ;   in Loop: Header=BB118_2 Depth=1
	s_or_b64 exec, exec, s[28:29]
	v_add_u32_e32 v80, 1, v79
	v_add_u32_e32 v78, 1, v77
	v_cndmask_b32_e64 v79, v80, v79, s[26:27]
	v_cndmask_b32_e64 v78, v77, v78, s[26:27]
	v_cmp_ge_i32_e64 s[30:31], v79, v33
	s_waitcnt lgkmcnt(0)
	v_cmp_lt_u16_sdwa s[46:47], v76, v75 src0_sel:BYTE_0 src1_sel:BYTE_0
	v_cmp_lt_i32_e64 s[28:29], v78, v34
	s_or_b64 s[30:31], s[30:31], s[46:47]
	s_and_b64 s[28:29], s[28:29], s[30:31]
	s_xor_b64 s[30:31], s[28:29], -1
                                        ; implicit-def: $vgpr77
	s_and_saveexec_b64 s[46:47], s[30:31]
	s_xor_b64 s[30:31], exec, s[46:47]
	s_cbranch_execz .LBB118_160
; %bb.159:                              ;   in Loop: Header=BB118_2 Depth=1
	ds_read_u8 v77, v79 offset:1
.LBB118_160:                            ;   in Loop: Header=BB118_2 Depth=1
	s_or_saveexec_b64 s[30:31], s[30:31]
	v_mov_b32_e32 v80, v76
	s_xor_b64 exec, exec, s[30:31]
	s_cbranch_execz .LBB118_162
; %bb.161:                              ;   in Loop: Header=BB118_2 Depth=1
	ds_read_u8 v80, v78 offset:1
	s_waitcnt lgkmcnt(1)
	v_mov_b32_e32 v77, v75
.LBB118_162:                            ;   in Loop: Header=BB118_2 Depth=1
	s_or_b64 exec, exec, s[30:31]
	v_cndmask_b32_e64 v75, v75, v76, s[28:29]
	v_add_u32_e32 v76, 1, v78
	v_add_u32_e32 v81, 1, v79
	v_cndmask_b32_e64 v76, v78, v76, s[28:29]
	v_cndmask_b32_e64 v78, v81, v79, s[28:29]
	;; [unrolled: 1-line block ×4, first 2 shown]
	v_cmp_ge_i32_e64 s[18:19], v78, v33
	s_waitcnt lgkmcnt(0)
	v_cmp_lt_u16_sdwa s[20:21], v80, v77 src0_sel:BYTE_0 src1_sel:BYTE_0
	v_cndmask_b32_e64 v69, v69, v70, s[22:23]
	v_cndmask_b32_e64 v63, v63, v64, s[16:17]
	v_cmp_lt_i32_e64 s[16:17], v76, v34
	s_or_b64 s[18:19], s[18:19], s[20:21]
	v_lshlrev_b16_e32 v64, 8, v65
	s_and_b64 s[16:17], s[16:17], s[18:19]
	v_or_b32_sdwa v63, v63, v64 dst_sel:DWORD dst_unused:UNUSED_PAD src0_sel:BYTE_0 src1_sel:DWORD
	v_lshlrev_b16_e32 v64, 8, v69
	v_cndmask_b32_e64 v73, v73, v74, s[26:27]
	v_cndmask_b32_e64 v66, v77, v80, s[16:17]
	v_or_b32_sdwa v64, v67, v64 dst_sel:WORD_1 dst_unused:UNUSED_PAD src0_sel:BYTE_0 src1_sel:DWORD
	v_cndmask_b32_e64 v71, v71, v72, s[24:25]
	v_or_b32_sdwa v64, v63, v64 dst_sel:DWORD dst_unused:UNUSED_PAD src0_sel:WORD_0 src1_sel:DWORD
	v_lshlrev_b16_e32 v63, 8, v73
	v_lshlrev_b16_e32 v65, 8, v66
	v_or_b32_sdwa v63, v71, v63 dst_sel:DWORD dst_unused:UNUSED_PAD src0_sel:BYTE_0 src1_sel:DWORD
	v_or_b32_sdwa v65, v75, v65 dst_sel:WORD_1 dst_unused:UNUSED_PAD src0_sel:BYTE_0 src1_sel:DWORD
	s_nop 0
	v_or_b32_sdwa v65, v63, v65 dst_sel:DWORD dst_unused:UNUSED_PAD src0_sel:WORD_0 src1_sel:DWORD
	v_mov_b32_e32 v63, v41
	s_barrier
	ds_write_b64 v2, v[64:65]
	s_waitcnt lgkmcnt(0)
	s_barrier
	s_and_saveexec_b64 s[18:19], s[8:9]
	s_cbranch_execz .LBB118_166
; %bb.163:                              ;   in Loop: Header=BB118_2 Depth=1
	s_mov_b64 s[20:21], 0
	v_mov_b32_e32 v63, v41
	v_mov_b32_e32 v64, v42
.LBB118_164:                            ;   Parent Loop BB118_2 Depth=1
                                        ; =>  This Inner Loop Header: Depth=2
	v_sub_u32_e32 v65, v64, v63
	v_lshrrev_b32_e32 v66, 31, v65
	v_add_u32_e32 v65, v65, v66
	v_ashrrev_i32_e32 v65, 1, v65
	v_add_u32_e32 v65, v65, v63
	v_not_b32_e32 v67, v65
	v_add_u32_e32 v66, v37, v65
	v_add3_u32 v67, v38, v67, v39
	ds_read_u8 v66, v66
	ds_read_u8 v67, v67
	v_add_u32_e32 v68, 1, v65
	s_waitcnt lgkmcnt(0)
	v_cmp_lt_u16_e64 s[16:17], v67, v66
	s_nop 1
	v_cndmask_b32_e64 v64, v64, v65, s[16:17]
	v_cndmask_b32_e64 v63, v68, v63, s[16:17]
	v_cmp_ge_i32_e64 s[16:17], v63, v64
	s_or_b64 s[20:21], s[16:17], s[20:21]
	s_andn2_b64 exec, exec, s[20:21]
	s_cbranch_execnz .LBB118_164
; %bb.165:                              ;   in Loop: Header=BB118_2 Depth=1
	s_or_b64 exec, exec, s[20:21]
.LBB118_166:                            ;   in Loop: Header=BB118_2 Depth=1
	s_or_b64 exec, exec, s[18:19]
	v_add_u32_e32 v67, v63, v37
	v_sub_u32_e32 v68, v59, v63
	ds_read_u8 v63, v67
	ds_read_u8 v64, v68
	v_cmp_le_i32_e64 s[18:19], v39, v67
	v_cmp_gt_i32_e64 s[16:17], v40, v68
                                        ; implicit-def: $vgpr65
                                        ; implicit-def: $vgpr66
	s_waitcnt lgkmcnt(0)
	v_cmp_lt_u16_sdwa s[20:21], v64, v63 src0_sel:BYTE_0 src1_sel:BYTE_0
	s_or_b64 s[18:19], s[18:19], s[20:21]
	s_and_b64 s[16:17], s[16:17], s[18:19]
	s_xor_b64 s[18:19], s[16:17], -1
	s_and_saveexec_b64 s[20:21], s[18:19]
	s_xor_b64 s[18:19], exec, s[20:21]
	s_cbranch_execz .LBB118_168
; %bb.167:                              ;   in Loop: Header=BB118_2 Depth=1
	ds_read_u8 v66, v67 offset:1
	v_mov_b32_e32 v65, v64
.LBB118_168:                            ;   in Loop: Header=BB118_2 Depth=1
	s_andn2_saveexec_b64 s[18:19], s[18:19]
	s_cbranch_execz .LBB118_170
; %bb.169:                              ;   in Loop: Header=BB118_2 Depth=1
	ds_read_u8 v65, v68 offset:1
	s_waitcnt lgkmcnt(1)
	v_mov_b32_e32 v66, v63
.LBB118_170:                            ;   in Loop: Header=BB118_2 Depth=1
	s_or_b64 exec, exec, s[18:19]
	v_add_u32_e32 v70, 1, v67
	v_add_u32_e32 v69, 1, v68
	v_cndmask_b32_e64 v70, v70, v67, s[16:17]
	v_cndmask_b32_e64 v69, v68, v69, s[16:17]
	v_cmp_ge_i32_e64 s[20:21], v70, v39
	s_waitcnt lgkmcnt(0)
	v_cmp_lt_u16_sdwa s[22:23], v65, v66 src0_sel:BYTE_0 src1_sel:BYTE_0
	v_cmp_lt_i32_e64 s[18:19], v69, v40
	s_or_b64 s[20:21], s[20:21], s[22:23]
	s_and_b64 s[18:19], s[18:19], s[20:21]
	s_xor_b64 s[20:21], s[18:19], -1
                                        ; implicit-def: $vgpr67
	s_and_saveexec_b64 s[22:23], s[20:21]
	s_xor_b64 s[20:21], exec, s[22:23]
	s_cbranch_execz .LBB118_172
; %bb.171:                              ;   in Loop: Header=BB118_2 Depth=1
	ds_read_u8 v67, v70 offset:1
.LBB118_172:                            ;   in Loop: Header=BB118_2 Depth=1
	s_or_saveexec_b64 s[20:21], s[20:21]
	v_mov_b32_e32 v68, v65
	s_xor_b64 exec, exec, s[20:21]
	s_cbranch_execz .LBB118_174
; %bb.173:                              ;   in Loop: Header=BB118_2 Depth=1
	ds_read_u8 v68, v69 offset:1
	s_waitcnt lgkmcnt(1)
	v_mov_b32_e32 v67, v66
.LBB118_174:                            ;   in Loop: Header=BB118_2 Depth=1
	s_or_b64 exec, exec, s[20:21]
	v_add_u32_e32 v72, 1, v70
	v_add_u32_e32 v71, 1, v69
	v_cndmask_b32_e64 v72, v72, v70, s[18:19]
	v_cndmask_b32_e64 v71, v69, v71, s[18:19]
	v_cmp_ge_i32_e64 s[22:23], v72, v39
	s_waitcnt lgkmcnt(0)
	v_cmp_lt_u16_sdwa s[24:25], v68, v67 src0_sel:BYTE_0 src1_sel:BYTE_0
	v_cmp_lt_i32_e64 s[20:21], v71, v40
	s_or_b64 s[22:23], s[22:23], s[24:25]
	s_and_b64 s[20:21], s[20:21], s[22:23]
	s_xor_b64 s[22:23], s[20:21], -1
                                        ; implicit-def: $vgpr69
	s_and_saveexec_b64 s[24:25], s[22:23]
	s_xor_b64 s[22:23], exec, s[24:25]
	s_cbranch_execz .LBB118_176
; %bb.175:                              ;   in Loop: Header=BB118_2 Depth=1
	ds_read_u8 v69, v72 offset:1
.LBB118_176:                            ;   in Loop: Header=BB118_2 Depth=1
	s_or_saveexec_b64 s[22:23], s[22:23]
	v_mov_b32_e32 v70, v68
	s_xor_b64 exec, exec, s[22:23]
	s_cbranch_execz .LBB118_178
; %bb.177:                              ;   in Loop: Header=BB118_2 Depth=1
	ds_read_u8 v70, v71 offset:1
	s_waitcnt lgkmcnt(1)
	v_mov_b32_e32 v69, v67
.LBB118_178:                            ;   in Loop: Header=BB118_2 Depth=1
	s_or_b64 exec, exec, s[22:23]
	v_add_u32_e32 v74, 1, v72
	v_add_u32_e32 v73, 1, v71
	v_cndmask_b32_e64 v74, v74, v72, s[20:21]
	v_cndmask_b32_e64 v73, v71, v73, s[20:21]
	v_cmp_ge_i32_e64 s[24:25], v74, v39
	s_waitcnt lgkmcnt(0)
	v_cmp_lt_u16_sdwa s[26:27], v70, v69 src0_sel:BYTE_0 src1_sel:BYTE_0
	v_cmp_lt_i32_e64 s[22:23], v73, v40
	s_or_b64 s[24:25], s[24:25], s[26:27]
	s_and_b64 s[22:23], s[22:23], s[24:25]
	s_xor_b64 s[24:25], s[22:23], -1
                                        ; implicit-def: $vgpr71
	s_and_saveexec_b64 s[26:27], s[24:25]
	s_xor_b64 s[24:25], exec, s[26:27]
	s_cbranch_execz .LBB118_180
; %bb.179:                              ;   in Loop: Header=BB118_2 Depth=1
	ds_read_u8 v71, v74 offset:1
.LBB118_180:                            ;   in Loop: Header=BB118_2 Depth=1
	s_or_saveexec_b64 s[24:25], s[24:25]
	v_mov_b32_e32 v72, v70
	s_xor_b64 exec, exec, s[24:25]
	s_cbranch_execz .LBB118_182
; %bb.181:                              ;   in Loop: Header=BB118_2 Depth=1
	ds_read_u8 v72, v73 offset:1
	s_waitcnt lgkmcnt(1)
	v_mov_b32_e32 v71, v69
.LBB118_182:                            ;   in Loop: Header=BB118_2 Depth=1
	s_or_b64 exec, exec, s[24:25]
	v_add_u32_e32 v76, 1, v74
	v_add_u32_e32 v75, 1, v73
	v_cndmask_b32_e64 v76, v76, v74, s[22:23]
	v_cndmask_b32_e64 v75, v73, v75, s[22:23]
	v_cmp_ge_i32_e64 s[26:27], v76, v39
	s_waitcnt lgkmcnt(0)
	v_cmp_lt_u16_sdwa s[28:29], v72, v71 src0_sel:BYTE_0 src1_sel:BYTE_0
	v_cmp_lt_i32_e64 s[24:25], v75, v40
	s_or_b64 s[26:27], s[26:27], s[28:29]
	s_and_b64 s[24:25], s[24:25], s[26:27]
	s_xor_b64 s[26:27], s[24:25], -1
                                        ; implicit-def: $vgpr73
	s_and_saveexec_b64 s[28:29], s[26:27]
	s_xor_b64 s[26:27], exec, s[28:29]
	s_cbranch_execz .LBB118_184
; %bb.183:                              ;   in Loop: Header=BB118_2 Depth=1
	ds_read_u8 v73, v76 offset:1
.LBB118_184:                            ;   in Loop: Header=BB118_2 Depth=1
	s_or_saveexec_b64 s[26:27], s[26:27]
	v_mov_b32_e32 v74, v72
	s_xor_b64 exec, exec, s[26:27]
	s_cbranch_execz .LBB118_186
; %bb.185:                              ;   in Loop: Header=BB118_2 Depth=1
	ds_read_u8 v74, v75 offset:1
	s_waitcnt lgkmcnt(1)
	v_mov_b32_e32 v73, v71
.LBB118_186:                            ;   in Loop: Header=BB118_2 Depth=1
	s_or_b64 exec, exec, s[26:27]
	v_add_u32_e32 v78, 1, v76
	v_add_u32_e32 v77, 1, v75
	v_cndmask_b32_e64 v79, v78, v76, s[24:25]
	v_cndmask_b32_e64 v77, v75, v77, s[24:25]
	v_cmp_ge_i32_e64 s[28:29], v79, v39
	s_waitcnt lgkmcnt(0)
	v_cmp_lt_u16_sdwa s[30:31], v74, v73 src0_sel:BYTE_0 src1_sel:BYTE_0
	v_cmp_lt_i32_e64 s[26:27], v77, v40
	s_or_b64 s[28:29], s[28:29], s[30:31]
	s_and_b64 s[26:27], s[26:27], s[28:29]
	s_xor_b64 s[28:29], s[26:27], -1
                                        ; implicit-def: $vgpr75
	s_and_saveexec_b64 s[30:31], s[28:29]
	s_xor_b64 s[28:29], exec, s[30:31]
	s_cbranch_execz .LBB118_188
; %bb.187:                              ;   in Loop: Header=BB118_2 Depth=1
	ds_read_u8 v75, v79 offset:1
.LBB118_188:                            ;   in Loop: Header=BB118_2 Depth=1
	s_or_saveexec_b64 s[28:29], s[28:29]
	v_mov_b32_e32 v76, v74
	s_xor_b64 exec, exec, s[28:29]
	s_cbranch_execz .LBB118_190
; %bb.189:                              ;   in Loop: Header=BB118_2 Depth=1
	ds_read_u8 v76, v77 offset:1
	s_waitcnt lgkmcnt(1)
	v_mov_b32_e32 v75, v73
.LBB118_190:                            ;   in Loop: Header=BB118_2 Depth=1
	s_or_b64 exec, exec, s[28:29]
	v_add_u32_e32 v80, 1, v79
	v_add_u32_e32 v78, 1, v77
	v_cndmask_b32_e64 v79, v80, v79, s[26:27]
	v_cndmask_b32_e64 v78, v77, v78, s[26:27]
	v_cmp_ge_i32_e64 s[30:31], v79, v39
	s_waitcnt lgkmcnt(0)
	v_cmp_lt_u16_sdwa s[46:47], v76, v75 src0_sel:BYTE_0 src1_sel:BYTE_0
	v_cmp_lt_i32_e64 s[28:29], v78, v40
	s_or_b64 s[30:31], s[30:31], s[46:47]
	s_and_b64 s[28:29], s[28:29], s[30:31]
	s_xor_b64 s[30:31], s[28:29], -1
                                        ; implicit-def: $vgpr77
	s_and_saveexec_b64 s[46:47], s[30:31]
	s_xor_b64 s[30:31], exec, s[46:47]
	s_cbranch_execz .LBB118_192
; %bb.191:                              ;   in Loop: Header=BB118_2 Depth=1
	ds_read_u8 v77, v79 offset:1
.LBB118_192:                            ;   in Loop: Header=BB118_2 Depth=1
	s_or_saveexec_b64 s[30:31], s[30:31]
	v_mov_b32_e32 v80, v76
	s_xor_b64 exec, exec, s[30:31]
	s_cbranch_execz .LBB118_194
; %bb.193:                              ;   in Loop: Header=BB118_2 Depth=1
	ds_read_u8 v80, v78 offset:1
	s_waitcnt lgkmcnt(1)
	v_mov_b32_e32 v77, v75
.LBB118_194:                            ;   in Loop: Header=BB118_2 Depth=1
	s_or_b64 exec, exec, s[30:31]
	v_cndmask_b32_e64 v75, v75, v76, s[28:29]
	v_add_u32_e32 v76, 1, v78
	v_add_u32_e32 v81, 1, v79
	v_cndmask_b32_e64 v76, v78, v76, s[28:29]
	v_cndmask_b32_e64 v78, v81, v79, s[28:29]
	;; [unrolled: 1-line block ×4, first 2 shown]
	v_cmp_ge_i32_e64 s[18:19], v78, v39
	s_waitcnt lgkmcnt(0)
	v_cmp_lt_u16_sdwa s[20:21], v80, v77 src0_sel:BYTE_0 src1_sel:BYTE_0
	v_cndmask_b32_e64 v69, v69, v70, s[22:23]
	v_cndmask_b32_e64 v63, v63, v64, s[16:17]
	v_cmp_lt_i32_e64 s[16:17], v76, v40
	s_or_b64 s[18:19], s[18:19], s[20:21]
	v_lshlrev_b16_e32 v64, 8, v65
	s_and_b64 s[16:17], s[16:17], s[18:19]
	v_or_b32_sdwa v63, v63, v64 dst_sel:DWORD dst_unused:UNUSED_PAD src0_sel:BYTE_0 src1_sel:DWORD
	v_lshlrev_b16_e32 v64, 8, v69
	v_cndmask_b32_e64 v73, v73, v74, s[26:27]
	v_cndmask_b32_e64 v66, v77, v80, s[16:17]
	v_or_b32_sdwa v64, v67, v64 dst_sel:WORD_1 dst_unused:UNUSED_PAD src0_sel:BYTE_0 src1_sel:DWORD
	v_cndmask_b32_e64 v71, v71, v72, s[24:25]
	v_or_b32_sdwa v64, v63, v64 dst_sel:DWORD dst_unused:UNUSED_PAD src0_sel:WORD_0 src1_sel:DWORD
	v_lshlrev_b16_e32 v63, 8, v73
	v_lshlrev_b16_e32 v65, 8, v66
	v_or_b32_sdwa v63, v71, v63 dst_sel:DWORD dst_unused:UNUSED_PAD src0_sel:BYTE_0 src1_sel:DWORD
	v_or_b32_sdwa v65, v75, v65 dst_sel:WORD_1 dst_unused:UNUSED_PAD src0_sel:BYTE_0 src1_sel:DWORD
	s_nop 0
	v_or_b32_sdwa v65, v63, v65 dst_sel:DWORD dst_unused:UNUSED_PAD src0_sel:WORD_0 src1_sel:DWORD
	v_mov_b32_e32 v63, v47
	s_barrier
	ds_write_b64 v2, v[64:65]
	s_waitcnt lgkmcnt(0)
	s_barrier
	s_and_saveexec_b64 s[18:19], s[10:11]
	s_cbranch_execz .LBB118_198
; %bb.195:                              ;   in Loop: Header=BB118_2 Depth=1
	s_mov_b64 s[20:21], 0
	v_mov_b32_e32 v63, v47
	v_mov_b32_e32 v64, v48
.LBB118_196:                            ;   Parent Loop BB118_2 Depth=1
                                        ; =>  This Inner Loop Header: Depth=2
	v_sub_u32_e32 v65, v64, v63
	v_lshrrev_b32_e32 v66, 31, v65
	v_add_u32_e32 v65, v65, v66
	v_ashrrev_i32_e32 v65, 1, v65
	v_add_u32_e32 v65, v65, v63
	v_not_b32_e32 v67, v65
	v_add_u32_e32 v66, v43, v65
	v_add3_u32 v67, v44, v67, v45
	ds_read_u8 v66, v66
	ds_read_u8 v67, v67
	v_add_u32_e32 v68, 1, v65
	s_waitcnt lgkmcnt(0)
	v_cmp_lt_u16_e64 s[16:17], v67, v66
	s_nop 1
	v_cndmask_b32_e64 v64, v64, v65, s[16:17]
	v_cndmask_b32_e64 v63, v68, v63, s[16:17]
	v_cmp_ge_i32_e64 s[16:17], v63, v64
	s_or_b64 s[20:21], s[16:17], s[20:21]
	s_andn2_b64 exec, exec, s[20:21]
	s_cbranch_execnz .LBB118_196
; %bb.197:                              ;   in Loop: Header=BB118_2 Depth=1
	s_or_b64 exec, exec, s[20:21]
.LBB118_198:                            ;   in Loop: Header=BB118_2 Depth=1
	s_or_b64 exec, exec, s[18:19]
	v_add_u32_e32 v67, v63, v43
	v_sub_u32_e32 v68, v60, v63
	ds_read_u8 v63, v67
	ds_read_u8 v64, v68
	v_cmp_le_i32_e64 s[18:19], v45, v67
	v_cmp_gt_i32_e64 s[16:17], v46, v68
                                        ; implicit-def: $vgpr65
                                        ; implicit-def: $vgpr66
	s_waitcnt lgkmcnt(0)
	v_cmp_lt_u16_sdwa s[20:21], v64, v63 src0_sel:BYTE_0 src1_sel:BYTE_0
	s_or_b64 s[18:19], s[18:19], s[20:21]
	s_and_b64 s[16:17], s[16:17], s[18:19]
	s_xor_b64 s[18:19], s[16:17], -1
	s_and_saveexec_b64 s[20:21], s[18:19]
	s_xor_b64 s[18:19], exec, s[20:21]
	s_cbranch_execz .LBB118_200
; %bb.199:                              ;   in Loop: Header=BB118_2 Depth=1
	ds_read_u8 v66, v67 offset:1
	v_mov_b32_e32 v65, v64
.LBB118_200:                            ;   in Loop: Header=BB118_2 Depth=1
	s_andn2_saveexec_b64 s[18:19], s[18:19]
	s_cbranch_execz .LBB118_202
; %bb.201:                              ;   in Loop: Header=BB118_2 Depth=1
	ds_read_u8 v65, v68 offset:1
	s_waitcnt lgkmcnt(1)
	v_mov_b32_e32 v66, v63
.LBB118_202:                            ;   in Loop: Header=BB118_2 Depth=1
	s_or_b64 exec, exec, s[18:19]
	v_add_u32_e32 v70, 1, v67
	v_add_u32_e32 v69, 1, v68
	v_cndmask_b32_e64 v70, v70, v67, s[16:17]
	v_cndmask_b32_e64 v69, v68, v69, s[16:17]
	v_cmp_ge_i32_e64 s[20:21], v70, v45
	s_waitcnt lgkmcnt(0)
	v_cmp_lt_u16_sdwa s[22:23], v65, v66 src0_sel:BYTE_0 src1_sel:BYTE_0
	v_cmp_lt_i32_e64 s[18:19], v69, v46
	s_or_b64 s[20:21], s[20:21], s[22:23]
	s_and_b64 s[18:19], s[18:19], s[20:21]
	s_xor_b64 s[20:21], s[18:19], -1
                                        ; implicit-def: $vgpr67
	s_and_saveexec_b64 s[22:23], s[20:21]
	s_xor_b64 s[20:21], exec, s[22:23]
	s_cbranch_execz .LBB118_204
; %bb.203:                              ;   in Loop: Header=BB118_2 Depth=1
	ds_read_u8 v67, v70 offset:1
.LBB118_204:                            ;   in Loop: Header=BB118_2 Depth=1
	s_or_saveexec_b64 s[20:21], s[20:21]
	v_mov_b32_e32 v68, v65
	s_xor_b64 exec, exec, s[20:21]
	s_cbranch_execz .LBB118_206
; %bb.205:                              ;   in Loop: Header=BB118_2 Depth=1
	ds_read_u8 v68, v69 offset:1
	s_waitcnt lgkmcnt(1)
	v_mov_b32_e32 v67, v66
.LBB118_206:                            ;   in Loop: Header=BB118_2 Depth=1
	s_or_b64 exec, exec, s[20:21]
	v_add_u32_e32 v72, 1, v70
	v_add_u32_e32 v71, 1, v69
	v_cndmask_b32_e64 v72, v72, v70, s[18:19]
	v_cndmask_b32_e64 v71, v69, v71, s[18:19]
	v_cmp_ge_i32_e64 s[22:23], v72, v45
	s_waitcnt lgkmcnt(0)
	v_cmp_lt_u16_sdwa s[24:25], v68, v67 src0_sel:BYTE_0 src1_sel:BYTE_0
	v_cmp_lt_i32_e64 s[20:21], v71, v46
	s_or_b64 s[22:23], s[22:23], s[24:25]
	s_and_b64 s[20:21], s[20:21], s[22:23]
	s_xor_b64 s[22:23], s[20:21], -1
                                        ; implicit-def: $vgpr69
	s_and_saveexec_b64 s[24:25], s[22:23]
	s_xor_b64 s[22:23], exec, s[24:25]
	s_cbranch_execz .LBB118_208
; %bb.207:                              ;   in Loop: Header=BB118_2 Depth=1
	ds_read_u8 v69, v72 offset:1
.LBB118_208:                            ;   in Loop: Header=BB118_2 Depth=1
	s_or_saveexec_b64 s[22:23], s[22:23]
	v_mov_b32_e32 v70, v68
	s_xor_b64 exec, exec, s[22:23]
	s_cbranch_execz .LBB118_210
; %bb.209:                              ;   in Loop: Header=BB118_2 Depth=1
	ds_read_u8 v70, v71 offset:1
	s_waitcnt lgkmcnt(1)
	v_mov_b32_e32 v69, v67
.LBB118_210:                            ;   in Loop: Header=BB118_2 Depth=1
	s_or_b64 exec, exec, s[22:23]
	v_add_u32_e32 v74, 1, v72
	v_add_u32_e32 v73, 1, v71
	v_cndmask_b32_e64 v74, v74, v72, s[20:21]
	v_cndmask_b32_e64 v73, v71, v73, s[20:21]
	v_cmp_ge_i32_e64 s[24:25], v74, v45
	s_waitcnt lgkmcnt(0)
	v_cmp_lt_u16_sdwa s[26:27], v70, v69 src0_sel:BYTE_0 src1_sel:BYTE_0
	v_cmp_lt_i32_e64 s[22:23], v73, v46
	s_or_b64 s[24:25], s[24:25], s[26:27]
	s_and_b64 s[22:23], s[22:23], s[24:25]
	s_xor_b64 s[24:25], s[22:23], -1
                                        ; implicit-def: $vgpr71
	s_and_saveexec_b64 s[26:27], s[24:25]
	s_xor_b64 s[24:25], exec, s[26:27]
	s_cbranch_execz .LBB118_212
; %bb.211:                              ;   in Loop: Header=BB118_2 Depth=1
	ds_read_u8 v71, v74 offset:1
.LBB118_212:                            ;   in Loop: Header=BB118_2 Depth=1
	s_or_saveexec_b64 s[24:25], s[24:25]
	v_mov_b32_e32 v72, v70
	s_xor_b64 exec, exec, s[24:25]
	s_cbranch_execz .LBB118_214
; %bb.213:                              ;   in Loop: Header=BB118_2 Depth=1
	ds_read_u8 v72, v73 offset:1
	s_waitcnt lgkmcnt(1)
	v_mov_b32_e32 v71, v69
.LBB118_214:                            ;   in Loop: Header=BB118_2 Depth=1
	s_or_b64 exec, exec, s[24:25]
	v_add_u32_e32 v76, 1, v74
	v_add_u32_e32 v75, 1, v73
	v_cndmask_b32_e64 v76, v76, v74, s[22:23]
	v_cndmask_b32_e64 v75, v73, v75, s[22:23]
	v_cmp_ge_i32_e64 s[26:27], v76, v45
	s_waitcnt lgkmcnt(0)
	v_cmp_lt_u16_sdwa s[28:29], v72, v71 src0_sel:BYTE_0 src1_sel:BYTE_0
	v_cmp_lt_i32_e64 s[24:25], v75, v46
	s_or_b64 s[26:27], s[26:27], s[28:29]
	s_and_b64 s[24:25], s[24:25], s[26:27]
	s_xor_b64 s[26:27], s[24:25], -1
                                        ; implicit-def: $vgpr73
	s_and_saveexec_b64 s[28:29], s[26:27]
	s_xor_b64 s[26:27], exec, s[28:29]
	s_cbranch_execz .LBB118_216
; %bb.215:                              ;   in Loop: Header=BB118_2 Depth=1
	ds_read_u8 v73, v76 offset:1
.LBB118_216:                            ;   in Loop: Header=BB118_2 Depth=1
	s_or_saveexec_b64 s[26:27], s[26:27]
	v_mov_b32_e32 v74, v72
	s_xor_b64 exec, exec, s[26:27]
	s_cbranch_execz .LBB118_218
; %bb.217:                              ;   in Loop: Header=BB118_2 Depth=1
	ds_read_u8 v74, v75 offset:1
	s_waitcnt lgkmcnt(1)
	v_mov_b32_e32 v73, v71
.LBB118_218:                            ;   in Loop: Header=BB118_2 Depth=1
	s_or_b64 exec, exec, s[26:27]
	v_add_u32_e32 v78, 1, v76
	v_add_u32_e32 v77, 1, v75
	v_cndmask_b32_e64 v79, v78, v76, s[24:25]
	v_cndmask_b32_e64 v77, v75, v77, s[24:25]
	v_cmp_ge_i32_e64 s[28:29], v79, v45
	s_waitcnt lgkmcnt(0)
	v_cmp_lt_u16_sdwa s[30:31], v74, v73 src0_sel:BYTE_0 src1_sel:BYTE_0
	v_cmp_lt_i32_e64 s[26:27], v77, v46
	s_or_b64 s[28:29], s[28:29], s[30:31]
	s_and_b64 s[26:27], s[26:27], s[28:29]
	s_xor_b64 s[28:29], s[26:27], -1
                                        ; implicit-def: $vgpr75
	s_and_saveexec_b64 s[30:31], s[28:29]
	s_xor_b64 s[28:29], exec, s[30:31]
	s_cbranch_execz .LBB118_220
; %bb.219:                              ;   in Loop: Header=BB118_2 Depth=1
	ds_read_u8 v75, v79 offset:1
.LBB118_220:                            ;   in Loop: Header=BB118_2 Depth=1
	s_or_saveexec_b64 s[28:29], s[28:29]
	v_mov_b32_e32 v76, v74
	s_xor_b64 exec, exec, s[28:29]
	s_cbranch_execz .LBB118_222
; %bb.221:                              ;   in Loop: Header=BB118_2 Depth=1
	ds_read_u8 v76, v77 offset:1
	s_waitcnt lgkmcnt(1)
	v_mov_b32_e32 v75, v73
.LBB118_222:                            ;   in Loop: Header=BB118_2 Depth=1
	s_or_b64 exec, exec, s[28:29]
	v_add_u32_e32 v80, 1, v79
	v_add_u32_e32 v78, 1, v77
	v_cndmask_b32_e64 v79, v80, v79, s[26:27]
	v_cndmask_b32_e64 v78, v77, v78, s[26:27]
	v_cmp_ge_i32_e64 s[30:31], v79, v45
	s_waitcnt lgkmcnt(0)
	v_cmp_lt_u16_sdwa s[46:47], v76, v75 src0_sel:BYTE_0 src1_sel:BYTE_0
	v_cmp_lt_i32_e64 s[28:29], v78, v46
	s_or_b64 s[30:31], s[30:31], s[46:47]
	s_and_b64 s[28:29], s[28:29], s[30:31]
	s_xor_b64 s[30:31], s[28:29], -1
                                        ; implicit-def: $vgpr77
	s_and_saveexec_b64 s[46:47], s[30:31]
	s_xor_b64 s[30:31], exec, s[46:47]
	s_cbranch_execz .LBB118_224
; %bb.223:                              ;   in Loop: Header=BB118_2 Depth=1
	ds_read_u8 v77, v79 offset:1
.LBB118_224:                            ;   in Loop: Header=BB118_2 Depth=1
	s_or_saveexec_b64 s[30:31], s[30:31]
	v_mov_b32_e32 v80, v76
	s_xor_b64 exec, exec, s[30:31]
	s_cbranch_execz .LBB118_226
; %bb.225:                              ;   in Loop: Header=BB118_2 Depth=1
	ds_read_u8 v80, v78 offset:1
	s_waitcnt lgkmcnt(1)
	v_mov_b32_e32 v77, v75
.LBB118_226:                            ;   in Loop: Header=BB118_2 Depth=1
	s_or_b64 exec, exec, s[30:31]
	v_cndmask_b32_e64 v75, v75, v76, s[28:29]
	v_add_u32_e32 v76, 1, v78
	v_add_u32_e32 v81, 1, v79
	v_cndmask_b32_e64 v76, v78, v76, s[28:29]
	v_cndmask_b32_e64 v78, v81, v79, s[28:29]
	;; [unrolled: 1-line block ×4, first 2 shown]
	v_cmp_ge_i32_e64 s[18:19], v78, v45
	s_waitcnt lgkmcnt(0)
	v_cmp_lt_u16_sdwa s[20:21], v80, v77 src0_sel:BYTE_0 src1_sel:BYTE_0
	v_cndmask_b32_e64 v69, v69, v70, s[22:23]
	v_cndmask_b32_e64 v63, v63, v64, s[16:17]
	v_cmp_lt_i32_e64 s[16:17], v76, v46
	s_or_b64 s[18:19], s[18:19], s[20:21]
	v_lshlrev_b16_e32 v64, 8, v65
	s_and_b64 s[16:17], s[16:17], s[18:19]
	v_or_b32_sdwa v63, v63, v64 dst_sel:DWORD dst_unused:UNUSED_PAD src0_sel:BYTE_0 src1_sel:DWORD
	v_lshlrev_b16_e32 v64, 8, v69
	v_cndmask_b32_e64 v73, v73, v74, s[26:27]
	v_cndmask_b32_e64 v66, v77, v80, s[16:17]
	v_or_b32_sdwa v64, v67, v64 dst_sel:WORD_1 dst_unused:UNUSED_PAD src0_sel:BYTE_0 src1_sel:DWORD
	v_cndmask_b32_e64 v71, v71, v72, s[24:25]
	v_or_b32_sdwa v64, v63, v64 dst_sel:DWORD dst_unused:UNUSED_PAD src0_sel:WORD_0 src1_sel:DWORD
	v_lshlrev_b16_e32 v63, 8, v73
	v_lshlrev_b16_e32 v65, 8, v66
	v_or_b32_sdwa v63, v71, v63 dst_sel:DWORD dst_unused:UNUSED_PAD src0_sel:BYTE_0 src1_sel:DWORD
	v_or_b32_sdwa v65, v75, v65 dst_sel:WORD_1 dst_unused:UNUSED_PAD src0_sel:BYTE_0 src1_sel:DWORD
	s_nop 0
	v_or_b32_sdwa v65, v63, v65 dst_sel:DWORD dst_unused:UNUSED_PAD src0_sel:WORD_0 src1_sel:DWORD
	v_mov_b32_e32 v63, v54
	s_barrier
	ds_write_b64 v2, v[64:65]
	s_waitcnt lgkmcnt(0)
	s_barrier
	s_and_saveexec_b64 s[18:19], s[12:13]
	s_cbranch_execz .LBB118_230
; %bb.227:                              ;   in Loop: Header=BB118_2 Depth=1
	s_mov_b64 s[20:21], 0
	v_mov_b32_e32 v63, v54
	v_mov_b32_e32 v64, v55
.LBB118_228:                            ;   Parent Loop BB118_2 Depth=1
                                        ; =>  This Inner Loop Header: Depth=2
	v_sub_u32_e32 v65, v64, v63
	v_lshrrev_b32_e32 v66, 31, v65
	v_add_u32_e32 v65, v65, v66
	v_ashrrev_i32_e32 v65, 1, v65
	v_add_u32_e32 v65, v65, v63
	v_not_b32_e32 v67, v65
	v_add_u32_e32 v66, v50, v65
	v_add3_u32 v67, v51, v67, v52
	ds_read_u8 v66, v66
	ds_read_u8 v67, v67
	v_add_u32_e32 v68, 1, v65
	s_waitcnt lgkmcnt(0)
	v_cmp_lt_u16_e64 s[16:17], v67, v66
	s_nop 1
	v_cndmask_b32_e64 v64, v64, v65, s[16:17]
	v_cndmask_b32_e64 v63, v68, v63, s[16:17]
	v_cmp_ge_i32_e64 s[16:17], v63, v64
	s_or_b64 s[20:21], s[16:17], s[20:21]
	s_andn2_b64 exec, exec, s[20:21]
	s_cbranch_execnz .LBB118_228
; %bb.229:                              ;   in Loop: Header=BB118_2 Depth=1
	s_or_b64 exec, exec, s[20:21]
.LBB118_230:                            ;   in Loop: Header=BB118_2 Depth=1
	s_or_b64 exec, exec, s[18:19]
	v_add_u32_e32 v67, v63, v50
	v_sub_u32_e32 v68, v61, v63
	ds_read_u8 v63, v67
	ds_read_u8 v64, v68
	v_cmp_le_i32_e64 s[18:19], v52, v67
	v_cmp_gt_i32_e64 s[16:17], v53, v68
                                        ; implicit-def: $vgpr65
                                        ; implicit-def: $vgpr66
	s_waitcnt lgkmcnt(0)
	v_cmp_lt_u16_sdwa s[20:21], v64, v63 src0_sel:BYTE_0 src1_sel:BYTE_0
	s_or_b64 s[18:19], s[18:19], s[20:21]
	s_and_b64 s[16:17], s[16:17], s[18:19]
	s_xor_b64 s[18:19], s[16:17], -1
	s_and_saveexec_b64 s[20:21], s[18:19]
	s_xor_b64 s[18:19], exec, s[20:21]
	s_cbranch_execz .LBB118_232
; %bb.231:                              ;   in Loop: Header=BB118_2 Depth=1
	ds_read_u8 v66, v67 offset:1
	v_mov_b32_e32 v65, v64
.LBB118_232:                            ;   in Loop: Header=BB118_2 Depth=1
	s_andn2_saveexec_b64 s[18:19], s[18:19]
	s_cbranch_execz .LBB118_234
; %bb.233:                              ;   in Loop: Header=BB118_2 Depth=1
	ds_read_u8 v65, v68 offset:1
	s_waitcnt lgkmcnt(1)
	v_mov_b32_e32 v66, v63
.LBB118_234:                            ;   in Loop: Header=BB118_2 Depth=1
	s_or_b64 exec, exec, s[18:19]
	v_add_u32_e32 v70, 1, v67
	v_add_u32_e32 v69, 1, v68
	v_cndmask_b32_e64 v70, v70, v67, s[16:17]
	v_cndmask_b32_e64 v69, v68, v69, s[16:17]
	v_cmp_ge_i32_e64 s[20:21], v70, v52
	s_waitcnt lgkmcnt(0)
	v_cmp_lt_u16_sdwa s[22:23], v65, v66 src0_sel:BYTE_0 src1_sel:BYTE_0
	v_cmp_lt_i32_e64 s[18:19], v69, v53
	s_or_b64 s[20:21], s[20:21], s[22:23]
	s_and_b64 s[18:19], s[18:19], s[20:21]
	s_xor_b64 s[20:21], s[18:19], -1
                                        ; implicit-def: $vgpr67
	s_and_saveexec_b64 s[22:23], s[20:21]
	s_xor_b64 s[20:21], exec, s[22:23]
	s_cbranch_execz .LBB118_236
; %bb.235:                              ;   in Loop: Header=BB118_2 Depth=1
	ds_read_u8 v67, v70 offset:1
.LBB118_236:                            ;   in Loop: Header=BB118_2 Depth=1
	s_or_saveexec_b64 s[20:21], s[20:21]
	v_mov_b32_e32 v68, v65
	s_xor_b64 exec, exec, s[20:21]
	s_cbranch_execz .LBB118_238
; %bb.237:                              ;   in Loop: Header=BB118_2 Depth=1
	ds_read_u8 v68, v69 offset:1
	s_waitcnt lgkmcnt(1)
	v_mov_b32_e32 v67, v66
.LBB118_238:                            ;   in Loop: Header=BB118_2 Depth=1
	s_or_b64 exec, exec, s[20:21]
	v_add_u32_e32 v72, 1, v70
	v_add_u32_e32 v71, 1, v69
	v_cndmask_b32_e64 v72, v72, v70, s[18:19]
	v_cndmask_b32_e64 v71, v69, v71, s[18:19]
	v_cmp_ge_i32_e64 s[22:23], v72, v52
	s_waitcnt lgkmcnt(0)
	v_cmp_lt_u16_sdwa s[24:25], v68, v67 src0_sel:BYTE_0 src1_sel:BYTE_0
	v_cmp_lt_i32_e64 s[20:21], v71, v53
	s_or_b64 s[22:23], s[22:23], s[24:25]
	s_and_b64 s[20:21], s[20:21], s[22:23]
	s_xor_b64 s[22:23], s[20:21], -1
                                        ; implicit-def: $vgpr69
	s_and_saveexec_b64 s[24:25], s[22:23]
	s_xor_b64 s[22:23], exec, s[24:25]
	s_cbranch_execz .LBB118_240
; %bb.239:                              ;   in Loop: Header=BB118_2 Depth=1
	ds_read_u8 v69, v72 offset:1
.LBB118_240:                            ;   in Loop: Header=BB118_2 Depth=1
	s_or_saveexec_b64 s[22:23], s[22:23]
	v_mov_b32_e32 v70, v68
	s_xor_b64 exec, exec, s[22:23]
	s_cbranch_execz .LBB118_242
; %bb.241:                              ;   in Loop: Header=BB118_2 Depth=1
	ds_read_u8 v70, v71 offset:1
	s_waitcnt lgkmcnt(1)
	v_mov_b32_e32 v69, v67
.LBB118_242:                            ;   in Loop: Header=BB118_2 Depth=1
	s_or_b64 exec, exec, s[22:23]
	v_add_u32_e32 v74, 1, v72
	v_add_u32_e32 v73, 1, v71
	v_cndmask_b32_e64 v74, v74, v72, s[20:21]
	v_cndmask_b32_e64 v73, v71, v73, s[20:21]
	v_cmp_ge_i32_e64 s[24:25], v74, v52
	s_waitcnt lgkmcnt(0)
	v_cmp_lt_u16_sdwa s[26:27], v70, v69 src0_sel:BYTE_0 src1_sel:BYTE_0
	v_cmp_lt_i32_e64 s[22:23], v73, v53
	s_or_b64 s[24:25], s[24:25], s[26:27]
	s_and_b64 s[22:23], s[22:23], s[24:25]
	s_xor_b64 s[24:25], s[22:23], -1
                                        ; implicit-def: $vgpr71
	s_and_saveexec_b64 s[26:27], s[24:25]
	s_xor_b64 s[24:25], exec, s[26:27]
	s_cbranch_execz .LBB118_244
; %bb.243:                              ;   in Loop: Header=BB118_2 Depth=1
	ds_read_u8 v71, v74 offset:1
.LBB118_244:                            ;   in Loop: Header=BB118_2 Depth=1
	s_or_saveexec_b64 s[24:25], s[24:25]
	v_mov_b32_e32 v72, v70
	s_xor_b64 exec, exec, s[24:25]
	s_cbranch_execz .LBB118_246
; %bb.245:                              ;   in Loop: Header=BB118_2 Depth=1
	ds_read_u8 v72, v73 offset:1
	s_waitcnt lgkmcnt(1)
	v_mov_b32_e32 v71, v69
.LBB118_246:                            ;   in Loop: Header=BB118_2 Depth=1
	s_or_b64 exec, exec, s[24:25]
	v_add_u32_e32 v76, 1, v74
	v_add_u32_e32 v75, 1, v73
	v_cndmask_b32_e64 v76, v76, v74, s[22:23]
	v_cndmask_b32_e64 v75, v73, v75, s[22:23]
	v_cmp_ge_i32_e64 s[26:27], v76, v52
	s_waitcnt lgkmcnt(0)
	v_cmp_lt_u16_sdwa s[28:29], v72, v71 src0_sel:BYTE_0 src1_sel:BYTE_0
	v_cmp_lt_i32_e64 s[24:25], v75, v53
	s_or_b64 s[26:27], s[26:27], s[28:29]
	s_and_b64 s[24:25], s[24:25], s[26:27]
	s_xor_b64 s[26:27], s[24:25], -1
                                        ; implicit-def: $vgpr73
	s_and_saveexec_b64 s[28:29], s[26:27]
	s_xor_b64 s[26:27], exec, s[28:29]
	s_cbranch_execz .LBB118_248
; %bb.247:                              ;   in Loop: Header=BB118_2 Depth=1
	ds_read_u8 v73, v76 offset:1
.LBB118_248:                            ;   in Loop: Header=BB118_2 Depth=1
	s_or_saveexec_b64 s[26:27], s[26:27]
	v_mov_b32_e32 v74, v72
	s_xor_b64 exec, exec, s[26:27]
	s_cbranch_execz .LBB118_250
; %bb.249:                              ;   in Loop: Header=BB118_2 Depth=1
	ds_read_u8 v74, v75 offset:1
	s_waitcnt lgkmcnt(1)
	v_mov_b32_e32 v73, v71
.LBB118_250:                            ;   in Loop: Header=BB118_2 Depth=1
	s_or_b64 exec, exec, s[26:27]
	v_add_u32_e32 v78, 1, v76
	v_add_u32_e32 v77, 1, v75
	v_cndmask_b32_e64 v79, v78, v76, s[24:25]
	v_cndmask_b32_e64 v77, v75, v77, s[24:25]
	v_cmp_ge_i32_e64 s[28:29], v79, v52
	s_waitcnt lgkmcnt(0)
	v_cmp_lt_u16_sdwa s[30:31], v74, v73 src0_sel:BYTE_0 src1_sel:BYTE_0
	v_cmp_lt_i32_e64 s[26:27], v77, v53
	s_or_b64 s[28:29], s[28:29], s[30:31]
	s_and_b64 s[26:27], s[26:27], s[28:29]
	s_xor_b64 s[28:29], s[26:27], -1
                                        ; implicit-def: $vgpr75
	s_and_saveexec_b64 s[30:31], s[28:29]
	s_xor_b64 s[28:29], exec, s[30:31]
	s_cbranch_execz .LBB118_252
; %bb.251:                              ;   in Loop: Header=BB118_2 Depth=1
	ds_read_u8 v75, v79 offset:1
.LBB118_252:                            ;   in Loop: Header=BB118_2 Depth=1
	s_or_saveexec_b64 s[28:29], s[28:29]
	v_mov_b32_e32 v76, v74
	s_xor_b64 exec, exec, s[28:29]
	s_cbranch_execz .LBB118_254
; %bb.253:                              ;   in Loop: Header=BB118_2 Depth=1
	ds_read_u8 v76, v77 offset:1
	s_waitcnt lgkmcnt(1)
	v_mov_b32_e32 v75, v73
.LBB118_254:                            ;   in Loop: Header=BB118_2 Depth=1
	s_or_b64 exec, exec, s[28:29]
	v_add_u32_e32 v80, 1, v79
	v_add_u32_e32 v78, 1, v77
	v_cndmask_b32_e64 v79, v80, v79, s[26:27]
	v_cndmask_b32_e64 v78, v77, v78, s[26:27]
	v_cmp_ge_i32_e64 s[30:31], v79, v52
	s_waitcnt lgkmcnt(0)
	v_cmp_lt_u16_sdwa s[46:47], v76, v75 src0_sel:BYTE_0 src1_sel:BYTE_0
	v_cmp_lt_i32_e64 s[28:29], v78, v53
	s_or_b64 s[30:31], s[30:31], s[46:47]
	s_and_b64 s[28:29], s[28:29], s[30:31]
	s_xor_b64 s[30:31], s[28:29], -1
                                        ; implicit-def: $vgpr77
	s_and_saveexec_b64 s[46:47], s[30:31]
	s_xor_b64 s[30:31], exec, s[46:47]
	s_cbranch_execz .LBB118_256
; %bb.255:                              ;   in Loop: Header=BB118_2 Depth=1
	ds_read_u8 v77, v79 offset:1
.LBB118_256:                            ;   in Loop: Header=BB118_2 Depth=1
	s_or_saveexec_b64 s[30:31], s[30:31]
	v_mov_b32_e32 v80, v76
	s_xor_b64 exec, exec, s[30:31]
	s_cbranch_execz .LBB118_258
; %bb.257:                              ;   in Loop: Header=BB118_2 Depth=1
	ds_read_u8 v80, v78 offset:1
	s_waitcnt lgkmcnt(1)
	v_mov_b32_e32 v77, v75
.LBB118_258:                            ;   in Loop: Header=BB118_2 Depth=1
	s_or_b64 exec, exec, s[30:31]
	v_cndmask_b32_e64 v75, v75, v76, s[28:29]
	v_add_u32_e32 v76, 1, v78
	v_add_u32_e32 v81, 1, v79
	v_cndmask_b32_e64 v76, v78, v76, s[28:29]
	v_cndmask_b32_e64 v78, v81, v79, s[28:29]
	;; [unrolled: 1-line block ×4, first 2 shown]
	v_cmp_ge_i32_e64 s[18:19], v78, v52
	s_waitcnt lgkmcnt(0)
	v_cmp_lt_u16_sdwa s[20:21], v80, v77 src0_sel:BYTE_0 src1_sel:BYTE_0
	v_cndmask_b32_e64 v69, v69, v70, s[22:23]
	v_cndmask_b32_e64 v63, v63, v64, s[16:17]
	v_cmp_lt_i32_e64 s[16:17], v76, v53
	s_or_b64 s[18:19], s[18:19], s[20:21]
	v_lshlrev_b16_e32 v64, 8, v65
	s_and_b64 s[16:17], s[16:17], s[18:19]
	v_or_b32_sdwa v63, v63, v64 dst_sel:DWORD dst_unused:UNUSED_PAD src0_sel:BYTE_0 src1_sel:DWORD
	v_lshlrev_b16_e32 v64, 8, v69
	v_cndmask_b32_e64 v73, v73, v74, s[26:27]
	v_cndmask_b32_e64 v66, v77, v80, s[16:17]
	v_or_b32_sdwa v64, v67, v64 dst_sel:WORD_1 dst_unused:UNUSED_PAD src0_sel:BYTE_0 src1_sel:DWORD
	v_cndmask_b32_e64 v71, v71, v72, s[24:25]
	v_or_b32_sdwa v64, v63, v64 dst_sel:DWORD dst_unused:UNUSED_PAD src0_sel:WORD_0 src1_sel:DWORD
	v_lshlrev_b16_e32 v63, 8, v73
	v_lshlrev_b16_e32 v65, 8, v66
	v_or_b32_sdwa v63, v71, v63 dst_sel:DWORD dst_unused:UNUSED_PAD src0_sel:BYTE_0 src1_sel:DWORD
	v_or_b32_sdwa v65, v75, v65 dst_sel:WORD_1 dst_unused:UNUSED_PAD src0_sel:BYTE_0 src1_sel:DWORD
	v_mov_b32_e32 v67, v56
	v_or_b32_sdwa v65, v63, v65 dst_sel:DWORD dst_unused:UNUSED_PAD src0_sel:WORD_0 src1_sel:DWORD
	s_barrier
	ds_write_b64 v2, v[64:65]
	s_waitcnt lgkmcnt(0)
	s_barrier
	s_and_saveexec_b64 s[18:19], s[14:15]
	s_cbranch_execz .LBB118_262
; %bb.259:                              ;   in Loop: Header=BB118_2 Depth=1
	s_mov_b64 s[20:21], 0
	v_mov_b32_e32 v67, v56
	v_mov_b32_e32 v63, v57
.LBB118_260:                            ;   Parent Loop BB118_2 Depth=1
                                        ; =>  This Inner Loop Header: Depth=2
	v_sub_u32_e32 v64, v63, v67
	v_lshrrev_b32_e32 v65, 31, v64
	v_add_u32_e32 v64, v64, v65
	v_ashrrev_i32_e32 v64, 1, v64
	v_add_u32_e32 v64, v64, v67
	v_not_b32_e32 v65, v64
	v_add3_u32 v65, v2, v65, v49
	ds_read_u8 v66, v64
	ds_read_u8 v65, v65
	v_add_u32_e32 v68, 1, v64
	s_waitcnt lgkmcnt(0)
	v_cmp_lt_u16_e64 s[16:17], v65, v66
	s_nop 1
	v_cndmask_b32_e64 v63, v63, v64, s[16:17]
	v_cndmask_b32_e64 v67, v68, v67, s[16:17]
	v_cmp_ge_i32_e64 s[16:17], v67, v63
	s_or_b64 s[20:21], s[16:17], s[20:21]
	s_andn2_b64 exec, exec, s[20:21]
	s_cbranch_execnz .LBB118_260
; %bb.261:                              ;   in Loop: Header=BB118_2 Depth=1
	s_or_b64 exec, exec, s[20:21]
.LBB118_262:                            ;   in Loop: Header=BB118_2 Depth=1
	s_or_b64 exec, exec, s[18:19]
	v_sub_u32_e32 v68, v62, v67
	ds_read_u8 v63, v67
	ds_read_u8 v64, v68
	v_cmp_le_i32_e64 s[18:19], v49, v67
	v_cmp_gt_i32_e64 s[16:17], s44, v68
                                        ; implicit-def: $vgpr65
                                        ; implicit-def: $vgpr66
	s_waitcnt lgkmcnt(0)
	v_cmp_lt_u16_sdwa s[20:21], v64, v63 src0_sel:BYTE_0 src1_sel:BYTE_0
	s_or_b64 s[18:19], s[18:19], s[20:21]
	s_and_b64 s[16:17], s[16:17], s[18:19]
	s_xor_b64 s[18:19], s[16:17], -1
	s_and_saveexec_b64 s[20:21], s[18:19]
	s_xor_b64 s[18:19], exec, s[20:21]
	s_cbranch_execz .LBB118_264
; %bb.263:                              ;   in Loop: Header=BB118_2 Depth=1
	ds_read_u8 v66, v67 offset:1
	v_mov_b32_e32 v65, v64
.LBB118_264:                            ;   in Loop: Header=BB118_2 Depth=1
	s_andn2_saveexec_b64 s[18:19], s[18:19]
	s_cbranch_execz .LBB118_266
; %bb.265:                              ;   in Loop: Header=BB118_2 Depth=1
	ds_read_u8 v65, v68 offset:1
	s_waitcnt lgkmcnt(1)
	v_mov_b32_e32 v66, v63
.LBB118_266:                            ;   in Loop: Header=BB118_2 Depth=1
	s_or_b64 exec, exec, s[18:19]
	v_add_u32_e32 v70, 1, v67
	v_add_u32_e32 v69, 1, v68
	v_cndmask_b32_e64 v70, v70, v67, s[16:17]
	v_cndmask_b32_e64 v69, v68, v69, s[16:17]
	v_cmp_ge_i32_e64 s[20:21], v70, v49
	s_waitcnt lgkmcnt(0)
	v_cmp_lt_u16_sdwa s[22:23], v65, v66 src0_sel:BYTE_0 src1_sel:BYTE_0
	v_cmp_gt_i32_e64 s[18:19], s44, v69
	s_or_b64 s[20:21], s[20:21], s[22:23]
	s_and_b64 s[18:19], s[18:19], s[20:21]
	s_xor_b64 s[20:21], s[18:19], -1
                                        ; implicit-def: $vgpr67
	s_and_saveexec_b64 s[22:23], s[20:21]
	s_xor_b64 s[20:21], exec, s[22:23]
	s_cbranch_execz .LBB118_268
; %bb.267:                              ;   in Loop: Header=BB118_2 Depth=1
	ds_read_u8 v67, v70 offset:1
.LBB118_268:                            ;   in Loop: Header=BB118_2 Depth=1
	s_or_saveexec_b64 s[20:21], s[20:21]
	v_mov_b32_e32 v68, v65
	s_xor_b64 exec, exec, s[20:21]
	s_cbranch_execz .LBB118_270
; %bb.269:                              ;   in Loop: Header=BB118_2 Depth=1
	ds_read_u8 v68, v69 offset:1
	s_waitcnt lgkmcnt(1)
	v_mov_b32_e32 v67, v66
.LBB118_270:                            ;   in Loop: Header=BB118_2 Depth=1
	s_or_b64 exec, exec, s[20:21]
	v_add_u32_e32 v72, 1, v70
	v_add_u32_e32 v71, 1, v69
	v_cndmask_b32_e64 v72, v72, v70, s[18:19]
	v_cndmask_b32_e64 v71, v69, v71, s[18:19]
	v_cmp_ge_i32_e64 s[22:23], v72, v49
	s_waitcnt lgkmcnt(0)
	v_cmp_lt_u16_sdwa s[24:25], v68, v67 src0_sel:BYTE_0 src1_sel:BYTE_0
	v_cmp_gt_i32_e64 s[20:21], s44, v71
	s_or_b64 s[22:23], s[22:23], s[24:25]
	s_and_b64 s[20:21], s[20:21], s[22:23]
	s_xor_b64 s[22:23], s[20:21], -1
                                        ; implicit-def: $vgpr69
	s_and_saveexec_b64 s[24:25], s[22:23]
	s_xor_b64 s[22:23], exec, s[24:25]
	s_cbranch_execz .LBB118_272
; %bb.271:                              ;   in Loop: Header=BB118_2 Depth=1
	ds_read_u8 v69, v72 offset:1
.LBB118_272:                            ;   in Loop: Header=BB118_2 Depth=1
	s_or_saveexec_b64 s[22:23], s[22:23]
	v_mov_b32_e32 v70, v68
	s_xor_b64 exec, exec, s[22:23]
	s_cbranch_execz .LBB118_274
; %bb.273:                              ;   in Loop: Header=BB118_2 Depth=1
	ds_read_u8 v70, v71 offset:1
	s_waitcnt lgkmcnt(1)
	v_mov_b32_e32 v69, v67
.LBB118_274:                            ;   in Loop: Header=BB118_2 Depth=1
	s_or_b64 exec, exec, s[22:23]
	v_add_u32_e32 v74, 1, v72
	v_add_u32_e32 v73, 1, v71
	v_cndmask_b32_e64 v74, v74, v72, s[20:21]
	v_cndmask_b32_e64 v73, v71, v73, s[20:21]
	v_cmp_ge_i32_e64 s[24:25], v74, v49
	s_waitcnt lgkmcnt(0)
	v_cmp_lt_u16_sdwa s[26:27], v70, v69 src0_sel:BYTE_0 src1_sel:BYTE_0
	v_cmp_gt_i32_e64 s[22:23], s44, v73
	s_or_b64 s[24:25], s[24:25], s[26:27]
	s_and_b64 s[22:23], s[22:23], s[24:25]
	s_xor_b64 s[24:25], s[22:23], -1
                                        ; implicit-def: $vgpr71
	s_and_saveexec_b64 s[26:27], s[24:25]
	s_xor_b64 s[24:25], exec, s[26:27]
	s_cbranch_execz .LBB118_276
; %bb.275:                              ;   in Loop: Header=BB118_2 Depth=1
	ds_read_u8 v71, v74 offset:1
.LBB118_276:                            ;   in Loop: Header=BB118_2 Depth=1
	s_or_saveexec_b64 s[24:25], s[24:25]
	v_mov_b32_e32 v72, v70
	s_xor_b64 exec, exec, s[24:25]
	s_cbranch_execz .LBB118_278
; %bb.277:                              ;   in Loop: Header=BB118_2 Depth=1
	ds_read_u8 v72, v73 offset:1
	s_waitcnt lgkmcnt(1)
	v_mov_b32_e32 v71, v69
.LBB118_278:                            ;   in Loop: Header=BB118_2 Depth=1
	s_or_b64 exec, exec, s[24:25]
	v_add_u32_e32 v76, 1, v74
	v_add_u32_e32 v75, 1, v73
	v_cndmask_b32_e64 v76, v76, v74, s[22:23]
	v_cndmask_b32_e64 v75, v73, v75, s[22:23]
	v_cmp_ge_i32_e64 s[26:27], v76, v49
	s_waitcnt lgkmcnt(0)
	v_cmp_lt_u16_sdwa s[28:29], v72, v71 src0_sel:BYTE_0 src1_sel:BYTE_0
	v_cmp_gt_i32_e64 s[24:25], s44, v75
	s_or_b64 s[26:27], s[26:27], s[28:29]
	s_and_b64 s[24:25], s[24:25], s[26:27]
	s_xor_b64 s[26:27], s[24:25], -1
                                        ; implicit-def: $vgpr73
	s_and_saveexec_b64 s[28:29], s[26:27]
	s_xor_b64 s[26:27], exec, s[28:29]
	s_cbranch_execz .LBB118_280
; %bb.279:                              ;   in Loop: Header=BB118_2 Depth=1
	ds_read_u8 v73, v76 offset:1
.LBB118_280:                            ;   in Loop: Header=BB118_2 Depth=1
	s_or_saveexec_b64 s[26:27], s[26:27]
	v_mov_b32_e32 v74, v72
	s_xor_b64 exec, exec, s[26:27]
	s_cbranch_execz .LBB118_282
; %bb.281:                              ;   in Loop: Header=BB118_2 Depth=1
	ds_read_u8 v74, v75 offset:1
	s_waitcnt lgkmcnt(1)
	v_mov_b32_e32 v73, v71
.LBB118_282:                            ;   in Loop: Header=BB118_2 Depth=1
	s_or_b64 exec, exec, s[26:27]
	v_add_u32_e32 v78, 1, v76
	v_add_u32_e32 v77, 1, v75
	v_cndmask_b32_e64 v78, v78, v76, s[24:25]
	v_cndmask_b32_e64 v77, v75, v77, s[24:25]
	v_cmp_ge_i32_e64 s[28:29], v78, v49
	s_waitcnt lgkmcnt(0)
	v_cmp_lt_u16_sdwa s[30:31], v74, v73 src0_sel:BYTE_0 src1_sel:BYTE_0
	v_cmp_gt_i32_e64 s[26:27], s44, v77
	s_or_b64 s[28:29], s[28:29], s[30:31]
	s_and_b64 s[26:27], s[26:27], s[28:29]
	s_xor_b64 s[28:29], s[26:27], -1
                                        ; implicit-def: $vgpr75
	s_and_saveexec_b64 s[30:31], s[28:29]
	s_xor_b64 s[28:29], exec, s[30:31]
	s_cbranch_execz .LBB118_284
; %bb.283:                              ;   in Loop: Header=BB118_2 Depth=1
	ds_read_u8 v75, v78 offset:1
.LBB118_284:                            ;   in Loop: Header=BB118_2 Depth=1
	s_or_saveexec_b64 s[28:29], s[28:29]
	v_mov_b32_e32 v76, v74
	s_xor_b64 exec, exec, s[28:29]
	s_cbranch_execz .LBB118_286
; %bb.285:                              ;   in Loop: Header=BB118_2 Depth=1
	ds_read_u8 v76, v77 offset:1
	s_waitcnt lgkmcnt(1)
	v_mov_b32_e32 v75, v73
.LBB118_286:                            ;   in Loop: Header=BB118_2 Depth=1
	s_or_b64 exec, exec, s[28:29]
	v_add_u32_e32 v80, 1, v78
	v_add_u32_e32 v79, 1, v77
	v_cndmask_b32_e64 v80, v80, v78, s[26:27]
	v_cndmask_b32_e64 v77, v77, v79, s[26:27]
	v_cmp_ge_i32_e64 s[30:31], v80, v49
	s_waitcnt lgkmcnt(0)
	v_cmp_lt_u16_sdwa s[46:47], v76, v75 src0_sel:BYTE_0 src1_sel:BYTE_0
	v_cmp_gt_i32_e64 s[28:29], s44, v77
	s_or_b64 s[30:31], s[30:31], s[46:47]
	s_and_b64 s[28:29], s[28:29], s[30:31]
	s_xor_b64 s[30:31], s[28:29], -1
                                        ; implicit-def: $vgpr78
                                        ; implicit-def: $vgpr79
	s_and_saveexec_b64 s[46:47], s[30:31]
	s_xor_b64 s[30:31], exec, s[46:47]
	s_cbranch_execz .LBB118_288
; %bb.287:                              ;   in Loop: Header=BB118_2 Depth=1
	ds_read_u8 v78, v80 offset:1
	v_add_u32_e32 v79, 1, v80
                                        ; implicit-def: $vgpr80
.LBB118_288:                            ;   in Loop: Header=BB118_2 Depth=1
	s_or_saveexec_b64 s[30:31], s[30:31]
	v_mov_b32_e32 v81, v76
	s_xor_b64 exec, exec, s[30:31]
	s_cbranch_execz .LBB118_1
; %bb.289:                              ;   in Loop: Header=BB118_2 Depth=1
	ds_read_u8 v81, v77 offset:1
	v_add_u32_e32 v77, 1, v77
	v_mov_b32_e32 v79, v80
	s_waitcnt lgkmcnt(1)
	v_mov_b32_e32 v78, v75
	s_branch .LBB118_1
.LBB118_290:
	s_add_u32 s0, s38, s33
	s_addc_u32 s1, s39, 0
	v_lshl_add_u64 v[0:1], s[0:1], 0, v[0:1]
	global_store_byte v[0:1], v80, off
	global_store_byte v[0:1], v65, off offset:512
	global_store_byte v[0:1], v66, off offset:1024
	;; [unrolled: 1-line block ×7, first 2 shown]
	s_endpgm
	.section	.rodata,"a",@progbits
	.p2align	6, 0x0
	.amdhsa_kernel _Z16sort_keys_kernelIhLj512ELj8EN10test_utils4lessELj10EEvPKT_PS2_T2_
		.amdhsa_group_segment_fixed_size 4097
		.amdhsa_private_segment_fixed_size 0
		.amdhsa_kernarg_size 20
		.amdhsa_user_sgpr_count 2
		.amdhsa_user_sgpr_dispatch_ptr 0
		.amdhsa_user_sgpr_queue_ptr 0
		.amdhsa_user_sgpr_kernarg_segment_ptr 1
		.amdhsa_user_sgpr_dispatch_id 0
		.amdhsa_user_sgpr_kernarg_preload_length 0
		.amdhsa_user_sgpr_kernarg_preload_offset 0
		.amdhsa_user_sgpr_private_segment_size 0
		.amdhsa_uses_dynamic_stack 0
		.amdhsa_enable_private_segment 0
		.amdhsa_system_sgpr_workgroup_id_x 1
		.amdhsa_system_sgpr_workgroup_id_y 0
		.amdhsa_system_sgpr_workgroup_id_z 0
		.amdhsa_system_sgpr_workgroup_info 0
		.amdhsa_system_vgpr_workitem_id 0
		.amdhsa_next_free_vgpr 82
		.amdhsa_next_free_sgpr 48
		.amdhsa_accum_offset 84
		.amdhsa_reserve_vcc 1
		.amdhsa_float_round_mode_32 0
		.amdhsa_float_round_mode_16_64 0
		.amdhsa_float_denorm_mode_32 3
		.amdhsa_float_denorm_mode_16_64 3
		.amdhsa_dx10_clamp 1
		.amdhsa_ieee_mode 1
		.amdhsa_fp16_overflow 0
		.amdhsa_tg_split 0
		.amdhsa_exception_fp_ieee_invalid_op 0
		.amdhsa_exception_fp_denorm_src 0
		.amdhsa_exception_fp_ieee_div_zero 0
		.amdhsa_exception_fp_ieee_overflow 0
		.amdhsa_exception_fp_ieee_underflow 0
		.amdhsa_exception_fp_ieee_inexact 0
		.amdhsa_exception_int_div_zero 0
	.end_amdhsa_kernel
	.section	.text._Z16sort_keys_kernelIhLj512ELj8EN10test_utils4lessELj10EEvPKT_PS2_T2_,"axG",@progbits,_Z16sort_keys_kernelIhLj512ELj8EN10test_utils4lessELj10EEvPKT_PS2_T2_,comdat
.Lfunc_end118:
	.size	_Z16sort_keys_kernelIhLj512ELj8EN10test_utils4lessELj10EEvPKT_PS2_T2_, .Lfunc_end118-_Z16sort_keys_kernelIhLj512ELj8EN10test_utils4lessELj10EEvPKT_PS2_T2_
                                        ; -- End function
	.section	.AMDGPU.csdata,"",@progbits
; Kernel info:
; codeLenInByte = 13176
; NumSgprs: 54
; NumVgprs: 82
; NumAgprs: 0
; TotalNumVgprs: 82
; ScratchSize: 0
; MemoryBound: 0
; FloatMode: 240
; IeeeMode: 1
; LDSByteSize: 4097 bytes/workgroup (compile time only)
; SGPRBlocks: 6
; VGPRBlocks: 10
; NumSGPRsForWavesPerEU: 54
; NumVGPRsForWavesPerEU: 82
; AccumOffset: 84
; Occupancy: 5
; WaveLimiterHint : 1
; COMPUTE_PGM_RSRC2:SCRATCH_EN: 0
; COMPUTE_PGM_RSRC2:USER_SGPR: 2
; COMPUTE_PGM_RSRC2:TRAP_HANDLER: 0
; COMPUTE_PGM_RSRC2:TGID_X_EN: 1
; COMPUTE_PGM_RSRC2:TGID_Y_EN: 0
; COMPUTE_PGM_RSRC2:TGID_Z_EN: 0
; COMPUTE_PGM_RSRC2:TIDIG_COMP_CNT: 0
; COMPUTE_PGM_RSRC3_GFX90A:ACCUM_OFFSET: 20
; COMPUTE_PGM_RSRC3_GFX90A:TG_SPLIT: 0
	.section	.text._Z17sort_pairs_kernelIhLj512ELj8EN10test_utils4lessELj10EEvPKT_PS2_T2_,"axG",@progbits,_Z17sort_pairs_kernelIhLj512ELj8EN10test_utils4lessELj10EEvPKT_PS2_T2_,comdat
	.protected	_Z17sort_pairs_kernelIhLj512ELj8EN10test_utils4lessELj10EEvPKT_PS2_T2_ ; -- Begin function _Z17sort_pairs_kernelIhLj512ELj8EN10test_utils4lessELj10EEvPKT_PS2_T2_
	.globl	_Z17sort_pairs_kernelIhLj512ELj8EN10test_utils4lessELj10EEvPKT_PS2_T2_
	.p2align	8
	.type	_Z17sort_pairs_kernelIhLj512ELj8EN10test_utils4lessELj10EEvPKT_PS2_T2_,@function
_Z17sort_pairs_kernelIhLj512ELj8EN10test_utils4lessELj10EEvPKT_PS2_T2_: ; @_Z17sort_pairs_kernelIhLj512ELj8EN10test_utils4lessELj10EEvPKT_PS2_T2_
; %bb.0:
	s_load_dwordx4 s[4:7], s[0:1], 0x0
	s_lshl_b32 s33, s2, 12
                                        ; implicit-def: $vgpr103 : SGPR spill to VGPR lane
	v_lshlrev_b32_e32 v2, 3, v0
	v_and_b32_e32 v3, 0xff0, v2
	v_and_b32_e32 v5, 0xfe0, v2
	s_waitcnt lgkmcnt(0)
	s_add_u32 s0, s4, s33
	s_mov_b64 s[2:3], s[6:7]
	v_writelane_b32 v103, s0, 0
	v_or_b32_e32 v15, 8, v3
	v_add_u32_e32 v16, 16, v3
	v_writelane_b32 v103, s1, 1
	v_writelane_b32 v103, s2, 2
	;; [unrolled: 1-line block ×3, first 2 shown]
	s_addc_u32 s1, s5, 0
	global_load_ubyte v48, v0, s[0:1]
	global_load_ubyte v49, v0, s[0:1] offset:1024
	global_load_ubyte v50, v0, s[0:1] offset:2048
	;; [unrolled: 1-line block ×7, first 2 shown]
	v_and_b32_e32 v4, 8, v2
	v_and_b32_e32 v7, 0xfc0, v2
	v_or_b32_e32 v17, 16, v5
	v_add_u32_e32 v18, 32, v5
	v_sub_u32_e32 v34, v16, v15
	v_and_b32_e32 v6, 24, v2
	v_and_b32_e32 v9, 0xf80, v2
	v_or_b32_e32 v19, 32, v7
	v_add_u32_e32 v20, 64, v7
	v_sub_u32_e32 v35, v18, v17
	v_sub_u32_e32 v41, v4, v34
	v_cmp_ge_i32_e32 vcc, v4, v34
	v_and_b32_e32 v8, 56, v2
	v_and_b32_e32 v11, 0xf00, v2
	v_or_b32_e32 v21, 64, v9
	v_add_u32_e32 v22, 0x80, v9
	v_sub_u32_e32 v36, v20, v19
	v_sub_u32_e32 v42, v6, v35
	v_cndmask_b32_e32 v34, 0, v41, vcc
	v_cmp_ge_i32_e32 vcc, v6, v35
	v_and_b32_e32 v10, 0x78, v2
	v_or_b32_e32 v23, 0x80, v11
	v_add_u32_e32 v24, 0x100, v11
	v_sub_u32_e32 v37, v22, v21
	v_sub_u32_e32 v43, v8, v36
	v_cndmask_b32_e32 v35, 0, v42, vcc
	v_cmp_ge_i32_e32 vcc, v8, v36
	v_and_b32_e32 v12, 0xf8, v2
	v_and_b32_e32 v13, 0xe00, v2
	v_sub_u32_e32 v38, v24, v23
	v_sub_u32_e32 v44, v10, v37
	v_cndmask_b32_e32 v36, 0, v43, vcc
	v_cmp_ge_i32_e32 vcc, v10, v37
	v_and_b32_e32 v41, 0xc00, v2
	s_movk_i32 s14, 0x100
	v_or_b32_e32 v25, 0x100, v13
	v_add_u32_e32 v26, 0x200, v13
	v_sub_u32_e32 v45, v12, v38
	v_cndmask_b32_e32 v37, 0, v44, vcc
	v_cmp_ge_i32_e32 vcc, v12, v38
	v_or_b32_e32 v43, 0x200, v41
	v_add_u32_e32 v44, 0x400, v41
	v_and_b32_e32 v14, 0x1f8, v2
	v_sub_u32_e32 v39, v26, v25
	v_cndmask_b32_e32 v38, 0, v45, vcc
	v_and_b32_e32 v42, 0x3f8, v2
	v_sub_u32_e32 v45, v44, v43
	v_sub_u32_e32 v29, v15, v3
	;; [unrolled: 1-line block ×3, first 2 shown]
	v_cmp_ge_i32_e32 vcc, v14, v39
	v_sub_u32_e32 v47, v42, v45
	v_cmp_ge_i32_e64 s[10:11], v42, v45
	v_sub_u32_e32 v30, v17, v5
	v_sub_u32_e32 v31, v19, v7
	;; [unrolled: 1-line block ×5, first 2 shown]
	v_min_i32_e32 v29, v4, v29
	v_cndmask_b32_e32 v39, 0, v46, vcc
	v_sub_u32_e32 v46, v43, v41
	v_cndmask_b32_e64 v45, 0, v47, s[10:11]
	v_mov_b32_e32 v47, 0x800
	v_min_i32_e32 v30, v6, v30
	v_min_i32_e32 v31, v8, v31
	;; [unrolled: 1-line block ×4, first 2 shown]
	v_cmp_lt_i32_e64 s[0:1], v34, v29
	v_min_i32_e32 v40, v14, v40
	v_min_i32_e32 v46, v42, v46
	s_mov_b32 s92, 0
	v_mov_b32_e32 v1, 0
	v_add_u32_e32 v27, v15, v4
	v_add_u32_e32 v28, v17, v6
	v_writelane_b32 v103, s0, 4
	v_cmp_lt_i32_e32 vcc, v35, v30
	s_waitcnt vmcnt(7)
	v_add_u16_e32 v56, 1, v48
	s_waitcnt vmcnt(6)
	v_add_u16_e32 v57, 1, v49
	s_waitcnt vmcnt(2)
	v_lshlrev_b16_e32 v53, 8, v53
	s_waitcnt vmcnt(1)
	v_lshlrev_b16_e32 v54, 8, v54
	;; [unrolled: 2-line block ×3, first 2 shown]
	v_or_b32_e32 v48, v48, v55
	v_or_b32_sdwa v49, v49, v54 dst_sel:WORD_1 dst_unused:UNUSED_PAD src0_sel:DWORD src1_sel:DWORD
	v_lshlrev_b16_e32 v60, 8, v52
	v_add_u16_e32 v58, 1, v50
	v_or_b32_sdwa v65, v48, v49 dst_sel:DWORD dst_unused:UNUSED_PAD src0_sel:WORD_0 src1_sel:DWORD
	v_and_b32_e32 v48, 0x800, v2
	v_or_b32_e32 v49, v50, v53
	v_or_b32_sdwa v50, v51, v60 dst_sel:WORD_1 dst_unused:UNUSED_PAD src0_sel:DWORD src1_sel:DWORD
	v_or_b32_sdwa v52, v55, v56 dst_sel:DWORD dst_unused:UNUSED_PAD src0_sel:DWORD src1_sel:BYTE_0
	v_or_b32_sdwa v54, v54, v57 dst_sel:DWORD dst_unused:UNUSED_PAD src0_sel:DWORD src1_sel:BYTE_0
	v_add_u16_e32 v59, 1, v51
	v_or_b32_sdwa v66, v49, v50 dst_sel:DWORD dst_unused:UNUSED_PAD src0_sel:WORD_0 src1_sel:DWORD
	v_or_b32_e32 v50, 0x400, v48
	v_add_u32_e32 v51, 0x800, v48
	v_add_u16_e32 v52, 0x100, v52
	v_add_u16_sdwa v54, v54, s14 dst_sel:WORD_1 dst_unused:UNUSED_PAD src0_sel:DWORD src1_sel:DWORD
	v_and_b32_e32 v49, 0x7f8, v2
	v_or_b32_e32 v63, v52, v54
	v_sub_u32_e32 v52, v51, v50
	v_or_b32_sdwa v55, v53, v58 dst_sel:DWORD dst_unused:UNUSED_PAD src0_sel:DWORD src1_sel:BYTE_0
	v_or_b32_sdwa v56, v60, v59 dst_sel:DWORD dst_unused:UNUSED_PAD src0_sel:DWORD src1_sel:BYTE_0
	v_sub_u32_e32 v53, v49, v52
	v_sub_u32_e32 v54, v50, v48
	v_cmp_ge_i32_e64 s[12:13], v49, v52
	v_add_u16_e32 v55, 0x100, v55
	v_add_u16_sdwa v56, v56, s14 dst_sel:WORD_1 dst_unused:UNUSED_PAD src0_sel:DWORD src1_sel:DWORD
	v_cndmask_b32_e64 v52, 0, v53, s[12:13]
	v_min_i32_e32 v53, v49, v54
	v_sub_u32_e64 v54, v2, v47 clamp
	v_or_b32_e32 v64, v55, v56
	v_min_i32_e32 v55, 0x800, v2
	v_cmp_lt_i32_e64 s[2:3], v36, v31
	v_cmp_lt_i32_e64 s[4:5], v37, v32
	;; [unrolled: 1-line block ×7, first 2 shown]
	s_mov_b32 s93, 0xffff
	s_movk_i32 s94, 0xff
	s_mov_b32 s95, 0x7060405
	s_mov_b32 s96, 0xc0c0001
	;; [unrolled: 1-line block ×6, first 2 shown]
	s_movk_i32 s91, 0x1000
	v_add_u32_e32 v56, v19, v8
	v_add_u32_e32 v57, v21, v10
	;; [unrolled: 1-line block ×7, first 2 shown]
	v_writelane_b32 v103, s1, 5
	s_branch .LBB119_2
.LBB119_1:                              ;   in Loop: Header=BB119_2 Depth=1
	s_or_b64 exec, exec, s[30:31]
	v_cndmask_b32_e64 v73, v73, v74, s[16:17]
	v_cndmask_b32_e64 v74, v76, v75, s[18:19]
	;; [unrolled: 1-line block ×3, first 2 shown]
	v_cmp_ge_i32_e64 s[18:19], v99, v47
	s_waitcnt lgkmcnt(0)
	v_cmp_lt_u16_sdwa s[0:1], v102, v100 src0_sel:BYTE_0 src1_sel:BYTE_0
	v_lshlrev_b16_e32 v65, 8, v65
	v_cndmask_b32_e64 v72, v71, v72, s[16:17]
	v_cmp_gt_i32_e64 s[16:17], s91, v97
	s_or_b64 s[0:1], s[18:19], s[0:1]
	v_lshlrev_b16_e32 v70, 8, v70
	v_lshlrev_b16_e32 v67, 8, v67
	v_or_b32_sdwa v63, v63, v65 dst_sel:DWORD dst_unused:UNUSED_PAD src0_sel:BYTE_0 src1_sel:DWORD
	v_lshlrev_b16_e32 v65, 8, v66
	v_cndmask_b32_e64 v76, v83, v84, s[22:23]
	s_and_b64 s[16:17], s[16:17], s[0:1]
	v_or_b32_sdwa v68, v68, v70 dst_sel:DWORD dst_unused:UNUSED_PAD src0_sel:BYTE_0 src1_sel:DWORD
	v_or_b32_sdwa v67, v69, v67 dst_sel:WORD_1 dst_unused:UNUSED_PAD src0_sel:BYTE_0 src1_sel:DWORD
	v_or_b32_sdwa v64, v64, v65 dst_sel:WORD_1 dst_unused:UNUSED_PAD src0_sel:BYTE_0 src1_sel:DWORD
	v_cndmask_b32_e64 v75, v79, v80, s[20:21]
	v_cndmask_b32_e64 v81, v82, v81, s[20:21]
	;; [unrolled: 1-line block ×3, first 2 shown]
	v_or_b32_sdwa v67, v68, v67 dst_sel:DWORD dst_unused:UNUSED_PAD src0_sel:WORD_0 src1_sel:DWORD
	v_or_b32_sdwa v66, v63, v64 dst_sel:DWORD dst_unused:UNUSED_PAD src0_sel:WORD_0 src1_sel:DWORD
	v_lshlrev_b16_e32 v63, 8, v74
	v_lshlrev_b16_e32 v64, 8, v76
	v_cndmask_b32_e64 v79, v87, v88, s[24:25]
	v_cndmask_b32_e64 v80, v91, v92, s[26:27]
	;; [unrolled: 1-line block ×6, first 2 shown]
	s_barrier
	ds_write_b64 v2, v[66:67]
	s_waitcnt lgkmcnt(0)
	s_barrier
	ds_read_u8 v67, v98
	ds_read_u8 v68, v78
	;; [unrolled: 1-line block ×8, first 2 shown]
	v_or_b32_sdwa v63, v73, v63 dst_sel:DWORD dst_unused:UNUSED_PAD src0_sel:BYTE_0 src1_sel:DWORD
	v_or_b32_sdwa v64, v75, v64 dst_sel:WORD_1 dst_unused:UNUSED_PAD src0_sel:BYTE_0 src1_sel:DWORD
	v_cndmask_b32_e64 v83, v95, v96, s[28:29]
	v_or_b32_sdwa v65, v63, v64 dst_sel:DWORD dst_unused:UNUSED_PAD src0_sel:WORD_0 src1_sel:DWORD
	v_lshlrev_b16_e32 v63, 8, v80
	v_lshlrev_b16_e32 v64, 8, v71
	v_or_b32_sdwa v63, v79, v63 dst_sel:DWORD dst_unused:UNUSED_PAD src0_sel:BYTE_0 src1_sel:DWORD
	v_or_b32_sdwa v64, v83, v64 dst_sel:WORD_1 dst_unused:UNUSED_PAD src0_sel:BYTE_0 src1_sel:DWORD
	s_waitcnt lgkmcnt(6)
	v_lshlrev_b16_e32 v82, 8, v68
	v_or_b32_sdwa v66, v63, v64 dst_sel:DWORD dst_unused:UNUSED_PAD src0_sel:WORD_0 src1_sel:DWORD
	s_waitcnt lgkmcnt(4)
	v_lshlrev_b16_e32 v63, 8, v70
	s_waitcnt lgkmcnt(2)
	v_lshlrev_b16_e32 v64, 8, v77
	v_or_b32_e32 v63, v69, v63
	v_or_b32_sdwa v64, v72, v64 dst_sel:WORD_1 dst_unused:UNUSED_PAD src0_sel:DWORD src1_sel:DWORD
	s_add_i32 s92, s92, 1
	v_or_b32_sdwa v63, v63, v64 dst_sel:DWORD dst_unused:UNUSED_PAD src0_sel:WORD_0 src1_sel:DWORD
	s_waitcnt lgkmcnt(0)
	v_lshlrev_b16_e32 v64, 8, v81
	v_or_b32_e32 v64, v78, v64
	v_or_b32_sdwa v82, v67, v82 dst_sel:WORD_1 dst_unused:UNUSED_PAD src0_sel:DWORD src1_sel:DWORD
	s_cmp_eq_u32 s92, 10
	v_or_b32_sdwa v64, v64, v82 dst_sel:DWORD dst_unused:UNUSED_PAD src0_sel:WORD_0 src1_sel:DWORD
	s_cbranch_scc1 .LBB119_290
.LBB119_2:                              ; =>This Loop Header: Depth=1
                                        ;     Child Loop BB119_4 Depth 2
                                        ;     Child Loop BB119_36 Depth 2
                                        ;     Child Loop BB119_68 Depth 2
                                        ;     Child Loop BB119_100 Depth 2
                                        ;     Child Loop BB119_132 Depth 2
                                        ;     Child Loop BB119_164 Depth 2
                                        ;     Child Loop BB119_196 Depth 2
                                        ;     Child Loop BB119_228 Depth 2
                                        ;     Child Loop BB119_260 Depth 2
	v_lshrrev_b32_e32 v68, 8, v65
	v_perm_b32 v67, v65, v65, s95
	v_cmp_lt_u16_sdwa s[16:17], v68, v65 src0_sel:BYTE_0 src1_sel:BYTE_0
	v_readlane_b32 s0, v103, 4
	s_nop 0
	v_cndmask_b32_e64 v65, v65, v67, s[16:17]
	v_lshrrev_b32_e32 v67, 16, v65
	v_perm_b32 v68, 0, v67, s96
	v_lshlrev_b32_e32 v68, 16, v68
	v_and_or_b32 v68, v65, s93, v68
	v_cmp_lt_u16_sdwa s[18:19], v65, v67 src0_sel:BYTE_3 src1_sel:BYTE_0
	v_perm_b32 v67, v66, v66, s95
	s_barrier
	v_cndmask_b32_e64 v65, v65, v68, s[18:19]
	v_lshrrev_b32_e32 v68, 8, v66
	v_cmp_lt_u16_sdwa s[20:21], v68, v66 src0_sel:BYTE_0 src1_sel:BYTE_0
	v_perm_b32 v69, v65, v65, s98
	s_nop 0
	v_cndmask_b32_e64 v66, v66, v67, s[20:21]
	v_and_b32_sdwa v67, v66, s94 dst_sel:DWORD dst_unused:UNUSED_PAD src0_sel:WORD_1 src1_sel:DWORD
	v_perm_b32 v68, v66, v66, s97
	v_cmp_lt_u16_sdwa s[22:23], v66, v67 src0_sel:BYTE_3 src1_sel:DWORD
	v_and_b32_sdwa v67, v65, s94 dst_sel:DWORD dst_unused:UNUSED_PAD src0_sel:WORD_1 src1_sel:DWORD
	v_readlane_b32 s1, v103, 5
	v_cndmask_b32_e64 v66, v66, v68, s[22:23]
	v_lshrrev_b32_e32 v68, 8, v65
	v_cmp_lt_u16_sdwa s[24:25], v67, v68 src0_sel:DWORD src1_sel:BYTE_0
	s_nop 1
	v_cndmask_b32_e64 v65, v65, v69, s[24:25]
	v_and_b32_sdwa v68, v65, s94 dst_sel:DWORD dst_unused:UNUSED_PAD src0_sel:WORD_1 src1_sel:DWORD
	v_lshlrev_b16_e32 v69, 8, v66
	v_perm_b32 v67, v65, v66, s99
	v_or_b32_sdwa v68, v68, v69 dst_sel:WORD_1 dst_unused:UNUSED_PAD src0_sel:DWORD src1_sel:DWORD
	v_cmp_lt_u16_sdwa s[26:27], v66, v65 src0_sel:BYTE_0 src1_sel:BYTE_3
	v_and_or_b32 v68, v65, s93, v68
	s_nop 0
	v_cndmask_b32_e64 v66, v66, v67, s[26:27]
	v_cndmask_b32_e64 v65, v65, v68, s[26:27]
	v_and_b32_sdwa v67, v66, s94 dst_sel:DWORD dst_unused:UNUSED_PAD src0_sel:WORD_1 src1_sel:DWORD
	v_lshrrev_b32_e32 v68, 8, v66
	v_cmp_lt_u16_sdwa s[28:29], v67, v68 src0_sel:DWORD src1_sel:BYTE_0
	v_perm_b32 v67, 0, v65, s96
	v_lshrrev_b32_e32 v68, 8, v65
	v_and_or_b32 v67, v65, s90, v67
	v_cmp_lt_u16_sdwa s[30:31], v68, v65 src0_sel:BYTE_0 src1_sel:BYTE_0
	v_perm_b32 v69, v66, v66, s98
	v_cndmask_b32_e64 v66, v66, v69, s[28:29]
	v_cndmask_b32_e64 v65, v65, v67, s[30:31]
	v_lshrrev_b32_e32 v67, 16, v65
	v_perm_b32 v68, 0, v67, s96
	v_lshlrev_b32_e32 v68, 16, v68
	v_and_or_b32 v68, v65, s93, v68
	v_cmp_lt_u16_sdwa s[34:35], v65, v67 src0_sel:BYTE_3 src1_sel:BYTE_0
	v_perm_b32 v67, v66, v66, s95
	s_nop 0
	v_cndmask_b32_e64 v65, v65, v68, s[34:35]
	v_lshrrev_b32_e32 v68, 8, v66
	v_cmp_lt_u16_sdwa s[36:37], v68, v66 src0_sel:BYTE_0 src1_sel:BYTE_0
	v_perm_b32 v69, v65, v65, s98
	s_nop 0
	v_cndmask_b32_e64 v66, v66, v67, s[36:37]
	v_and_b32_sdwa v67, v66, s94 dst_sel:DWORD dst_unused:UNUSED_PAD src0_sel:WORD_1 src1_sel:DWORD
	v_perm_b32 v68, v66, v66, s97
	v_cmp_lt_u16_sdwa s[38:39], v66, v67 src0_sel:BYTE_3 src1_sel:DWORD
	v_and_b32_sdwa v67, v65, s94 dst_sel:DWORD dst_unused:UNUSED_PAD src0_sel:WORD_1 src1_sel:DWORD
	s_nop 0
	v_cndmask_b32_e64 v66, v66, v68, s[38:39]
	v_lshrrev_b32_e32 v68, 8, v65
	v_cmp_lt_u16_sdwa s[40:41], v67, v68 src0_sel:DWORD src1_sel:BYTE_0
	s_nop 1
	v_cndmask_b32_e64 v65, v65, v69, s[40:41]
	v_and_b32_sdwa v68, v65, s94 dst_sel:DWORD dst_unused:UNUSED_PAD src0_sel:WORD_1 src1_sel:DWORD
	v_lshlrev_b16_e32 v69, 8, v66
	v_perm_b32 v67, v65, v66, s99
	v_or_b32_sdwa v68, v68, v69 dst_sel:WORD_1 dst_unused:UNUSED_PAD src0_sel:DWORD src1_sel:DWORD
	v_cmp_lt_u16_sdwa s[42:43], v66, v65 src0_sel:BYTE_0 src1_sel:BYTE_3
	v_and_or_b32 v68, v65, s93, v68
	s_nop 0
	v_cndmask_b32_e64 v66, v66, v67, s[42:43]
	v_cndmask_b32_e64 v65, v65, v68, s[42:43]
	v_and_b32_sdwa v67, v66, s94 dst_sel:DWORD dst_unused:UNUSED_PAD src0_sel:WORD_1 src1_sel:DWORD
	v_lshrrev_b32_e32 v68, 8, v66
	v_cmp_lt_u16_sdwa s[44:45], v67, v68 src0_sel:DWORD src1_sel:BYTE_0
	v_perm_b32 v67, 0, v65, s96
	v_lshrrev_b32_e32 v68, 8, v65
	v_and_or_b32 v67, v65, s90, v67
	v_cmp_lt_u16_sdwa s[46:47], v68, v65 src0_sel:BYTE_0 src1_sel:BYTE_0
	v_perm_b32 v69, v66, v66, s98
	v_cndmask_b32_e64 v66, v66, v69, s[44:45]
	v_cndmask_b32_e64 v65, v65, v67, s[46:47]
	v_lshrrev_b32_e32 v67, 16, v65
	v_perm_b32 v68, 0, v67, s96
	v_lshlrev_b32_e32 v68, 16, v68
	v_and_or_b32 v68, v65, s93, v68
	v_cmp_lt_u16_sdwa s[48:49], v65, v67 src0_sel:BYTE_3 src1_sel:BYTE_0
	v_perm_b32 v67, v66, v66, s95
	s_nop 0
	v_cndmask_b32_e64 v65, v65, v68, s[48:49]
	v_lshrrev_b32_e32 v68, 8, v66
	v_cmp_lt_u16_sdwa s[50:51], v68, v66 src0_sel:BYTE_0 src1_sel:BYTE_0
	v_perm_b32 v69, v65, v65, s98
	s_nop 0
	v_cndmask_b32_e64 v66, v66, v67, s[50:51]
	v_and_b32_sdwa v67, v66, s94 dst_sel:DWORD dst_unused:UNUSED_PAD src0_sel:WORD_1 src1_sel:DWORD
	v_perm_b32 v68, v66, v66, s97
	v_cmp_lt_u16_sdwa s[52:53], v66, v67 src0_sel:BYTE_3 src1_sel:DWORD
	v_and_b32_sdwa v67, v65, s94 dst_sel:DWORD dst_unused:UNUSED_PAD src0_sel:WORD_1 src1_sel:DWORD
	s_nop 0
	v_cndmask_b32_e64 v66, v66, v68, s[52:53]
	v_lshrrev_b32_e32 v68, 8, v65
	v_cmp_lt_u16_sdwa s[54:55], v67, v68 src0_sel:DWORD src1_sel:BYTE_0
	s_nop 1
	v_cndmask_b32_e64 v65, v65, v69, s[54:55]
	v_and_b32_sdwa v68, v65, s94 dst_sel:DWORD dst_unused:UNUSED_PAD src0_sel:WORD_1 src1_sel:DWORD
	v_lshlrev_b16_e32 v69, 8, v66
	v_perm_b32 v67, v65, v66, s99
	v_or_b32_sdwa v68, v68, v69 dst_sel:WORD_1 dst_unused:UNUSED_PAD src0_sel:DWORD src1_sel:DWORD
	v_cmp_lt_u16_sdwa s[56:57], v66, v65 src0_sel:BYTE_0 src1_sel:BYTE_3
	v_and_or_b32 v68, v65, s93, v68
	s_nop 0
	v_cndmask_b32_e64 v66, v66, v67, s[56:57]
	v_cndmask_b32_e64 v65, v65, v68, s[56:57]
	v_and_b32_sdwa v67, v66, s94 dst_sel:DWORD dst_unused:UNUSED_PAD src0_sel:WORD_1 src1_sel:DWORD
	v_lshrrev_b32_e32 v68, 8, v66
	v_cmp_lt_u16_sdwa s[58:59], v67, v68 src0_sel:DWORD src1_sel:BYTE_0
	v_perm_b32 v67, 0, v65, s96
	v_lshrrev_b32_e32 v68, 8, v65
	v_and_or_b32 v67, v65, s90, v67
	v_cmp_lt_u16_sdwa s[60:61], v68, v65 src0_sel:BYTE_0 src1_sel:BYTE_0
	v_perm_b32 v69, v66, v66, s98
	v_cndmask_b32_e64 v66, v66, v69, s[58:59]
	v_cndmask_b32_e64 v65, v65, v67, s[60:61]
	v_lshrrev_b32_e32 v67, 16, v65
	v_perm_b32 v68, 0, v67, s96
	v_lshlrev_b32_e32 v68, 16, v68
	v_and_or_b32 v68, v65, s93, v68
	v_cmp_lt_u16_sdwa s[62:63], v65, v67 src0_sel:BYTE_3 src1_sel:BYTE_0
	v_perm_b32 v67, v66, v66, s95
	s_nop 0
	v_cndmask_b32_e64 v65, v65, v68, s[62:63]
	v_lshrrev_b32_e32 v68, 8, v66
	v_cmp_lt_u16_sdwa s[64:65], v68, v66 src0_sel:BYTE_0 src1_sel:BYTE_0
	v_perm_b32 v69, v65, v65, s98
	s_nop 0
	v_cndmask_b32_e64 v66, v66, v67, s[64:65]
	v_and_b32_sdwa v67, v66, s94 dst_sel:DWORD dst_unused:UNUSED_PAD src0_sel:WORD_1 src1_sel:DWORD
	v_perm_b32 v68, v66, v66, s97
	v_cmp_lt_u16_sdwa s[66:67], v66, v67 src0_sel:BYTE_3 src1_sel:DWORD
	s_nop 1
	v_cndmask_b32_e64 v67, v66, v68, s[66:67]
	v_and_b32_sdwa v66, v65, s94 dst_sel:DWORD dst_unused:UNUSED_PAD src0_sel:WORD_1 src1_sel:DWORD
	v_lshrrev_b32_e32 v68, 8, v65
	v_cmp_lt_u16_sdwa s[68:69], v66, v68 src0_sel:DWORD src1_sel:BYTE_0
	s_nop 1
	v_cndmask_b32_e64 v65, v65, v69, s[68:69]
	v_and_b32_sdwa v66, v65, s94 dst_sel:DWORD dst_unused:UNUSED_PAD src0_sel:WORD_1 src1_sel:DWORD
	v_lshlrev_b16_e32 v69, 8, v67
	v_or_b32_sdwa v66, v66, v69 dst_sel:WORD_1 dst_unused:UNUSED_PAD src0_sel:DWORD src1_sel:DWORD
	v_perm_b32 v68, v65, v67, s99
	v_and_or_b32 v66, v65, s93, v66
	v_cmp_lt_u16_sdwa s[70:71], v67, v65 src0_sel:BYTE_0 src1_sel:BYTE_3
	s_nop 1
	v_cndmask_b32_e64 v66, v65, v66, s[70:71]
	v_cndmask_b32_e64 v65, v67, v68, s[70:71]
	v_and_b32_sdwa v67, v65, s94 dst_sel:DWORD dst_unused:UNUSED_PAD src0_sel:WORD_1 src1_sel:DWORD
	v_lshrrev_b32_e32 v68, 8, v65
	v_perm_b32 v69, v65, v65, s98
	v_cmp_lt_u16_sdwa s[72:73], v67, v68 src0_sel:DWORD src1_sel:BYTE_0
	s_nop 1
	v_cndmask_b32_e64 v67, v65, v69, s[72:73]
	ds_write_b64 v2, v[66:67]
	v_mov_b32_e32 v66, v34
	s_waitcnt lgkmcnt(0)
	s_barrier
	s_and_saveexec_b64 s[76:77], s[0:1]
	s_cbranch_execz .LBB119_6
; %bb.3:                                ;   in Loop: Header=BB119_2 Depth=1
	s_mov_b64 s[78:79], 0
	v_mov_b32_e32 v66, v34
	v_mov_b32_e32 v65, v29
.LBB119_4:                              ;   Parent Loop BB119_2 Depth=1
                                        ; =>  This Inner Loop Header: Depth=2
	v_sub_u32_e32 v67, v65, v66
	v_lshrrev_b32_e32 v68, 31, v67
	v_add_u32_e32 v67, v67, v68
	v_ashrrev_i32_e32 v67, 1, v67
	v_add_u32_e32 v67, v67, v66
	v_not_b32_e32 v69, v67
	v_add_u32_e32 v68, v3, v67
	v_add3_u32 v69, v4, v69, v15
	ds_read_u8 v68, v68
	ds_read_u8 v69, v69
	v_add_u32_e32 v70, 1, v67
	s_waitcnt lgkmcnt(0)
	v_cmp_lt_u16_e64 s[74:75], v69, v68
	s_nop 1
	v_cndmask_b32_e64 v65, v65, v67, s[74:75]
	v_cndmask_b32_e64 v66, v70, v66, s[74:75]
	v_cmp_ge_i32_e64 s[74:75], v66, v65
	s_or_b64 s[78:79], s[74:75], s[78:79]
	s_andn2_b64 exec, exec, s[78:79]
	s_cbranch_execnz .LBB119_4
; %bb.5:                                ;   in Loop: Header=BB119_2 Depth=1
	s_or_b64 exec, exec, s[78:79]
.LBB119_6:                              ;   in Loop: Header=BB119_2 Depth=1
	s_or_b64 exec, exec, s[76:77]
	v_add_u32_e32 v65, v66, v3
	v_sub_u32_e32 v66, v27, v66
	ds_read_u8 v67, v65
	ds_read_u8 v68, v66
	v_cmp_le_i32_e64 s[76:77], v15, v65
	v_cmp_gt_i32_e64 s[74:75], v16, v66
                                        ; implicit-def: $vgpr69
                                        ; implicit-def: $vgpr70
	s_waitcnt lgkmcnt(0)
	v_cmp_lt_u16_sdwa s[78:79], v68, v67 src0_sel:BYTE_0 src1_sel:BYTE_0
	s_or_b64 s[76:77], s[76:77], s[78:79]
	s_and_b64 s[74:75], s[74:75], s[76:77]
	s_xor_b64 s[76:77], s[74:75], -1
	s_and_saveexec_b64 s[78:79], s[76:77]
	s_xor_b64 s[76:77], exec, s[78:79]
	s_cbranch_execz .LBB119_8
; %bb.7:                                ;   in Loop: Header=BB119_2 Depth=1
	ds_read_u8 v70, v65 offset:1
	v_mov_b32_e32 v69, v68
.LBB119_8:                              ;   in Loop: Header=BB119_2 Depth=1
	s_andn2_saveexec_b64 s[76:77], s[76:77]
	s_cbranch_execz .LBB119_10
; %bb.9:                                ;   in Loop: Header=BB119_2 Depth=1
	ds_read_u8 v69, v66 offset:1
	s_waitcnt lgkmcnt(1)
	v_mov_b32_e32 v70, v67
.LBB119_10:                             ;   in Loop: Header=BB119_2 Depth=1
	s_or_b64 exec, exec, s[76:77]
	v_add_u32_e32 v72, 1, v65
	v_add_u32_e32 v71, 1, v66
	v_cndmask_b32_e64 v72, v72, v65, s[74:75]
	v_cndmask_b32_e64 v71, v66, v71, s[74:75]
	v_cmp_ge_i32_e64 s[78:79], v72, v15
	s_waitcnt lgkmcnt(0)
	v_cmp_lt_u16_sdwa s[80:81], v69, v70 src0_sel:BYTE_0 src1_sel:BYTE_0
	v_cmp_lt_i32_e64 s[76:77], v71, v16
	s_or_b64 s[78:79], s[78:79], s[80:81]
	s_and_b64 s[76:77], s[76:77], s[78:79]
	s_xor_b64 s[78:79], s[76:77], -1
                                        ; implicit-def: $vgpr73
	s_and_saveexec_b64 s[80:81], s[78:79]
	s_xor_b64 s[78:79], exec, s[80:81]
	s_cbranch_execz .LBB119_12
; %bb.11:                               ;   in Loop: Header=BB119_2 Depth=1
	ds_read_u8 v73, v72 offset:1
.LBB119_12:                             ;   in Loop: Header=BB119_2 Depth=1
	s_or_saveexec_b64 s[78:79], s[78:79]
	v_mov_b32_e32 v74, v69
	s_xor_b64 exec, exec, s[78:79]
	s_cbranch_execz .LBB119_14
; %bb.13:                               ;   in Loop: Header=BB119_2 Depth=1
	ds_read_u8 v74, v71 offset:1
	s_waitcnt lgkmcnt(1)
	v_mov_b32_e32 v73, v70
.LBB119_14:                             ;   in Loop: Header=BB119_2 Depth=1
	s_or_b64 exec, exec, s[78:79]
	v_add_u32_e32 v76, 1, v72
	v_add_u32_e32 v75, 1, v71
	v_cndmask_b32_e64 v76, v76, v72, s[76:77]
	v_cndmask_b32_e64 v75, v71, v75, s[76:77]
	v_cmp_ge_i32_e64 s[80:81], v76, v15
	s_waitcnt lgkmcnt(0)
	v_cmp_lt_u16_sdwa s[82:83], v74, v73 src0_sel:BYTE_0 src1_sel:BYTE_0
	v_cmp_lt_i32_e64 s[78:79], v75, v16
	s_or_b64 s[80:81], s[80:81], s[82:83]
	s_and_b64 s[78:79], s[78:79], s[80:81]
	s_xor_b64 s[80:81], s[78:79], -1
                                        ; implicit-def: $vgpr77
	s_and_saveexec_b64 s[82:83], s[80:81]
	s_xor_b64 s[80:81], exec, s[82:83]
	s_cbranch_execz .LBB119_16
; %bb.15:                               ;   in Loop: Header=BB119_2 Depth=1
	ds_read_u8 v77, v76 offset:1
.LBB119_16:                             ;   in Loop: Header=BB119_2 Depth=1
	s_or_saveexec_b64 s[80:81], s[80:81]
	v_mov_b32_e32 v78, v74
	s_xor_b64 exec, exec, s[80:81]
	s_cbranch_execz .LBB119_18
; %bb.17:                               ;   in Loop: Header=BB119_2 Depth=1
	ds_read_u8 v78, v75 offset:1
	s_waitcnt lgkmcnt(1)
	v_mov_b32_e32 v77, v73
.LBB119_18:                             ;   in Loop: Header=BB119_2 Depth=1
	s_or_b64 exec, exec, s[80:81]
	v_add_u32_e32 v80, 1, v76
	v_add_u32_e32 v79, 1, v75
	v_cndmask_b32_e64 v80, v80, v76, s[78:79]
	v_cndmask_b32_e64 v79, v75, v79, s[78:79]
	v_cmp_ge_i32_e64 s[82:83], v80, v15
	s_waitcnt lgkmcnt(0)
	v_cmp_lt_u16_sdwa s[84:85], v78, v77 src0_sel:BYTE_0 src1_sel:BYTE_0
	v_cmp_lt_i32_e64 s[80:81], v79, v16
	s_or_b64 s[82:83], s[82:83], s[84:85]
	s_and_b64 s[80:81], s[80:81], s[82:83]
	s_xor_b64 s[82:83], s[80:81], -1
                                        ; implicit-def: $vgpr81
	s_and_saveexec_b64 s[84:85], s[82:83]
	s_xor_b64 s[82:83], exec, s[84:85]
	s_cbranch_execz .LBB119_20
; %bb.19:                               ;   in Loop: Header=BB119_2 Depth=1
	ds_read_u8 v81, v80 offset:1
.LBB119_20:                             ;   in Loop: Header=BB119_2 Depth=1
	s_or_saveexec_b64 s[82:83], s[82:83]
	v_mov_b32_e32 v82, v78
	s_xor_b64 exec, exec, s[82:83]
	s_cbranch_execz .LBB119_22
; %bb.21:                               ;   in Loop: Header=BB119_2 Depth=1
	ds_read_u8 v82, v79 offset:1
	s_waitcnt lgkmcnt(1)
	v_mov_b32_e32 v81, v77
.LBB119_22:                             ;   in Loop: Header=BB119_2 Depth=1
	s_or_b64 exec, exec, s[82:83]
	v_add_u32_e32 v85, 1, v80
	v_add_u32_e32 v83, 1, v79
	v_cndmask_b32_e64 v85, v85, v80, s[80:81]
	v_cndmask_b32_e64 v84, v79, v83, s[80:81]
	v_cmp_ge_i32_e64 s[84:85], v85, v15
	s_waitcnt lgkmcnt(0)
	v_cmp_lt_u16_sdwa s[86:87], v82, v81 src0_sel:BYTE_0 src1_sel:BYTE_0
	v_cmp_lt_i32_e64 s[82:83], v84, v16
	s_or_b64 s[84:85], s[84:85], s[86:87]
	s_and_b64 s[82:83], s[82:83], s[84:85]
	s_xor_b64 s[84:85], s[82:83], -1
                                        ; implicit-def: $vgpr87
	s_and_saveexec_b64 s[86:87], s[84:85]
	s_xor_b64 s[84:85], exec, s[86:87]
	s_cbranch_execz .LBB119_24
; %bb.23:                               ;   in Loop: Header=BB119_2 Depth=1
	ds_read_u8 v87, v85 offset:1
.LBB119_24:                             ;   in Loop: Header=BB119_2 Depth=1
	s_or_saveexec_b64 s[84:85], s[84:85]
	v_mov_b32_e32 v88, v82
	s_xor_b64 exec, exec, s[84:85]
	s_cbranch_execz .LBB119_26
; %bb.25:                               ;   in Loop: Header=BB119_2 Depth=1
	ds_read_u8 v88, v84 offset:1
	s_waitcnt lgkmcnt(1)
	v_mov_b32_e32 v87, v81
.LBB119_26:                             ;   in Loop: Header=BB119_2 Depth=1
	s_or_b64 exec, exec, s[84:85]
	v_add_u32_e32 v86, 1, v85
	v_add_u32_e32 v83, 1, v84
	v_cndmask_b32_e64 v90, v86, v85, s[82:83]
	v_cndmask_b32_e64 v89, v84, v83, s[82:83]
	v_cmp_ge_i32_e64 s[86:87], v90, v15
	s_waitcnt lgkmcnt(0)
	v_cmp_lt_u16_sdwa s[88:89], v88, v87 src0_sel:BYTE_0 src1_sel:BYTE_0
	v_cmp_lt_i32_e64 s[84:85], v89, v16
	s_or_b64 s[86:87], s[86:87], s[88:89]
	s_and_b64 s[84:85], s[84:85], s[86:87]
	s_xor_b64 s[86:87], s[84:85], -1
                                        ; implicit-def: $vgpr91
	s_and_saveexec_b64 s[88:89], s[86:87]
	s_xor_b64 s[86:87], exec, s[88:89]
	s_cbranch_execz .LBB119_28
; %bb.27:                               ;   in Loop: Header=BB119_2 Depth=1
	ds_read_u8 v91, v90 offset:1
.LBB119_28:                             ;   in Loop: Header=BB119_2 Depth=1
	s_or_saveexec_b64 s[86:87], s[86:87]
	v_mov_b32_e32 v92, v88
	s_xor_b64 exec, exec, s[86:87]
	s_cbranch_execz .LBB119_30
; %bb.29:                               ;   in Loop: Header=BB119_2 Depth=1
	ds_read_u8 v92, v89 offset:1
	s_waitcnt lgkmcnt(1)
	v_mov_b32_e32 v91, v87
.LBB119_30:                             ;   in Loop: Header=BB119_2 Depth=1
	s_or_b64 exec, exec, s[86:87]
	v_add_u32_e32 v86, 1, v90
	v_add_u32_e32 v83, 1, v89
	v_cndmask_b32_e64 v94, v86, v90, s[84:85]
	v_cndmask_b32_e64 v93, v89, v83, s[84:85]
	v_cmp_ge_i32_e64 s[88:89], v94, v15
	s_waitcnt lgkmcnt(0)
	v_cmp_lt_u16_sdwa s[0:1], v92, v91 src0_sel:BYTE_0 src1_sel:BYTE_0
	v_cmp_lt_i32_e64 s[86:87], v93, v16
	s_or_b64 s[0:1], s[88:89], s[0:1]
	s_and_b64 s[86:87], s[86:87], s[0:1]
	s_xor_b64 s[0:1], s[86:87], -1
                                        ; implicit-def: $vgpr83
	s_and_saveexec_b64 s[88:89], s[0:1]
	s_xor_b64 s[88:89], exec, s[88:89]
	s_cbranch_execz .LBB119_32
; %bb.31:                               ;   in Loop: Header=BB119_2 Depth=1
	ds_read_u8 v83, v94 offset:1
.LBB119_32:                             ;   in Loop: Header=BB119_2 Depth=1
	s_or_saveexec_b64 s[88:89], s[88:89]
	v_mov_b32_e32 v86, v92
	s_xor_b64 exec, exec, s[88:89]
	s_cbranch_execz .LBB119_34
; %bb.33:                               ;   in Loop: Header=BB119_2 Depth=1
	ds_read_u8 v86, v93 offset:1
	s_waitcnt lgkmcnt(1)
	v_mov_b32_e32 v83, v91
.LBB119_34:                             ;   in Loop: Header=BB119_2 Depth=1
	s_or_b64 exec, exec, s[88:89]
	v_perm_b32 v95, 0, v63, s96
	v_and_or_b32 v95, v63, s90, v95
	v_cndmask_b32_e64 v63, v63, v95, s[16:17]
	v_cndmask_b32_e64 v66, v65, v66, s[74:75]
	v_lshrrev_b32_e32 v65, 16, v63
	v_perm_b32 v65, 0, v65, s96
	v_lshlrev_b32_e32 v65, 16, v65
	v_and_or_b32 v65, v63, s93, v65
	v_cndmask_b32_e64 v63, v63, v65, s[18:19]
	v_perm_b32 v65, v64, v64, s95
	v_cndmask_b32_e64 v64, v64, v65, s[20:21]
	v_perm_b32 v65, v64, v64, s97
	;; [unrolled: 2-line block ×3, first 2 shown]
	v_cndmask_b32_e64 v63, v63, v65, s[24:25]
	v_cndmask_b32_e64 v73, v73, v74, s[78:79]
	;; [unrolled: 1-line block ×6, first 2 shown]
	v_and_b32_sdwa v67, v63, s94 dst_sel:DWORD dst_unused:UNUSED_PAD src0_sel:WORD_1 src1_sel:DWORD
	v_lshlrev_b16_e32 v68, 8, v64
	v_or_b32_sdwa v67, v67, v68 dst_sel:WORD_1 dst_unused:UNUSED_PAD src0_sel:DWORD src1_sel:DWORD
	v_perm_b32 v65, v63, v64, s99
	v_and_or_b32 v67, v63, s93, v67
	v_cndmask_b32_e64 v63, v63, v67, s[26:27]
	v_perm_b32 v67, 0, v63, s96
	v_cndmask_b32_e64 v64, v64, v65, s[26:27]
	v_and_or_b32 v67, v63, s90, v67
	v_perm_b32 v65, v64, v64, s98
	v_cndmask_b32_e64 v63, v63, v67, s[30:31]
	v_cndmask_b32_e64 v64, v64, v65, s[28:29]
	v_lshrrev_b32_e32 v65, 16, v63
	v_perm_b32 v65, 0, v65, s96
	v_lshlrev_b32_e32 v65, 16, v65
	v_and_or_b32 v65, v63, s93, v65
	v_cndmask_b32_e64 v63, v63, v65, s[34:35]
	v_perm_b32 v65, v64, v64, s95
	v_cndmask_b32_e64 v64, v64, v65, s[36:37]
	v_perm_b32 v65, v64, v64, s97
	v_cndmask_b32_e64 v64, v64, v65, s[38:39]
	v_perm_b32 v65, v63, v63, s98
	v_cndmask_b32_e64 v63, v63, v65, s[40:41]
	v_and_b32_sdwa v67, v63, s94 dst_sel:DWORD dst_unused:UNUSED_PAD src0_sel:WORD_1 src1_sel:DWORD
	v_lshlrev_b16_e32 v68, 8, v64
	v_or_b32_sdwa v67, v67, v68 dst_sel:WORD_1 dst_unused:UNUSED_PAD src0_sel:DWORD src1_sel:DWORD
	v_perm_b32 v65, v63, v64, s99
	v_and_or_b32 v67, v63, s93, v67
	v_cndmask_b32_e64 v63, v63, v67, s[42:43]
	v_perm_b32 v67, 0, v63, s96
	v_cndmask_b32_e64 v64, v64, v65, s[42:43]
	v_and_or_b32 v67, v63, s90, v67
	v_perm_b32 v65, v64, v64, s98
	v_cndmask_b32_e64 v63, v63, v67, s[46:47]
	v_cndmask_b32_e64 v64, v64, v65, s[44:45]
	v_lshrrev_b32_e32 v65, 16, v63
	v_perm_b32 v65, 0, v65, s96
	v_lshlrev_b32_e32 v65, 16, v65
	v_and_or_b32 v65, v63, s93, v65
	v_cndmask_b32_e64 v63, v63, v65, s[48:49]
	v_perm_b32 v65, v64, v64, s95
	v_cndmask_b32_e64 v64, v64, v65, s[50:51]
	v_perm_b32 v65, v64, v64, s97
	v_cndmask_b32_e64 v64, v64, v65, s[52:53]
	v_perm_b32 v65, v63, v63, s98
	v_cndmask_b32_e64 v63, v63, v65, s[54:55]
	;; [unrolled: 23-line block ×3, first 2 shown]
	v_add_u32_e32 v96, 1, v94
	v_and_b32_sdwa v64, v63, s94 dst_sel:DWORD dst_unused:UNUSED_PAD src0_sel:WORD_1 src1_sel:DWORD
	v_lshlrev_b16_e32 v68, 8, v65
	v_cndmask_b32_e64 v91, v91, v92, s[86:87]
	v_add_u32_e32 v92, 1, v93
	v_cndmask_b32_e64 v96, v96, v94, s[86:87]
	v_or_b32_sdwa v64, v64, v68 dst_sel:WORD_1 dst_unused:UNUSED_PAD src0_sel:DWORD src1_sel:DWORD
	v_cndmask_b32_e64 v92, v93, v92, s[86:87]
	v_perm_b32 v67, v63, v65, s99
	v_and_or_b32 v64, v63, s93, v64
	v_cmp_ge_i32_e64 s[18:19], v96, v15
	s_waitcnt lgkmcnt(0)
	v_cmp_lt_u16_sdwa s[0:1], v86, v83 src0_sel:BYTE_0 src1_sel:BYTE_0
	v_cndmask_b32_e64 v64, v63, v64, s[70:71]
	v_cndmask_b32_e64 v63, v65, v67, s[70:71]
	v_cmp_lt_i32_e64 s[16:17], v92, v16
	s_or_b64 s[0:1], s[18:19], s[0:1]
	v_perm_b32 v65, v63, v63, s98
	s_and_b64 s[16:17], s[16:17], s[0:1]
	v_cndmask_b32_e64 v65, v63, v65, s[72:73]
	v_cndmask_b32_e64 v63, v96, v92, s[16:17]
	;; [unrolled: 1-line block ×9, first 2 shown]
	s_barrier
	ds_write_b64 v2, v[64:65]
	s_waitcnt lgkmcnt(0)
	s_barrier
	ds_read_u8 v67, v63
	ds_read_u8 v63, v66
	;; [unrolled: 1-line block ×8, first 2 shown]
	v_lshlrev_b16_e32 v72, 8, v75
	v_or_b32_sdwa v71, v71, v72 dst_sel:DWORD dst_unused:UNUSED_PAD src0_sel:BYTE_0 src1_sel:DWORD
	v_lshlrev_b16_e32 v72, 8, v77
	v_cndmask_b32_e64 v76, v83, v86, s[16:17]
	v_or_b32_sdwa v72, v73, v72 dst_sel:WORD_1 dst_unused:UNUSED_PAD src0_sel:BYTE_0 src1_sel:DWORD
	v_lshlrev_b16_e32 v73, 8, v76
	v_or_b32_sdwa v72, v71, v72 dst_sel:DWORD dst_unused:UNUSED_PAD src0_sel:WORD_0 src1_sel:DWORD
	v_lshlrev_b16_e32 v71, 8, v87
	v_or_b32_sdwa v71, v81, v71 dst_sel:DWORD dst_unused:UNUSED_PAD src0_sel:BYTE_0 src1_sel:DWORD
	v_or_b32_sdwa v73, v91, v73 dst_sel:WORD_1 dst_unused:UNUSED_PAD src0_sel:BYTE_0 src1_sel:DWORD
	s_waitcnt lgkmcnt(0)
	v_or_b32_sdwa v73, v71, v73 dst_sel:DWORD dst_unused:UNUSED_PAD src0_sel:WORD_0 src1_sel:DWORD
	s_barrier
	ds_write_b64 v2, v[72:73]
	v_mov_b32_e32 v72, v35
	s_waitcnt lgkmcnt(0)
	s_barrier
	s_and_saveexec_b64 s[18:19], vcc
	s_cbranch_execz .LBB119_38
; %bb.35:                               ;   in Loop: Header=BB119_2 Depth=1
	s_mov_b64 s[20:21], 0
	v_mov_b32_e32 v72, v35
	v_mov_b32_e32 v71, v30
.LBB119_36:                             ;   Parent Loop BB119_2 Depth=1
                                        ; =>  This Inner Loop Header: Depth=2
	v_sub_u32_e32 v73, v71, v72
	v_lshrrev_b32_e32 v74, 31, v73
	v_add_u32_e32 v73, v73, v74
	v_ashrrev_i32_e32 v73, 1, v73
	v_add_u32_e32 v73, v73, v72
	v_not_b32_e32 v75, v73
	v_add_u32_e32 v74, v5, v73
	v_add3_u32 v75, v6, v75, v17
	ds_read_u8 v74, v74
	ds_read_u8 v75, v75
	v_add_u32_e32 v76, 1, v73
	s_waitcnt lgkmcnt(0)
	v_cmp_lt_u16_e64 s[16:17], v75, v74
	s_nop 1
	v_cndmask_b32_e64 v71, v71, v73, s[16:17]
	v_cndmask_b32_e64 v72, v76, v72, s[16:17]
	v_cmp_ge_i32_e64 s[16:17], v72, v71
	s_or_b64 s[20:21], s[16:17], s[20:21]
	s_andn2_b64 exec, exec, s[20:21]
	s_cbranch_execnz .LBB119_36
; %bb.37:                               ;   in Loop: Header=BB119_2 Depth=1
	s_or_b64 exec, exec, s[20:21]
.LBB119_38:                             ;   in Loop: Header=BB119_2 Depth=1
	s_or_b64 exec, exec, s[18:19]
	v_add_u32_e32 v71, v72, v5
	v_sub_u32_e32 v72, v28, v72
	ds_read_u8 v73, v71
	ds_read_u8 v74, v72
	v_cmp_le_i32_e64 s[18:19], v17, v71
	v_cmp_gt_i32_e64 s[16:17], v18, v72
                                        ; implicit-def: $vgpr75
                                        ; implicit-def: $vgpr76
	s_waitcnt lgkmcnt(0)
	v_cmp_lt_u16_sdwa s[0:1], v74, v73 src0_sel:BYTE_0 src1_sel:BYTE_0
	s_or_b64 s[0:1], s[18:19], s[0:1]
	s_and_b64 s[16:17], s[16:17], s[0:1]
	s_xor_b64 s[0:1], s[16:17], -1
	s_and_saveexec_b64 s[18:19], s[0:1]
	s_xor_b64 s[18:19], exec, s[18:19]
	s_cbranch_execz .LBB119_40
; %bb.39:                               ;   in Loop: Header=BB119_2 Depth=1
	ds_read_u8 v76, v71 offset:1
	v_mov_b32_e32 v75, v74
.LBB119_40:                             ;   in Loop: Header=BB119_2 Depth=1
	s_andn2_saveexec_b64 s[18:19], s[18:19]
	s_cbranch_execz .LBB119_42
; %bb.41:                               ;   in Loop: Header=BB119_2 Depth=1
	ds_read_u8 v75, v72 offset:1
	s_waitcnt lgkmcnt(1)
	v_mov_b32_e32 v76, v73
.LBB119_42:                             ;   in Loop: Header=BB119_2 Depth=1
	s_or_b64 exec, exec, s[18:19]
	v_add_u32_e32 v78, 1, v71
	v_add_u32_e32 v77, 1, v72
	v_cndmask_b32_e64 v78, v78, v71, s[16:17]
	v_cndmask_b32_e64 v77, v72, v77, s[16:17]
	v_cmp_ge_i32_e64 s[20:21], v78, v17
	s_waitcnt lgkmcnt(0)
	v_cmp_lt_u16_sdwa s[0:1], v75, v76 src0_sel:BYTE_0 src1_sel:BYTE_0
	v_cmp_lt_i32_e64 s[18:19], v77, v18
	s_or_b64 s[0:1], s[20:21], s[0:1]
	s_and_b64 s[18:19], s[18:19], s[0:1]
	s_xor_b64 s[0:1], s[18:19], -1
                                        ; implicit-def: $vgpr79
	s_and_saveexec_b64 s[20:21], s[0:1]
	s_xor_b64 s[20:21], exec, s[20:21]
	s_cbranch_execz .LBB119_44
; %bb.43:                               ;   in Loop: Header=BB119_2 Depth=1
	ds_read_u8 v79, v78 offset:1
.LBB119_44:                             ;   in Loop: Header=BB119_2 Depth=1
	s_or_saveexec_b64 s[20:21], s[20:21]
	v_mov_b32_e32 v80, v75
	s_xor_b64 exec, exec, s[20:21]
	s_cbranch_execz .LBB119_46
; %bb.45:                               ;   in Loop: Header=BB119_2 Depth=1
	ds_read_u8 v80, v77 offset:1
	s_waitcnt lgkmcnt(1)
	v_mov_b32_e32 v79, v76
.LBB119_46:                             ;   in Loop: Header=BB119_2 Depth=1
	s_or_b64 exec, exec, s[20:21]
	v_add_u32_e32 v82, 1, v78
	v_add_u32_e32 v81, 1, v77
	v_cndmask_b32_e64 v82, v82, v78, s[18:19]
	v_cndmask_b32_e64 v81, v77, v81, s[18:19]
	v_cmp_ge_i32_e64 s[22:23], v82, v17
	s_waitcnt lgkmcnt(0)
	v_cmp_lt_u16_sdwa s[0:1], v80, v79 src0_sel:BYTE_0 src1_sel:BYTE_0
	v_cmp_lt_i32_e64 s[20:21], v81, v18
	s_or_b64 s[0:1], s[22:23], s[0:1]
	s_and_b64 s[20:21], s[20:21], s[0:1]
	s_xor_b64 s[0:1], s[20:21], -1
                                        ; implicit-def: $vgpr83
	s_and_saveexec_b64 s[22:23], s[0:1]
	s_xor_b64 s[22:23], exec, s[22:23]
	s_cbranch_execz .LBB119_48
; %bb.47:                               ;   in Loop: Header=BB119_2 Depth=1
	ds_read_u8 v83, v82 offset:1
.LBB119_48:                             ;   in Loop: Header=BB119_2 Depth=1
	s_or_saveexec_b64 s[22:23], s[22:23]
	v_mov_b32_e32 v84, v80
	s_xor_b64 exec, exec, s[22:23]
	s_cbranch_execz .LBB119_50
; %bb.49:                               ;   in Loop: Header=BB119_2 Depth=1
	ds_read_u8 v84, v81 offset:1
	s_waitcnt lgkmcnt(1)
	v_mov_b32_e32 v83, v79
.LBB119_50:                             ;   in Loop: Header=BB119_2 Depth=1
	s_or_b64 exec, exec, s[22:23]
	v_add_u32_e32 v86, 1, v82
	v_add_u32_e32 v85, 1, v81
	v_cndmask_b32_e64 v86, v86, v82, s[20:21]
	v_cndmask_b32_e64 v85, v81, v85, s[20:21]
	v_cmp_ge_i32_e64 s[24:25], v86, v17
	s_waitcnt lgkmcnt(0)
	v_cmp_lt_u16_sdwa s[0:1], v84, v83 src0_sel:BYTE_0 src1_sel:BYTE_0
	v_cmp_lt_i32_e64 s[22:23], v85, v18
	s_or_b64 s[0:1], s[24:25], s[0:1]
	s_and_b64 s[22:23], s[22:23], s[0:1]
	s_xor_b64 s[0:1], s[22:23], -1
                                        ; implicit-def: $vgpr87
	s_and_saveexec_b64 s[24:25], s[0:1]
	s_xor_b64 s[24:25], exec, s[24:25]
	s_cbranch_execz .LBB119_52
; %bb.51:                               ;   in Loop: Header=BB119_2 Depth=1
	ds_read_u8 v87, v86 offset:1
.LBB119_52:                             ;   in Loop: Header=BB119_2 Depth=1
	s_or_saveexec_b64 s[24:25], s[24:25]
	v_mov_b32_e32 v88, v84
	s_xor_b64 exec, exec, s[24:25]
	s_cbranch_execz .LBB119_54
; %bb.53:                               ;   in Loop: Header=BB119_2 Depth=1
	ds_read_u8 v88, v85 offset:1
	s_waitcnt lgkmcnt(1)
	v_mov_b32_e32 v87, v83
.LBB119_54:                             ;   in Loop: Header=BB119_2 Depth=1
	s_or_b64 exec, exec, s[24:25]
	v_add_u32_e32 v90, 1, v86
	v_add_u32_e32 v89, 1, v85
	v_cndmask_b32_e64 v90, v90, v86, s[22:23]
	v_cndmask_b32_e64 v89, v85, v89, s[22:23]
	v_cmp_ge_i32_e64 s[26:27], v90, v17
	s_waitcnt lgkmcnt(0)
	v_cmp_lt_u16_sdwa s[0:1], v88, v87 src0_sel:BYTE_0 src1_sel:BYTE_0
	v_cmp_lt_i32_e64 s[24:25], v89, v18
	s_or_b64 s[0:1], s[26:27], s[0:1]
	s_and_b64 s[24:25], s[24:25], s[0:1]
	s_xor_b64 s[0:1], s[24:25], -1
                                        ; implicit-def: $vgpr91
	s_and_saveexec_b64 s[26:27], s[0:1]
	s_xor_b64 s[26:27], exec, s[26:27]
	s_cbranch_execz .LBB119_56
; %bb.55:                               ;   in Loop: Header=BB119_2 Depth=1
	ds_read_u8 v91, v90 offset:1
.LBB119_56:                             ;   in Loop: Header=BB119_2 Depth=1
	s_or_saveexec_b64 s[26:27], s[26:27]
	v_mov_b32_e32 v92, v88
	s_xor_b64 exec, exec, s[26:27]
	s_cbranch_execz .LBB119_58
; %bb.57:                               ;   in Loop: Header=BB119_2 Depth=1
	ds_read_u8 v92, v89 offset:1
	s_waitcnt lgkmcnt(1)
	v_mov_b32_e32 v91, v87
.LBB119_58:                             ;   in Loop: Header=BB119_2 Depth=1
	s_or_b64 exec, exec, s[26:27]
	v_add_u32_e32 v94, 1, v90
	v_add_u32_e32 v93, 1, v89
	v_cndmask_b32_e64 v94, v94, v90, s[24:25]
	v_cndmask_b32_e64 v93, v89, v93, s[24:25]
	v_cmp_ge_i32_e64 s[28:29], v94, v17
	s_waitcnt lgkmcnt(0)
	v_cmp_lt_u16_sdwa s[0:1], v92, v91 src0_sel:BYTE_0 src1_sel:BYTE_0
	v_cmp_lt_i32_e64 s[26:27], v93, v18
	s_or_b64 s[0:1], s[28:29], s[0:1]
	s_and_b64 s[26:27], s[26:27], s[0:1]
	s_xor_b64 s[0:1], s[26:27], -1
                                        ; implicit-def: $vgpr95
	s_and_saveexec_b64 s[28:29], s[0:1]
	s_xor_b64 s[28:29], exec, s[28:29]
	s_cbranch_execz .LBB119_60
; %bb.59:                               ;   in Loop: Header=BB119_2 Depth=1
	ds_read_u8 v95, v94 offset:1
.LBB119_60:                             ;   in Loop: Header=BB119_2 Depth=1
	s_or_saveexec_b64 s[28:29], s[28:29]
	v_mov_b32_e32 v96, v92
	s_xor_b64 exec, exec, s[28:29]
	s_cbranch_execz .LBB119_62
; %bb.61:                               ;   in Loop: Header=BB119_2 Depth=1
	ds_read_u8 v96, v93 offset:1
	s_waitcnt lgkmcnt(1)
	v_mov_b32_e32 v95, v91
.LBB119_62:                             ;   in Loop: Header=BB119_2 Depth=1
	s_or_b64 exec, exec, s[28:29]
	v_add_u32_e32 v99, 1, v94
	v_add_u32_e32 v97, 1, v93
	v_cndmask_b32_e64 v99, v99, v94, s[26:27]
	v_cndmask_b32_e64 v98, v93, v97, s[26:27]
	v_cmp_ge_i32_e64 s[30:31], v99, v17
	s_waitcnt lgkmcnt(0)
	v_cmp_lt_u16_sdwa s[0:1], v96, v95 src0_sel:BYTE_0 src1_sel:BYTE_0
	v_cmp_lt_i32_e64 s[28:29], v98, v18
	s_or_b64 s[0:1], s[30:31], s[0:1]
	s_and_b64 s[28:29], s[28:29], s[0:1]
	s_xor_b64 s[0:1], s[28:29], -1
                                        ; implicit-def: $vgpr97
	s_and_saveexec_b64 s[30:31], s[0:1]
	s_xor_b64 s[30:31], exec, s[30:31]
	s_cbranch_execz .LBB119_64
; %bb.63:                               ;   in Loop: Header=BB119_2 Depth=1
	ds_read_u8 v97, v99 offset:1
.LBB119_64:                             ;   in Loop: Header=BB119_2 Depth=1
	s_or_saveexec_b64 s[30:31], s[30:31]
	v_mov_b32_e32 v100, v96
	s_xor_b64 exec, exec, s[30:31]
	s_cbranch_execz .LBB119_66
; %bb.65:                               ;   in Loop: Header=BB119_2 Depth=1
	ds_read_u8 v100, v98 offset:1
	s_waitcnt lgkmcnt(1)
	v_mov_b32_e32 v97, v95
.LBB119_66:                             ;   in Loop: Header=BB119_2 Depth=1
	s_or_b64 exec, exec, s[30:31]
	v_add_u32_e32 v101, 1, v99
	v_cndmask_b32_e64 v95, v95, v96, s[28:29]
	v_add_u32_e32 v96, 1, v98
	v_cndmask_b32_e64 v101, v101, v99, s[28:29]
	v_cndmask_b32_e64 v96, v98, v96, s[28:29]
	;; [unrolled: 1-line block ×4, first 2 shown]
	v_cmp_ge_i32_e64 s[18:19], v101, v17
	s_waitcnt lgkmcnt(0)
	v_cmp_lt_u16_sdwa s[0:1], v100, v97 src0_sel:BYTE_0 src1_sel:BYTE_0
	v_lshlrev_b16_e32 v65, 8, v65
	v_cndmask_b32_e64 v73, v73, v74, s[16:17]
	v_cndmask_b32_e64 v71, v71, v72, s[16:17]
	v_cmp_lt_i32_e64 s[16:17], v96, v18
	s_or_b64 s[0:1], s[18:19], s[0:1]
	v_lshlrev_b16_e32 v70, 8, v70
	v_lshlrev_b16_e32 v67, 8, v67
	v_or_b32_sdwa v63, v63, v65 dst_sel:DWORD dst_unused:UNUSED_PAD src0_sel:BYTE_0 src1_sel:DWORD
	v_lshlrev_b16_e32 v65, 8, v66
	s_and_b64 s[16:17], s[16:17], s[0:1]
	v_or_b32_sdwa v68, v68, v70 dst_sel:DWORD dst_unused:UNUSED_PAD src0_sel:BYTE_0 src1_sel:DWORD
	v_or_b32_sdwa v67, v69, v67 dst_sel:WORD_1 dst_unused:UNUSED_PAD src0_sel:BYTE_0 src1_sel:DWORD
	v_or_b32_sdwa v64, v64, v65 dst_sel:WORD_1 dst_unused:UNUSED_PAD src0_sel:BYTE_0 src1_sel:DWORD
	v_cndmask_b32_e64 v72, v101, v96, s[16:17]
	v_or_b32_sdwa v67, v68, v67 dst_sel:DWORD dst_unused:UNUSED_PAD src0_sel:WORD_0 src1_sel:DWORD
	v_or_b32_sdwa v66, v63, v64 dst_sel:DWORD dst_unused:UNUSED_PAD src0_sel:WORD_0 src1_sel:DWORD
	v_cndmask_b32_e64 v98, v99, v98, s[28:29]
	v_cndmask_b32_e64 v91, v91, v92, s[26:27]
	;; [unrolled: 1-line block ×9, first 2 shown]
	s_barrier
	ds_write_b64 v2, v[66:67]
	s_waitcnt lgkmcnt(0)
	s_barrier
	ds_read_u8 v67, v72
	ds_read_u8 v63, v71
	;; [unrolled: 1-line block ×8, first 2 shown]
	v_lshlrev_b16_e32 v71, 8, v75
	v_lshlrev_b16_e32 v72, 8, v83
	v_cndmask_b32_e64 v74, v97, v100, s[16:17]
	v_or_b32_sdwa v71, v73, v71 dst_sel:DWORD dst_unused:UNUSED_PAD src0_sel:BYTE_0 src1_sel:DWORD
	v_or_b32_sdwa v72, v79, v72 dst_sel:WORD_1 dst_unused:UNUSED_PAD src0_sel:BYTE_0 src1_sel:DWORD
	v_lshlrev_b16_e32 v73, 8, v74
	v_or_b32_sdwa v72, v71, v72 dst_sel:DWORD dst_unused:UNUSED_PAD src0_sel:WORD_0 src1_sel:DWORD
	v_lshlrev_b16_e32 v71, 8, v91
	v_or_b32_sdwa v71, v87, v71 dst_sel:DWORD dst_unused:UNUSED_PAD src0_sel:BYTE_0 src1_sel:DWORD
	v_or_b32_sdwa v73, v95, v73 dst_sel:WORD_1 dst_unused:UNUSED_PAD src0_sel:BYTE_0 src1_sel:DWORD
	s_waitcnt lgkmcnt(0)
	v_or_b32_sdwa v73, v71, v73 dst_sel:DWORD dst_unused:UNUSED_PAD src0_sel:WORD_0 src1_sel:DWORD
	s_barrier
	ds_write_b64 v2, v[72:73]
	v_mov_b32_e32 v72, v36
	s_waitcnt lgkmcnt(0)
	s_barrier
	s_and_saveexec_b64 s[18:19], s[2:3]
	s_cbranch_execz .LBB119_70
; %bb.67:                               ;   in Loop: Header=BB119_2 Depth=1
	s_mov_b64 s[20:21], 0
	v_mov_b32_e32 v72, v36
	v_mov_b32_e32 v71, v31
.LBB119_68:                             ;   Parent Loop BB119_2 Depth=1
                                        ; =>  This Inner Loop Header: Depth=2
	v_sub_u32_e32 v73, v71, v72
	v_lshrrev_b32_e32 v74, 31, v73
	v_add_u32_e32 v73, v73, v74
	v_ashrrev_i32_e32 v73, 1, v73
	v_add_u32_e32 v73, v73, v72
	v_not_b32_e32 v75, v73
	v_add_u32_e32 v74, v7, v73
	v_add3_u32 v75, v8, v75, v19
	ds_read_u8 v74, v74
	ds_read_u8 v75, v75
	v_add_u32_e32 v76, 1, v73
	s_waitcnt lgkmcnt(0)
	v_cmp_lt_u16_e64 s[16:17], v75, v74
	s_nop 1
	v_cndmask_b32_e64 v71, v71, v73, s[16:17]
	v_cndmask_b32_e64 v72, v76, v72, s[16:17]
	v_cmp_ge_i32_e64 s[16:17], v72, v71
	s_or_b64 s[20:21], s[16:17], s[20:21]
	s_andn2_b64 exec, exec, s[20:21]
	s_cbranch_execnz .LBB119_68
; %bb.69:                               ;   in Loop: Header=BB119_2 Depth=1
	s_or_b64 exec, exec, s[20:21]
.LBB119_70:                             ;   in Loop: Header=BB119_2 Depth=1
	s_or_b64 exec, exec, s[18:19]
	v_add_u32_e32 v71, v72, v7
	v_sub_u32_e32 v72, v56, v72
	ds_read_u8 v73, v71
	ds_read_u8 v74, v72
	v_cmp_le_i32_e64 s[18:19], v19, v71
	v_cmp_gt_i32_e64 s[16:17], v20, v72
                                        ; implicit-def: $vgpr75
                                        ; implicit-def: $vgpr76
	s_waitcnt lgkmcnt(0)
	v_cmp_lt_u16_sdwa s[0:1], v74, v73 src0_sel:BYTE_0 src1_sel:BYTE_0
	s_or_b64 s[0:1], s[18:19], s[0:1]
	s_and_b64 s[16:17], s[16:17], s[0:1]
	s_xor_b64 s[0:1], s[16:17], -1
	s_and_saveexec_b64 s[18:19], s[0:1]
	s_xor_b64 s[18:19], exec, s[18:19]
	s_cbranch_execz .LBB119_72
; %bb.71:                               ;   in Loop: Header=BB119_2 Depth=1
	ds_read_u8 v76, v71 offset:1
	v_mov_b32_e32 v75, v74
.LBB119_72:                             ;   in Loop: Header=BB119_2 Depth=1
	s_andn2_saveexec_b64 s[18:19], s[18:19]
	s_cbranch_execz .LBB119_74
; %bb.73:                               ;   in Loop: Header=BB119_2 Depth=1
	ds_read_u8 v75, v72 offset:1
	s_waitcnt lgkmcnt(1)
	v_mov_b32_e32 v76, v73
.LBB119_74:                             ;   in Loop: Header=BB119_2 Depth=1
	s_or_b64 exec, exec, s[18:19]
	v_add_u32_e32 v78, 1, v71
	v_add_u32_e32 v77, 1, v72
	v_cndmask_b32_e64 v78, v78, v71, s[16:17]
	v_cndmask_b32_e64 v77, v72, v77, s[16:17]
	v_cmp_ge_i32_e64 s[20:21], v78, v19
	s_waitcnt lgkmcnt(0)
	v_cmp_lt_u16_sdwa s[0:1], v75, v76 src0_sel:BYTE_0 src1_sel:BYTE_0
	v_cmp_lt_i32_e64 s[18:19], v77, v20
	s_or_b64 s[0:1], s[20:21], s[0:1]
	s_and_b64 s[18:19], s[18:19], s[0:1]
	s_xor_b64 s[0:1], s[18:19], -1
                                        ; implicit-def: $vgpr79
	s_and_saveexec_b64 s[20:21], s[0:1]
	s_xor_b64 s[20:21], exec, s[20:21]
	s_cbranch_execz .LBB119_76
; %bb.75:                               ;   in Loop: Header=BB119_2 Depth=1
	ds_read_u8 v79, v78 offset:1
.LBB119_76:                             ;   in Loop: Header=BB119_2 Depth=1
	s_or_saveexec_b64 s[20:21], s[20:21]
	v_mov_b32_e32 v80, v75
	s_xor_b64 exec, exec, s[20:21]
	s_cbranch_execz .LBB119_78
; %bb.77:                               ;   in Loop: Header=BB119_2 Depth=1
	ds_read_u8 v80, v77 offset:1
	s_waitcnt lgkmcnt(1)
	v_mov_b32_e32 v79, v76
.LBB119_78:                             ;   in Loop: Header=BB119_2 Depth=1
	s_or_b64 exec, exec, s[20:21]
	v_add_u32_e32 v82, 1, v78
	v_add_u32_e32 v81, 1, v77
	v_cndmask_b32_e64 v82, v82, v78, s[18:19]
	v_cndmask_b32_e64 v81, v77, v81, s[18:19]
	v_cmp_ge_i32_e64 s[22:23], v82, v19
	s_waitcnt lgkmcnt(0)
	v_cmp_lt_u16_sdwa s[0:1], v80, v79 src0_sel:BYTE_0 src1_sel:BYTE_0
	v_cmp_lt_i32_e64 s[20:21], v81, v20
	s_or_b64 s[0:1], s[22:23], s[0:1]
	s_and_b64 s[20:21], s[20:21], s[0:1]
	s_xor_b64 s[0:1], s[20:21], -1
                                        ; implicit-def: $vgpr83
	s_and_saveexec_b64 s[22:23], s[0:1]
	s_xor_b64 s[22:23], exec, s[22:23]
	s_cbranch_execz .LBB119_80
; %bb.79:                               ;   in Loop: Header=BB119_2 Depth=1
	ds_read_u8 v83, v82 offset:1
.LBB119_80:                             ;   in Loop: Header=BB119_2 Depth=1
	s_or_saveexec_b64 s[22:23], s[22:23]
	v_mov_b32_e32 v84, v80
	s_xor_b64 exec, exec, s[22:23]
	s_cbranch_execz .LBB119_82
; %bb.81:                               ;   in Loop: Header=BB119_2 Depth=1
	ds_read_u8 v84, v81 offset:1
	s_waitcnt lgkmcnt(1)
	v_mov_b32_e32 v83, v79
.LBB119_82:                             ;   in Loop: Header=BB119_2 Depth=1
	s_or_b64 exec, exec, s[22:23]
	v_add_u32_e32 v86, 1, v82
	v_add_u32_e32 v85, 1, v81
	v_cndmask_b32_e64 v86, v86, v82, s[20:21]
	v_cndmask_b32_e64 v85, v81, v85, s[20:21]
	v_cmp_ge_i32_e64 s[24:25], v86, v19
	s_waitcnt lgkmcnt(0)
	v_cmp_lt_u16_sdwa s[0:1], v84, v83 src0_sel:BYTE_0 src1_sel:BYTE_0
	v_cmp_lt_i32_e64 s[22:23], v85, v20
	s_or_b64 s[0:1], s[24:25], s[0:1]
	s_and_b64 s[22:23], s[22:23], s[0:1]
	s_xor_b64 s[0:1], s[22:23], -1
                                        ; implicit-def: $vgpr87
	s_and_saveexec_b64 s[24:25], s[0:1]
	s_xor_b64 s[24:25], exec, s[24:25]
	s_cbranch_execz .LBB119_84
; %bb.83:                               ;   in Loop: Header=BB119_2 Depth=1
	ds_read_u8 v87, v86 offset:1
.LBB119_84:                             ;   in Loop: Header=BB119_2 Depth=1
	s_or_saveexec_b64 s[24:25], s[24:25]
	v_mov_b32_e32 v88, v84
	s_xor_b64 exec, exec, s[24:25]
	s_cbranch_execz .LBB119_86
; %bb.85:                               ;   in Loop: Header=BB119_2 Depth=1
	ds_read_u8 v88, v85 offset:1
	s_waitcnt lgkmcnt(1)
	v_mov_b32_e32 v87, v83
.LBB119_86:                             ;   in Loop: Header=BB119_2 Depth=1
	s_or_b64 exec, exec, s[24:25]
	v_add_u32_e32 v90, 1, v86
	v_add_u32_e32 v89, 1, v85
	v_cndmask_b32_e64 v90, v90, v86, s[22:23]
	v_cndmask_b32_e64 v89, v85, v89, s[22:23]
	v_cmp_ge_i32_e64 s[26:27], v90, v19
	s_waitcnt lgkmcnt(0)
	v_cmp_lt_u16_sdwa s[0:1], v88, v87 src0_sel:BYTE_0 src1_sel:BYTE_0
	v_cmp_lt_i32_e64 s[24:25], v89, v20
	s_or_b64 s[0:1], s[26:27], s[0:1]
	s_and_b64 s[24:25], s[24:25], s[0:1]
	s_xor_b64 s[0:1], s[24:25], -1
                                        ; implicit-def: $vgpr91
	s_and_saveexec_b64 s[26:27], s[0:1]
	s_xor_b64 s[26:27], exec, s[26:27]
	s_cbranch_execz .LBB119_88
; %bb.87:                               ;   in Loop: Header=BB119_2 Depth=1
	ds_read_u8 v91, v90 offset:1
.LBB119_88:                             ;   in Loop: Header=BB119_2 Depth=1
	s_or_saveexec_b64 s[26:27], s[26:27]
	v_mov_b32_e32 v92, v88
	s_xor_b64 exec, exec, s[26:27]
	s_cbranch_execz .LBB119_90
; %bb.89:                               ;   in Loop: Header=BB119_2 Depth=1
	ds_read_u8 v92, v89 offset:1
	s_waitcnt lgkmcnt(1)
	v_mov_b32_e32 v91, v87
.LBB119_90:                             ;   in Loop: Header=BB119_2 Depth=1
	s_or_b64 exec, exec, s[26:27]
	v_add_u32_e32 v94, 1, v90
	v_add_u32_e32 v93, 1, v89
	v_cndmask_b32_e64 v94, v94, v90, s[24:25]
	v_cndmask_b32_e64 v93, v89, v93, s[24:25]
	v_cmp_ge_i32_e64 s[28:29], v94, v19
	s_waitcnt lgkmcnt(0)
	v_cmp_lt_u16_sdwa s[0:1], v92, v91 src0_sel:BYTE_0 src1_sel:BYTE_0
	v_cmp_lt_i32_e64 s[26:27], v93, v20
	s_or_b64 s[0:1], s[28:29], s[0:1]
	s_and_b64 s[26:27], s[26:27], s[0:1]
	s_xor_b64 s[0:1], s[26:27], -1
                                        ; implicit-def: $vgpr95
	s_and_saveexec_b64 s[28:29], s[0:1]
	s_xor_b64 s[28:29], exec, s[28:29]
	s_cbranch_execz .LBB119_92
; %bb.91:                               ;   in Loop: Header=BB119_2 Depth=1
	ds_read_u8 v95, v94 offset:1
.LBB119_92:                             ;   in Loop: Header=BB119_2 Depth=1
	s_or_saveexec_b64 s[28:29], s[28:29]
	v_mov_b32_e32 v96, v92
	s_xor_b64 exec, exec, s[28:29]
	s_cbranch_execz .LBB119_94
; %bb.93:                               ;   in Loop: Header=BB119_2 Depth=1
	ds_read_u8 v96, v93 offset:1
	s_waitcnt lgkmcnt(1)
	v_mov_b32_e32 v95, v91
.LBB119_94:                             ;   in Loop: Header=BB119_2 Depth=1
	s_or_b64 exec, exec, s[28:29]
	v_add_u32_e32 v99, 1, v94
	v_add_u32_e32 v97, 1, v93
	v_cndmask_b32_e64 v99, v99, v94, s[26:27]
	v_cndmask_b32_e64 v98, v93, v97, s[26:27]
	v_cmp_ge_i32_e64 s[30:31], v99, v19
	s_waitcnt lgkmcnt(0)
	v_cmp_lt_u16_sdwa s[0:1], v96, v95 src0_sel:BYTE_0 src1_sel:BYTE_0
	v_cmp_lt_i32_e64 s[28:29], v98, v20
	s_or_b64 s[0:1], s[30:31], s[0:1]
	s_and_b64 s[28:29], s[28:29], s[0:1]
	s_xor_b64 s[0:1], s[28:29], -1
                                        ; implicit-def: $vgpr97
	s_and_saveexec_b64 s[30:31], s[0:1]
	s_xor_b64 s[30:31], exec, s[30:31]
	s_cbranch_execz .LBB119_96
; %bb.95:                               ;   in Loop: Header=BB119_2 Depth=1
	ds_read_u8 v97, v99 offset:1
.LBB119_96:                             ;   in Loop: Header=BB119_2 Depth=1
	s_or_saveexec_b64 s[30:31], s[30:31]
	v_mov_b32_e32 v100, v96
	s_xor_b64 exec, exec, s[30:31]
	s_cbranch_execz .LBB119_98
; %bb.97:                               ;   in Loop: Header=BB119_2 Depth=1
	ds_read_u8 v100, v98 offset:1
	s_waitcnt lgkmcnt(1)
	v_mov_b32_e32 v97, v95
.LBB119_98:                             ;   in Loop: Header=BB119_2 Depth=1
	s_or_b64 exec, exec, s[30:31]
	v_add_u32_e32 v101, 1, v99
	v_cndmask_b32_e64 v95, v95, v96, s[28:29]
	v_add_u32_e32 v96, 1, v98
	v_cndmask_b32_e64 v101, v101, v99, s[28:29]
	v_cndmask_b32_e64 v96, v98, v96, s[28:29]
	;; [unrolled: 1-line block ×4, first 2 shown]
	v_cmp_ge_i32_e64 s[18:19], v101, v19
	s_waitcnt lgkmcnt(0)
	v_cmp_lt_u16_sdwa s[0:1], v100, v97 src0_sel:BYTE_0 src1_sel:BYTE_0
	v_lshlrev_b16_e32 v65, 8, v65
	v_cndmask_b32_e64 v73, v73, v74, s[16:17]
	v_cndmask_b32_e64 v71, v71, v72, s[16:17]
	v_cmp_lt_i32_e64 s[16:17], v96, v20
	s_or_b64 s[0:1], s[18:19], s[0:1]
	v_lshlrev_b16_e32 v70, 8, v70
	v_lshlrev_b16_e32 v67, 8, v67
	v_or_b32_sdwa v63, v63, v65 dst_sel:DWORD dst_unused:UNUSED_PAD src0_sel:BYTE_0 src1_sel:DWORD
	v_lshlrev_b16_e32 v65, 8, v66
	s_and_b64 s[16:17], s[16:17], s[0:1]
	v_or_b32_sdwa v68, v68, v70 dst_sel:DWORD dst_unused:UNUSED_PAD src0_sel:BYTE_0 src1_sel:DWORD
	v_or_b32_sdwa v67, v69, v67 dst_sel:WORD_1 dst_unused:UNUSED_PAD src0_sel:BYTE_0 src1_sel:DWORD
	v_or_b32_sdwa v64, v64, v65 dst_sel:WORD_1 dst_unused:UNUSED_PAD src0_sel:BYTE_0 src1_sel:DWORD
	v_cndmask_b32_e64 v72, v101, v96, s[16:17]
	v_or_b32_sdwa v67, v68, v67 dst_sel:DWORD dst_unused:UNUSED_PAD src0_sel:WORD_0 src1_sel:DWORD
	v_or_b32_sdwa v66, v63, v64 dst_sel:DWORD dst_unused:UNUSED_PAD src0_sel:WORD_0 src1_sel:DWORD
	v_cndmask_b32_e64 v98, v99, v98, s[28:29]
	v_cndmask_b32_e64 v91, v91, v92, s[26:27]
	;; [unrolled: 1-line block ×9, first 2 shown]
	s_barrier
	ds_write_b64 v2, v[66:67]
	s_waitcnt lgkmcnt(0)
	s_barrier
	ds_read_u8 v67, v72
	ds_read_u8 v63, v71
	;; [unrolled: 1-line block ×8, first 2 shown]
	v_lshlrev_b16_e32 v71, 8, v75
	v_lshlrev_b16_e32 v72, 8, v83
	v_cndmask_b32_e64 v74, v97, v100, s[16:17]
	v_or_b32_sdwa v71, v73, v71 dst_sel:DWORD dst_unused:UNUSED_PAD src0_sel:BYTE_0 src1_sel:DWORD
	v_or_b32_sdwa v72, v79, v72 dst_sel:WORD_1 dst_unused:UNUSED_PAD src0_sel:BYTE_0 src1_sel:DWORD
	v_lshlrev_b16_e32 v73, 8, v74
	v_or_b32_sdwa v72, v71, v72 dst_sel:DWORD dst_unused:UNUSED_PAD src0_sel:WORD_0 src1_sel:DWORD
	v_lshlrev_b16_e32 v71, 8, v91
	v_or_b32_sdwa v71, v87, v71 dst_sel:DWORD dst_unused:UNUSED_PAD src0_sel:BYTE_0 src1_sel:DWORD
	v_or_b32_sdwa v73, v95, v73 dst_sel:WORD_1 dst_unused:UNUSED_PAD src0_sel:BYTE_0 src1_sel:DWORD
	s_waitcnt lgkmcnt(0)
	v_or_b32_sdwa v73, v71, v73 dst_sel:DWORD dst_unused:UNUSED_PAD src0_sel:WORD_0 src1_sel:DWORD
	s_barrier
	ds_write_b64 v2, v[72:73]
	v_mov_b32_e32 v72, v37
	s_waitcnt lgkmcnt(0)
	s_barrier
	s_and_saveexec_b64 s[18:19], s[4:5]
	s_cbranch_execz .LBB119_102
; %bb.99:                               ;   in Loop: Header=BB119_2 Depth=1
	s_mov_b64 s[20:21], 0
	v_mov_b32_e32 v72, v37
	v_mov_b32_e32 v71, v32
.LBB119_100:                            ;   Parent Loop BB119_2 Depth=1
                                        ; =>  This Inner Loop Header: Depth=2
	v_sub_u32_e32 v73, v71, v72
	v_lshrrev_b32_e32 v74, 31, v73
	v_add_u32_e32 v73, v73, v74
	v_ashrrev_i32_e32 v73, 1, v73
	v_add_u32_e32 v73, v73, v72
	v_not_b32_e32 v75, v73
	v_add_u32_e32 v74, v9, v73
	v_add3_u32 v75, v10, v75, v21
	ds_read_u8 v74, v74
	ds_read_u8 v75, v75
	v_add_u32_e32 v76, 1, v73
	s_waitcnt lgkmcnt(0)
	v_cmp_lt_u16_e64 s[16:17], v75, v74
	s_nop 1
	v_cndmask_b32_e64 v71, v71, v73, s[16:17]
	v_cndmask_b32_e64 v72, v76, v72, s[16:17]
	v_cmp_ge_i32_e64 s[16:17], v72, v71
	s_or_b64 s[20:21], s[16:17], s[20:21]
	s_andn2_b64 exec, exec, s[20:21]
	s_cbranch_execnz .LBB119_100
; %bb.101:                              ;   in Loop: Header=BB119_2 Depth=1
	s_or_b64 exec, exec, s[20:21]
.LBB119_102:                            ;   in Loop: Header=BB119_2 Depth=1
	s_or_b64 exec, exec, s[18:19]
	v_add_u32_e32 v71, v72, v9
	v_sub_u32_e32 v72, v57, v72
	ds_read_u8 v73, v71
	ds_read_u8 v74, v72
	v_cmp_le_i32_e64 s[18:19], v21, v71
	v_cmp_gt_i32_e64 s[16:17], v22, v72
                                        ; implicit-def: $vgpr75
                                        ; implicit-def: $vgpr76
	s_waitcnt lgkmcnt(0)
	v_cmp_lt_u16_sdwa s[0:1], v74, v73 src0_sel:BYTE_0 src1_sel:BYTE_0
	s_or_b64 s[0:1], s[18:19], s[0:1]
	s_and_b64 s[16:17], s[16:17], s[0:1]
	s_xor_b64 s[0:1], s[16:17], -1
	s_and_saveexec_b64 s[18:19], s[0:1]
	s_xor_b64 s[18:19], exec, s[18:19]
	s_cbranch_execz .LBB119_104
; %bb.103:                              ;   in Loop: Header=BB119_2 Depth=1
	ds_read_u8 v76, v71 offset:1
	v_mov_b32_e32 v75, v74
.LBB119_104:                            ;   in Loop: Header=BB119_2 Depth=1
	s_andn2_saveexec_b64 s[18:19], s[18:19]
	s_cbranch_execz .LBB119_106
; %bb.105:                              ;   in Loop: Header=BB119_2 Depth=1
	ds_read_u8 v75, v72 offset:1
	s_waitcnt lgkmcnt(1)
	v_mov_b32_e32 v76, v73
.LBB119_106:                            ;   in Loop: Header=BB119_2 Depth=1
	s_or_b64 exec, exec, s[18:19]
	v_add_u32_e32 v78, 1, v71
	v_add_u32_e32 v77, 1, v72
	v_cndmask_b32_e64 v78, v78, v71, s[16:17]
	v_cndmask_b32_e64 v77, v72, v77, s[16:17]
	v_cmp_ge_i32_e64 s[20:21], v78, v21
	s_waitcnt lgkmcnt(0)
	v_cmp_lt_u16_sdwa s[0:1], v75, v76 src0_sel:BYTE_0 src1_sel:BYTE_0
	v_cmp_lt_i32_e64 s[18:19], v77, v22
	s_or_b64 s[0:1], s[20:21], s[0:1]
	s_and_b64 s[18:19], s[18:19], s[0:1]
	s_xor_b64 s[0:1], s[18:19], -1
                                        ; implicit-def: $vgpr79
	s_and_saveexec_b64 s[20:21], s[0:1]
	s_xor_b64 s[20:21], exec, s[20:21]
	s_cbranch_execz .LBB119_108
; %bb.107:                              ;   in Loop: Header=BB119_2 Depth=1
	ds_read_u8 v79, v78 offset:1
.LBB119_108:                            ;   in Loop: Header=BB119_2 Depth=1
	s_or_saveexec_b64 s[20:21], s[20:21]
	v_mov_b32_e32 v80, v75
	s_xor_b64 exec, exec, s[20:21]
	s_cbranch_execz .LBB119_110
; %bb.109:                              ;   in Loop: Header=BB119_2 Depth=1
	ds_read_u8 v80, v77 offset:1
	s_waitcnt lgkmcnt(1)
	v_mov_b32_e32 v79, v76
.LBB119_110:                            ;   in Loop: Header=BB119_2 Depth=1
	s_or_b64 exec, exec, s[20:21]
	v_add_u32_e32 v82, 1, v78
	v_add_u32_e32 v81, 1, v77
	v_cndmask_b32_e64 v82, v82, v78, s[18:19]
	v_cndmask_b32_e64 v81, v77, v81, s[18:19]
	v_cmp_ge_i32_e64 s[22:23], v82, v21
	s_waitcnt lgkmcnt(0)
	v_cmp_lt_u16_sdwa s[0:1], v80, v79 src0_sel:BYTE_0 src1_sel:BYTE_0
	v_cmp_lt_i32_e64 s[20:21], v81, v22
	s_or_b64 s[0:1], s[22:23], s[0:1]
	s_and_b64 s[20:21], s[20:21], s[0:1]
	s_xor_b64 s[0:1], s[20:21], -1
                                        ; implicit-def: $vgpr83
	s_and_saveexec_b64 s[22:23], s[0:1]
	s_xor_b64 s[22:23], exec, s[22:23]
	s_cbranch_execz .LBB119_112
; %bb.111:                              ;   in Loop: Header=BB119_2 Depth=1
	ds_read_u8 v83, v82 offset:1
.LBB119_112:                            ;   in Loop: Header=BB119_2 Depth=1
	s_or_saveexec_b64 s[22:23], s[22:23]
	v_mov_b32_e32 v84, v80
	s_xor_b64 exec, exec, s[22:23]
	s_cbranch_execz .LBB119_114
; %bb.113:                              ;   in Loop: Header=BB119_2 Depth=1
	ds_read_u8 v84, v81 offset:1
	s_waitcnt lgkmcnt(1)
	v_mov_b32_e32 v83, v79
.LBB119_114:                            ;   in Loop: Header=BB119_2 Depth=1
	s_or_b64 exec, exec, s[22:23]
	v_add_u32_e32 v86, 1, v82
	v_add_u32_e32 v85, 1, v81
	v_cndmask_b32_e64 v86, v86, v82, s[20:21]
	v_cndmask_b32_e64 v85, v81, v85, s[20:21]
	v_cmp_ge_i32_e64 s[24:25], v86, v21
	s_waitcnt lgkmcnt(0)
	v_cmp_lt_u16_sdwa s[0:1], v84, v83 src0_sel:BYTE_0 src1_sel:BYTE_0
	v_cmp_lt_i32_e64 s[22:23], v85, v22
	s_or_b64 s[0:1], s[24:25], s[0:1]
	s_and_b64 s[22:23], s[22:23], s[0:1]
	s_xor_b64 s[0:1], s[22:23], -1
                                        ; implicit-def: $vgpr87
	s_and_saveexec_b64 s[24:25], s[0:1]
	s_xor_b64 s[24:25], exec, s[24:25]
	s_cbranch_execz .LBB119_116
; %bb.115:                              ;   in Loop: Header=BB119_2 Depth=1
	ds_read_u8 v87, v86 offset:1
.LBB119_116:                            ;   in Loop: Header=BB119_2 Depth=1
	s_or_saveexec_b64 s[24:25], s[24:25]
	v_mov_b32_e32 v88, v84
	s_xor_b64 exec, exec, s[24:25]
	s_cbranch_execz .LBB119_118
; %bb.117:                              ;   in Loop: Header=BB119_2 Depth=1
	ds_read_u8 v88, v85 offset:1
	s_waitcnt lgkmcnt(1)
	v_mov_b32_e32 v87, v83
.LBB119_118:                            ;   in Loop: Header=BB119_2 Depth=1
	s_or_b64 exec, exec, s[24:25]
	v_add_u32_e32 v90, 1, v86
	v_add_u32_e32 v89, 1, v85
	v_cndmask_b32_e64 v90, v90, v86, s[22:23]
	v_cndmask_b32_e64 v89, v85, v89, s[22:23]
	v_cmp_ge_i32_e64 s[26:27], v90, v21
	s_waitcnt lgkmcnt(0)
	v_cmp_lt_u16_sdwa s[0:1], v88, v87 src0_sel:BYTE_0 src1_sel:BYTE_0
	v_cmp_lt_i32_e64 s[24:25], v89, v22
	s_or_b64 s[0:1], s[26:27], s[0:1]
	s_and_b64 s[24:25], s[24:25], s[0:1]
	s_xor_b64 s[0:1], s[24:25], -1
                                        ; implicit-def: $vgpr91
	s_and_saveexec_b64 s[26:27], s[0:1]
	s_xor_b64 s[26:27], exec, s[26:27]
	s_cbranch_execz .LBB119_120
; %bb.119:                              ;   in Loop: Header=BB119_2 Depth=1
	ds_read_u8 v91, v90 offset:1
.LBB119_120:                            ;   in Loop: Header=BB119_2 Depth=1
	s_or_saveexec_b64 s[26:27], s[26:27]
	v_mov_b32_e32 v92, v88
	s_xor_b64 exec, exec, s[26:27]
	s_cbranch_execz .LBB119_122
; %bb.121:                              ;   in Loop: Header=BB119_2 Depth=1
	ds_read_u8 v92, v89 offset:1
	s_waitcnt lgkmcnt(1)
	v_mov_b32_e32 v91, v87
.LBB119_122:                            ;   in Loop: Header=BB119_2 Depth=1
	s_or_b64 exec, exec, s[26:27]
	v_add_u32_e32 v94, 1, v90
	v_add_u32_e32 v93, 1, v89
	v_cndmask_b32_e64 v94, v94, v90, s[24:25]
	v_cndmask_b32_e64 v93, v89, v93, s[24:25]
	v_cmp_ge_i32_e64 s[28:29], v94, v21
	s_waitcnt lgkmcnt(0)
	v_cmp_lt_u16_sdwa s[0:1], v92, v91 src0_sel:BYTE_0 src1_sel:BYTE_0
	v_cmp_lt_i32_e64 s[26:27], v93, v22
	s_or_b64 s[0:1], s[28:29], s[0:1]
	s_and_b64 s[26:27], s[26:27], s[0:1]
	s_xor_b64 s[0:1], s[26:27], -1
                                        ; implicit-def: $vgpr95
	s_and_saveexec_b64 s[28:29], s[0:1]
	s_xor_b64 s[28:29], exec, s[28:29]
	s_cbranch_execz .LBB119_124
; %bb.123:                              ;   in Loop: Header=BB119_2 Depth=1
	ds_read_u8 v95, v94 offset:1
.LBB119_124:                            ;   in Loop: Header=BB119_2 Depth=1
	s_or_saveexec_b64 s[28:29], s[28:29]
	v_mov_b32_e32 v96, v92
	s_xor_b64 exec, exec, s[28:29]
	s_cbranch_execz .LBB119_126
; %bb.125:                              ;   in Loop: Header=BB119_2 Depth=1
	ds_read_u8 v96, v93 offset:1
	s_waitcnt lgkmcnt(1)
	v_mov_b32_e32 v95, v91
.LBB119_126:                            ;   in Loop: Header=BB119_2 Depth=1
	s_or_b64 exec, exec, s[28:29]
	v_add_u32_e32 v99, 1, v94
	v_add_u32_e32 v97, 1, v93
	v_cndmask_b32_e64 v99, v99, v94, s[26:27]
	v_cndmask_b32_e64 v98, v93, v97, s[26:27]
	v_cmp_ge_i32_e64 s[30:31], v99, v21
	s_waitcnt lgkmcnt(0)
	v_cmp_lt_u16_sdwa s[0:1], v96, v95 src0_sel:BYTE_0 src1_sel:BYTE_0
	v_cmp_lt_i32_e64 s[28:29], v98, v22
	s_or_b64 s[0:1], s[30:31], s[0:1]
	s_and_b64 s[28:29], s[28:29], s[0:1]
	s_xor_b64 s[0:1], s[28:29], -1
                                        ; implicit-def: $vgpr97
	s_and_saveexec_b64 s[30:31], s[0:1]
	s_xor_b64 s[30:31], exec, s[30:31]
	s_cbranch_execz .LBB119_128
; %bb.127:                              ;   in Loop: Header=BB119_2 Depth=1
	ds_read_u8 v97, v99 offset:1
.LBB119_128:                            ;   in Loop: Header=BB119_2 Depth=1
	s_or_saveexec_b64 s[30:31], s[30:31]
	v_mov_b32_e32 v100, v96
	s_xor_b64 exec, exec, s[30:31]
	s_cbranch_execz .LBB119_130
; %bb.129:                              ;   in Loop: Header=BB119_2 Depth=1
	ds_read_u8 v100, v98 offset:1
	s_waitcnt lgkmcnt(1)
	v_mov_b32_e32 v97, v95
.LBB119_130:                            ;   in Loop: Header=BB119_2 Depth=1
	s_or_b64 exec, exec, s[30:31]
	v_add_u32_e32 v101, 1, v99
	v_cndmask_b32_e64 v95, v95, v96, s[28:29]
	v_add_u32_e32 v96, 1, v98
	v_cndmask_b32_e64 v101, v101, v99, s[28:29]
	v_cndmask_b32_e64 v96, v98, v96, s[28:29]
	;; [unrolled: 1-line block ×4, first 2 shown]
	v_cmp_ge_i32_e64 s[18:19], v101, v21
	s_waitcnt lgkmcnt(0)
	v_cmp_lt_u16_sdwa s[0:1], v100, v97 src0_sel:BYTE_0 src1_sel:BYTE_0
	v_lshlrev_b16_e32 v65, 8, v65
	v_cndmask_b32_e64 v73, v73, v74, s[16:17]
	v_cndmask_b32_e64 v71, v71, v72, s[16:17]
	v_cmp_lt_i32_e64 s[16:17], v96, v22
	s_or_b64 s[0:1], s[18:19], s[0:1]
	v_lshlrev_b16_e32 v70, 8, v70
	v_lshlrev_b16_e32 v67, 8, v67
	v_or_b32_sdwa v63, v63, v65 dst_sel:DWORD dst_unused:UNUSED_PAD src0_sel:BYTE_0 src1_sel:DWORD
	v_lshlrev_b16_e32 v65, 8, v66
	s_and_b64 s[16:17], s[16:17], s[0:1]
	v_or_b32_sdwa v68, v68, v70 dst_sel:DWORD dst_unused:UNUSED_PAD src0_sel:BYTE_0 src1_sel:DWORD
	v_or_b32_sdwa v67, v69, v67 dst_sel:WORD_1 dst_unused:UNUSED_PAD src0_sel:BYTE_0 src1_sel:DWORD
	v_or_b32_sdwa v64, v64, v65 dst_sel:WORD_1 dst_unused:UNUSED_PAD src0_sel:BYTE_0 src1_sel:DWORD
	v_cndmask_b32_e64 v72, v101, v96, s[16:17]
	v_or_b32_sdwa v67, v68, v67 dst_sel:DWORD dst_unused:UNUSED_PAD src0_sel:WORD_0 src1_sel:DWORD
	v_or_b32_sdwa v66, v63, v64 dst_sel:DWORD dst_unused:UNUSED_PAD src0_sel:WORD_0 src1_sel:DWORD
	v_cndmask_b32_e64 v98, v99, v98, s[28:29]
	v_cndmask_b32_e64 v91, v91, v92, s[26:27]
	;; [unrolled: 1-line block ×9, first 2 shown]
	s_barrier
	ds_write_b64 v2, v[66:67]
	s_waitcnt lgkmcnt(0)
	s_barrier
	ds_read_u8 v67, v72
	ds_read_u8 v63, v71
	;; [unrolled: 1-line block ×8, first 2 shown]
	v_lshlrev_b16_e32 v71, 8, v75
	v_lshlrev_b16_e32 v72, 8, v83
	v_cndmask_b32_e64 v74, v97, v100, s[16:17]
	v_or_b32_sdwa v71, v73, v71 dst_sel:DWORD dst_unused:UNUSED_PAD src0_sel:BYTE_0 src1_sel:DWORD
	v_or_b32_sdwa v72, v79, v72 dst_sel:WORD_1 dst_unused:UNUSED_PAD src0_sel:BYTE_0 src1_sel:DWORD
	v_lshlrev_b16_e32 v73, 8, v74
	v_or_b32_sdwa v72, v71, v72 dst_sel:DWORD dst_unused:UNUSED_PAD src0_sel:WORD_0 src1_sel:DWORD
	v_lshlrev_b16_e32 v71, 8, v91
	v_or_b32_sdwa v71, v87, v71 dst_sel:DWORD dst_unused:UNUSED_PAD src0_sel:BYTE_0 src1_sel:DWORD
	v_or_b32_sdwa v73, v95, v73 dst_sel:WORD_1 dst_unused:UNUSED_PAD src0_sel:BYTE_0 src1_sel:DWORD
	s_waitcnt lgkmcnt(0)
	v_or_b32_sdwa v73, v71, v73 dst_sel:DWORD dst_unused:UNUSED_PAD src0_sel:WORD_0 src1_sel:DWORD
	s_barrier
	ds_write_b64 v2, v[72:73]
	v_mov_b32_e32 v72, v38
	s_waitcnt lgkmcnt(0)
	s_barrier
	s_and_saveexec_b64 s[18:19], s[6:7]
	s_cbranch_execz .LBB119_134
; %bb.131:                              ;   in Loop: Header=BB119_2 Depth=1
	s_mov_b64 s[20:21], 0
	v_mov_b32_e32 v72, v38
	v_mov_b32_e32 v71, v33
.LBB119_132:                            ;   Parent Loop BB119_2 Depth=1
                                        ; =>  This Inner Loop Header: Depth=2
	v_sub_u32_e32 v73, v71, v72
	v_lshrrev_b32_e32 v74, 31, v73
	v_add_u32_e32 v73, v73, v74
	v_ashrrev_i32_e32 v73, 1, v73
	v_add_u32_e32 v73, v73, v72
	v_not_b32_e32 v75, v73
	v_add_u32_e32 v74, v11, v73
	v_add3_u32 v75, v12, v75, v23
	ds_read_u8 v74, v74
	ds_read_u8 v75, v75
	v_add_u32_e32 v76, 1, v73
	s_waitcnt lgkmcnt(0)
	v_cmp_lt_u16_e64 s[16:17], v75, v74
	s_nop 1
	v_cndmask_b32_e64 v71, v71, v73, s[16:17]
	v_cndmask_b32_e64 v72, v76, v72, s[16:17]
	v_cmp_ge_i32_e64 s[16:17], v72, v71
	s_or_b64 s[20:21], s[16:17], s[20:21]
	s_andn2_b64 exec, exec, s[20:21]
	s_cbranch_execnz .LBB119_132
; %bb.133:                              ;   in Loop: Header=BB119_2 Depth=1
	s_or_b64 exec, exec, s[20:21]
.LBB119_134:                            ;   in Loop: Header=BB119_2 Depth=1
	s_or_b64 exec, exec, s[18:19]
	v_add_u32_e32 v71, v72, v11
	v_sub_u32_e32 v72, v58, v72
	ds_read_u8 v73, v71
	ds_read_u8 v74, v72
	v_cmp_le_i32_e64 s[18:19], v23, v71
	v_cmp_gt_i32_e64 s[16:17], v24, v72
                                        ; implicit-def: $vgpr75
                                        ; implicit-def: $vgpr76
	s_waitcnt lgkmcnt(0)
	v_cmp_lt_u16_sdwa s[0:1], v74, v73 src0_sel:BYTE_0 src1_sel:BYTE_0
	s_or_b64 s[0:1], s[18:19], s[0:1]
	s_and_b64 s[16:17], s[16:17], s[0:1]
	s_xor_b64 s[0:1], s[16:17], -1
	s_and_saveexec_b64 s[18:19], s[0:1]
	s_xor_b64 s[18:19], exec, s[18:19]
	s_cbranch_execz .LBB119_136
; %bb.135:                              ;   in Loop: Header=BB119_2 Depth=1
	ds_read_u8 v76, v71 offset:1
	v_mov_b32_e32 v75, v74
.LBB119_136:                            ;   in Loop: Header=BB119_2 Depth=1
	s_andn2_saveexec_b64 s[18:19], s[18:19]
	s_cbranch_execz .LBB119_138
; %bb.137:                              ;   in Loop: Header=BB119_2 Depth=1
	ds_read_u8 v75, v72 offset:1
	s_waitcnt lgkmcnt(1)
	v_mov_b32_e32 v76, v73
.LBB119_138:                            ;   in Loop: Header=BB119_2 Depth=1
	s_or_b64 exec, exec, s[18:19]
	v_add_u32_e32 v78, 1, v71
	v_add_u32_e32 v77, 1, v72
	v_cndmask_b32_e64 v78, v78, v71, s[16:17]
	v_cndmask_b32_e64 v77, v72, v77, s[16:17]
	v_cmp_ge_i32_e64 s[20:21], v78, v23
	s_waitcnt lgkmcnt(0)
	v_cmp_lt_u16_sdwa s[0:1], v75, v76 src0_sel:BYTE_0 src1_sel:BYTE_0
	v_cmp_lt_i32_e64 s[18:19], v77, v24
	s_or_b64 s[0:1], s[20:21], s[0:1]
	s_and_b64 s[18:19], s[18:19], s[0:1]
	s_xor_b64 s[0:1], s[18:19], -1
                                        ; implicit-def: $vgpr79
	s_and_saveexec_b64 s[20:21], s[0:1]
	s_xor_b64 s[20:21], exec, s[20:21]
	s_cbranch_execz .LBB119_140
; %bb.139:                              ;   in Loop: Header=BB119_2 Depth=1
	ds_read_u8 v79, v78 offset:1
.LBB119_140:                            ;   in Loop: Header=BB119_2 Depth=1
	s_or_saveexec_b64 s[20:21], s[20:21]
	v_mov_b32_e32 v80, v75
	s_xor_b64 exec, exec, s[20:21]
	s_cbranch_execz .LBB119_142
; %bb.141:                              ;   in Loop: Header=BB119_2 Depth=1
	ds_read_u8 v80, v77 offset:1
	s_waitcnt lgkmcnt(1)
	v_mov_b32_e32 v79, v76
.LBB119_142:                            ;   in Loop: Header=BB119_2 Depth=1
	s_or_b64 exec, exec, s[20:21]
	v_add_u32_e32 v82, 1, v78
	v_add_u32_e32 v81, 1, v77
	v_cndmask_b32_e64 v82, v82, v78, s[18:19]
	v_cndmask_b32_e64 v81, v77, v81, s[18:19]
	v_cmp_ge_i32_e64 s[22:23], v82, v23
	s_waitcnt lgkmcnt(0)
	v_cmp_lt_u16_sdwa s[0:1], v80, v79 src0_sel:BYTE_0 src1_sel:BYTE_0
	v_cmp_lt_i32_e64 s[20:21], v81, v24
	s_or_b64 s[0:1], s[22:23], s[0:1]
	s_and_b64 s[20:21], s[20:21], s[0:1]
	s_xor_b64 s[0:1], s[20:21], -1
                                        ; implicit-def: $vgpr83
	s_and_saveexec_b64 s[22:23], s[0:1]
	s_xor_b64 s[22:23], exec, s[22:23]
	s_cbranch_execz .LBB119_144
; %bb.143:                              ;   in Loop: Header=BB119_2 Depth=1
	ds_read_u8 v83, v82 offset:1
.LBB119_144:                            ;   in Loop: Header=BB119_2 Depth=1
	s_or_saveexec_b64 s[22:23], s[22:23]
	v_mov_b32_e32 v84, v80
	s_xor_b64 exec, exec, s[22:23]
	s_cbranch_execz .LBB119_146
; %bb.145:                              ;   in Loop: Header=BB119_2 Depth=1
	ds_read_u8 v84, v81 offset:1
	s_waitcnt lgkmcnt(1)
	v_mov_b32_e32 v83, v79
.LBB119_146:                            ;   in Loop: Header=BB119_2 Depth=1
	s_or_b64 exec, exec, s[22:23]
	v_add_u32_e32 v86, 1, v82
	v_add_u32_e32 v85, 1, v81
	v_cndmask_b32_e64 v86, v86, v82, s[20:21]
	v_cndmask_b32_e64 v85, v81, v85, s[20:21]
	v_cmp_ge_i32_e64 s[24:25], v86, v23
	s_waitcnt lgkmcnt(0)
	v_cmp_lt_u16_sdwa s[0:1], v84, v83 src0_sel:BYTE_0 src1_sel:BYTE_0
	v_cmp_lt_i32_e64 s[22:23], v85, v24
	s_or_b64 s[0:1], s[24:25], s[0:1]
	s_and_b64 s[22:23], s[22:23], s[0:1]
	s_xor_b64 s[0:1], s[22:23], -1
                                        ; implicit-def: $vgpr87
	s_and_saveexec_b64 s[24:25], s[0:1]
	s_xor_b64 s[24:25], exec, s[24:25]
	s_cbranch_execz .LBB119_148
; %bb.147:                              ;   in Loop: Header=BB119_2 Depth=1
	ds_read_u8 v87, v86 offset:1
.LBB119_148:                            ;   in Loop: Header=BB119_2 Depth=1
	s_or_saveexec_b64 s[24:25], s[24:25]
	v_mov_b32_e32 v88, v84
	s_xor_b64 exec, exec, s[24:25]
	s_cbranch_execz .LBB119_150
; %bb.149:                              ;   in Loop: Header=BB119_2 Depth=1
	ds_read_u8 v88, v85 offset:1
	s_waitcnt lgkmcnt(1)
	v_mov_b32_e32 v87, v83
.LBB119_150:                            ;   in Loop: Header=BB119_2 Depth=1
	s_or_b64 exec, exec, s[24:25]
	v_add_u32_e32 v90, 1, v86
	v_add_u32_e32 v89, 1, v85
	v_cndmask_b32_e64 v90, v90, v86, s[22:23]
	v_cndmask_b32_e64 v89, v85, v89, s[22:23]
	v_cmp_ge_i32_e64 s[26:27], v90, v23
	s_waitcnt lgkmcnt(0)
	v_cmp_lt_u16_sdwa s[0:1], v88, v87 src0_sel:BYTE_0 src1_sel:BYTE_0
	v_cmp_lt_i32_e64 s[24:25], v89, v24
	s_or_b64 s[0:1], s[26:27], s[0:1]
	s_and_b64 s[24:25], s[24:25], s[0:1]
	s_xor_b64 s[0:1], s[24:25], -1
                                        ; implicit-def: $vgpr91
	s_and_saveexec_b64 s[26:27], s[0:1]
	s_xor_b64 s[26:27], exec, s[26:27]
	s_cbranch_execz .LBB119_152
; %bb.151:                              ;   in Loop: Header=BB119_2 Depth=1
	ds_read_u8 v91, v90 offset:1
.LBB119_152:                            ;   in Loop: Header=BB119_2 Depth=1
	s_or_saveexec_b64 s[26:27], s[26:27]
	v_mov_b32_e32 v92, v88
	s_xor_b64 exec, exec, s[26:27]
	s_cbranch_execz .LBB119_154
; %bb.153:                              ;   in Loop: Header=BB119_2 Depth=1
	ds_read_u8 v92, v89 offset:1
	s_waitcnt lgkmcnt(1)
	v_mov_b32_e32 v91, v87
.LBB119_154:                            ;   in Loop: Header=BB119_2 Depth=1
	s_or_b64 exec, exec, s[26:27]
	v_add_u32_e32 v94, 1, v90
	v_add_u32_e32 v93, 1, v89
	v_cndmask_b32_e64 v94, v94, v90, s[24:25]
	v_cndmask_b32_e64 v93, v89, v93, s[24:25]
	v_cmp_ge_i32_e64 s[28:29], v94, v23
	s_waitcnt lgkmcnt(0)
	v_cmp_lt_u16_sdwa s[0:1], v92, v91 src0_sel:BYTE_0 src1_sel:BYTE_0
	v_cmp_lt_i32_e64 s[26:27], v93, v24
	s_or_b64 s[0:1], s[28:29], s[0:1]
	s_and_b64 s[26:27], s[26:27], s[0:1]
	s_xor_b64 s[0:1], s[26:27], -1
                                        ; implicit-def: $vgpr95
	s_and_saveexec_b64 s[28:29], s[0:1]
	s_xor_b64 s[28:29], exec, s[28:29]
	s_cbranch_execz .LBB119_156
; %bb.155:                              ;   in Loop: Header=BB119_2 Depth=1
	ds_read_u8 v95, v94 offset:1
.LBB119_156:                            ;   in Loop: Header=BB119_2 Depth=1
	s_or_saveexec_b64 s[28:29], s[28:29]
	v_mov_b32_e32 v96, v92
	s_xor_b64 exec, exec, s[28:29]
	s_cbranch_execz .LBB119_158
; %bb.157:                              ;   in Loop: Header=BB119_2 Depth=1
	ds_read_u8 v96, v93 offset:1
	s_waitcnt lgkmcnt(1)
	v_mov_b32_e32 v95, v91
.LBB119_158:                            ;   in Loop: Header=BB119_2 Depth=1
	s_or_b64 exec, exec, s[28:29]
	v_add_u32_e32 v99, 1, v94
	v_add_u32_e32 v97, 1, v93
	v_cndmask_b32_e64 v99, v99, v94, s[26:27]
	v_cndmask_b32_e64 v98, v93, v97, s[26:27]
	v_cmp_ge_i32_e64 s[30:31], v99, v23
	s_waitcnt lgkmcnt(0)
	v_cmp_lt_u16_sdwa s[0:1], v96, v95 src0_sel:BYTE_0 src1_sel:BYTE_0
	v_cmp_lt_i32_e64 s[28:29], v98, v24
	s_or_b64 s[0:1], s[30:31], s[0:1]
	s_and_b64 s[28:29], s[28:29], s[0:1]
	s_xor_b64 s[0:1], s[28:29], -1
                                        ; implicit-def: $vgpr97
	s_and_saveexec_b64 s[30:31], s[0:1]
	s_xor_b64 s[30:31], exec, s[30:31]
	s_cbranch_execz .LBB119_160
; %bb.159:                              ;   in Loop: Header=BB119_2 Depth=1
	ds_read_u8 v97, v99 offset:1
.LBB119_160:                            ;   in Loop: Header=BB119_2 Depth=1
	s_or_saveexec_b64 s[30:31], s[30:31]
	v_mov_b32_e32 v100, v96
	s_xor_b64 exec, exec, s[30:31]
	s_cbranch_execz .LBB119_162
; %bb.161:                              ;   in Loop: Header=BB119_2 Depth=1
	ds_read_u8 v100, v98 offset:1
	s_waitcnt lgkmcnt(1)
	v_mov_b32_e32 v97, v95
.LBB119_162:                            ;   in Loop: Header=BB119_2 Depth=1
	s_or_b64 exec, exec, s[30:31]
	v_add_u32_e32 v101, 1, v99
	v_cndmask_b32_e64 v95, v95, v96, s[28:29]
	v_add_u32_e32 v96, 1, v98
	v_cndmask_b32_e64 v101, v101, v99, s[28:29]
	v_cndmask_b32_e64 v96, v98, v96, s[28:29]
	;; [unrolled: 1-line block ×4, first 2 shown]
	v_cmp_ge_i32_e64 s[18:19], v101, v23
	s_waitcnt lgkmcnt(0)
	v_cmp_lt_u16_sdwa s[0:1], v100, v97 src0_sel:BYTE_0 src1_sel:BYTE_0
	v_lshlrev_b16_e32 v65, 8, v65
	v_cndmask_b32_e64 v73, v73, v74, s[16:17]
	v_cndmask_b32_e64 v71, v71, v72, s[16:17]
	v_cmp_lt_i32_e64 s[16:17], v96, v24
	s_or_b64 s[0:1], s[18:19], s[0:1]
	v_lshlrev_b16_e32 v70, 8, v70
	v_lshlrev_b16_e32 v67, 8, v67
	v_or_b32_sdwa v63, v63, v65 dst_sel:DWORD dst_unused:UNUSED_PAD src0_sel:BYTE_0 src1_sel:DWORD
	v_lshlrev_b16_e32 v65, 8, v66
	s_and_b64 s[16:17], s[16:17], s[0:1]
	v_or_b32_sdwa v68, v68, v70 dst_sel:DWORD dst_unused:UNUSED_PAD src0_sel:BYTE_0 src1_sel:DWORD
	v_or_b32_sdwa v67, v69, v67 dst_sel:WORD_1 dst_unused:UNUSED_PAD src0_sel:BYTE_0 src1_sel:DWORD
	v_or_b32_sdwa v64, v64, v65 dst_sel:WORD_1 dst_unused:UNUSED_PAD src0_sel:BYTE_0 src1_sel:DWORD
	v_cndmask_b32_e64 v72, v101, v96, s[16:17]
	v_or_b32_sdwa v67, v68, v67 dst_sel:DWORD dst_unused:UNUSED_PAD src0_sel:WORD_0 src1_sel:DWORD
	v_or_b32_sdwa v66, v63, v64 dst_sel:DWORD dst_unused:UNUSED_PAD src0_sel:WORD_0 src1_sel:DWORD
	v_cndmask_b32_e64 v98, v99, v98, s[28:29]
	v_cndmask_b32_e64 v91, v91, v92, s[26:27]
	;; [unrolled: 1-line block ×9, first 2 shown]
	s_barrier
	ds_write_b64 v2, v[66:67]
	s_waitcnt lgkmcnt(0)
	s_barrier
	ds_read_u8 v67, v72
	ds_read_u8 v63, v71
	;; [unrolled: 1-line block ×8, first 2 shown]
	v_lshlrev_b16_e32 v71, 8, v75
	v_lshlrev_b16_e32 v72, 8, v83
	v_cndmask_b32_e64 v74, v97, v100, s[16:17]
	v_or_b32_sdwa v71, v73, v71 dst_sel:DWORD dst_unused:UNUSED_PAD src0_sel:BYTE_0 src1_sel:DWORD
	v_or_b32_sdwa v72, v79, v72 dst_sel:WORD_1 dst_unused:UNUSED_PAD src0_sel:BYTE_0 src1_sel:DWORD
	v_lshlrev_b16_e32 v73, 8, v74
	v_or_b32_sdwa v72, v71, v72 dst_sel:DWORD dst_unused:UNUSED_PAD src0_sel:WORD_0 src1_sel:DWORD
	v_lshlrev_b16_e32 v71, 8, v91
	v_or_b32_sdwa v71, v87, v71 dst_sel:DWORD dst_unused:UNUSED_PAD src0_sel:BYTE_0 src1_sel:DWORD
	v_or_b32_sdwa v73, v95, v73 dst_sel:WORD_1 dst_unused:UNUSED_PAD src0_sel:BYTE_0 src1_sel:DWORD
	s_waitcnt lgkmcnt(0)
	v_or_b32_sdwa v73, v71, v73 dst_sel:DWORD dst_unused:UNUSED_PAD src0_sel:WORD_0 src1_sel:DWORD
	s_barrier
	ds_write_b64 v2, v[72:73]
	v_mov_b32_e32 v72, v39
	s_waitcnt lgkmcnt(0)
	s_barrier
	s_and_saveexec_b64 s[18:19], s[8:9]
	s_cbranch_execz .LBB119_166
; %bb.163:                              ;   in Loop: Header=BB119_2 Depth=1
	s_mov_b64 s[20:21], 0
	v_mov_b32_e32 v72, v39
	v_mov_b32_e32 v71, v40
.LBB119_164:                            ;   Parent Loop BB119_2 Depth=1
                                        ; =>  This Inner Loop Header: Depth=2
	v_sub_u32_e32 v73, v71, v72
	v_lshrrev_b32_e32 v74, 31, v73
	v_add_u32_e32 v73, v73, v74
	v_ashrrev_i32_e32 v73, 1, v73
	v_add_u32_e32 v73, v73, v72
	v_not_b32_e32 v75, v73
	v_add_u32_e32 v74, v13, v73
	v_add3_u32 v75, v14, v75, v25
	ds_read_u8 v74, v74
	ds_read_u8 v75, v75
	v_add_u32_e32 v76, 1, v73
	s_waitcnt lgkmcnt(0)
	v_cmp_lt_u16_e64 s[16:17], v75, v74
	s_nop 1
	v_cndmask_b32_e64 v71, v71, v73, s[16:17]
	v_cndmask_b32_e64 v72, v76, v72, s[16:17]
	v_cmp_ge_i32_e64 s[16:17], v72, v71
	s_or_b64 s[20:21], s[16:17], s[20:21]
	s_andn2_b64 exec, exec, s[20:21]
	s_cbranch_execnz .LBB119_164
; %bb.165:                              ;   in Loop: Header=BB119_2 Depth=1
	s_or_b64 exec, exec, s[20:21]
.LBB119_166:                            ;   in Loop: Header=BB119_2 Depth=1
	s_or_b64 exec, exec, s[18:19]
	v_add_u32_e32 v71, v72, v13
	v_sub_u32_e32 v72, v59, v72
	ds_read_u8 v73, v71
	ds_read_u8 v74, v72
	v_cmp_le_i32_e64 s[18:19], v25, v71
	v_cmp_gt_i32_e64 s[16:17], v26, v72
                                        ; implicit-def: $vgpr75
                                        ; implicit-def: $vgpr76
	s_waitcnt lgkmcnt(0)
	v_cmp_lt_u16_sdwa s[0:1], v74, v73 src0_sel:BYTE_0 src1_sel:BYTE_0
	s_or_b64 s[0:1], s[18:19], s[0:1]
	s_and_b64 s[16:17], s[16:17], s[0:1]
	s_xor_b64 s[0:1], s[16:17], -1
	s_and_saveexec_b64 s[18:19], s[0:1]
	s_xor_b64 s[18:19], exec, s[18:19]
	s_cbranch_execz .LBB119_168
; %bb.167:                              ;   in Loop: Header=BB119_2 Depth=1
	ds_read_u8 v76, v71 offset:1
	v_mov_b32_e32 v75, v74
.LBB119_168:                            ;   in Loop: Header=BB119_2 Depth=1
	s_andn2_saveexec_b64 s[18:19], s[18:19]
	s_cbranch_execz .LBB119_170
; %bb.169:                              ;   in Loop: Header=BB119_2 Depth=1
	ds_read_u8 v75, v72 offset:1
	s_waitcnt lgkmcnt(1)
	v_mov_b32_e32 v76, v73
.LBB119_170:                            ;   in Loop: Header=BB119_2 Depth=1
	s_or_b64 exec, exec, s[18:19]
	v_add_u32_e32 v78, 1, v71
	v_add_u32_e32 v77, 1, v72
	v_cndmask_b32_e64 v78, v78, v71, s[16:17]
	v_cndmask_b32_e64 v77, v72, v77, s[16:17]
	v_cmp_ge_i32_e64 s[20:21], v78, v25
	s_waitcnt lgkmcnt(0)
	v_cmp_lt_u16_sdwa s[0:1], v75, v76 src0_sel:BYTE_0 src1_sel:BYTE_0
	v_cmp_lt_i32_e64 s[18:19], v77, v26
	s_or_b64 s[0:1], s[20:21], s[0:1]
	s_and_b64 s[18:19], s[18:19], s[0:1]
	s_xor_b64 s[0:1], s[18:19], -1
                                        ; implicit-def: $vgpr79
	s_and_saveexec_b64 s[20:21], s[0:1]
	s_xor_b64 s[20:21], exec, s[20:21]
	s_cbranch_execz .LBB119_172
; %bb.171:                              ;   in Loop: Header=BB119_2 Depth=1
	ds_read_u8 v79, v78 offset:1
.LBB119_172:                            ;   in Loop: Header=BB119_2 Depth=1
	s_or_saveexec_b64 s[20:21], s[20:21]
	v_mov_b32_e32 v80, v75
	s_xor_b64 exec, exec, s[20:21]
	s_cbranch_execz .LBB119_174
; %bb.173:                              ;   in Loop: Header=BB119_2 Depth=1
	ds_read_u8 v80, v77 offset:1
	s_waitcnt lgkmcnt(1)
	v_mov_b32_e32 v79, v76
.LBB119_174:                            ;   in Loop: Header=BB119_2 Depth=1
	s_or_b64 exec, exec, s[20:21]
	v_add_u32_e32 v82, 1, v78
	v_add_u32_e32 v81, 1, v77
	v_cndmask_b32_e64 v82, v82, v78, s[18:19]
	v_cndmask_b32_e64 v81, v77, v81, s[18:19]
	v_cmp_ge_i32_e64 s[22:23], v82, v25
	s_waitcnt lgkmcnt(0)
	v_cmp_lt_u16_sdwa s[0:1], v80, v79 src0_sel:BYTE_0 src1_sel:BYTE_0
	v_cmp_lt_i32_e64 s[20:21], v81, v26
	s_or_b64 s[0:1], s[22:23], s[0:1]
	s_and_b64 s[20:21], s[20:21], s[0:1]
	s_xor_b64 s[0:1], s[20:21], -1
                                        ; implicit-def: $vgpr83
	s_and_saveexec_b64 s[22:23], s[0:1]
	s_xor_b64 s[22:23], exec, s[22:23]
	s_cbranch_execz .LBB119_176
; %bb.175:                              ;   in Loop: Header=BB119_2 Depth=1
	ds_read_u8 v83, v82 offset:1
.LBB119_176:                            ;   in Loop: Header=BB119_2 Depth=1
	s_or_saveexec_b64 s[22:23], s[22:23]
	v_mov_b32_e32 v84, v80
	s_xor_b64 exec, exec, s[22:23]
	s_cbranch_execz .LBB119_178
; %bb.177:                              ;   in Loop: Header=BB119_2 Depth=1
	ds_read_u8 v84, v81 offset:1
	s_waitcnt lgkmcnt(1)
	v_mov_b32_e32 v83, v79
.LBB119_178:                            ;   in Loop: Header=BB119_2 Depth=1
	s_or_b64 exec, exec, s[22:23]
	v_add_u32_e32 v86, 1, v82
	v_add_u32_e32 v85, 1, v81
	v_cndmask_b32_e64 v86, v86, v82, s[20:21]
	v_cndmask_b32_e64 v85, v81, v85, s[20:21]
	v_cmp_ge_i32_e64 s[24:25], v86, v25
	s_waitcnt lgkmcnt(0)
	v_cmp_lt_u16_sdwa s[0:1], v84, v83 src0_sel:BYTE_0 src1_sel:BYTE_0
	v_cmp_lt_i32_e64 s[22:23], v85, v26
	s_or_b64 s[0:1], s[24:25], s[0:1]
	s_and_b64 s[22:23], s[22:23], s[0:1]
	s_xor_b64 s[0:1], s[22:23], -1
                                        ; implicit-def: $vgpr87
	s_and_saveexec_b64 s[24:25], s[0:1]
	s_xor_b64 s[24:25], exec, s[24:25]
	s_cbranch_execz .LBB119_180
; %bb.179:                              ;   in Loop: Header=BB119_2 Depth=1
	ds_read_u8 v87, v86 offset:1
.LBB119_180:                            ;   in Loop: Header=BB119_2 Depth=1
	s_or_saveexec_b64 s[24:25], s[24:25]
	v_mov_b32_e32 v88, v84
	s_xor_b64 exec, exec, s[24:25]
	s_cbranch_execz .LBB119_182
; %bb.181:                              ;   in Loop: Header=BB119_2 Depth=1
	ds_read_u8 v88, v85 offset:1
	s_waitcnt lgkmcnt(1)
	v_mov_b32_e32 v87, v83
.LBB119_182:                            ;   in Loop: Header=BB119_2 Depth=1
	s_or_b64 exec, exec, s[24:25]
	v_add_u32_e32 v90, 1, v86
	v_add_u32_e32 v89, 1, v85
	v_cndmask_b32_e64 v90, v90, v86, s[22:23]
	v_cndmask_b32_e64 v89, v85, v89, s[22:23]
	v_cmp_ge_i32_e64 s[26:27], v90, v25
	s_waitcnt lgkmcnt(0)
	v_cmp_lt_u16_sdwa s[0:1], v88, v87 src0_sel:BYTE_0 src1_sel:BYTE_0
	v_cmp_lt_i32_e64 s[24:25], v89, v26
	s_or_b64 s[0:1], s[26:27], s[0:1]
	s_and_b64 s[24:25], s[24:25], s[0:1]
	s_xor_b64 s[0:1], s[24:25], -1
                                        ; implicit-def: $vgpr91
	s_and_saveexec_b64 s[26:27], s[0:1]
	s_xor_b64 s[26:27], exec, s[26:27]
	s_cbranch_execz .LBB119_184
; %bb.183:                              ;   in Loop: Header=BB119_2 Depth=1
	ds_read_u8 v91, v90 offset:1
.LBB119_184:                            ;   in Loop: Header=BB119_2 Depth=1
	s_or_saveexec_b64 s[26:27], s[26:27]
	v_mov_b32_e32 v92, v88
	s_xor_b64 exec, exec, s[26:27]
	s_cbranch_execz .LBB119_186
; %bb.185:                              ;   in Loop: Header=BB119_2 Depth=1
	ds_read_u8 v92, v89 offset:1
	s_waitcnt lgkmcnt(1)
	v_mov_b32_e32 v91, v87
.LBB119_186:                            ;   in Loop: Header=BB119_2 Depth=1
	s_or_b64 exec, exec, s[26:27]
	v_add_u32_e32 v94, 1, v90
	v_add_u32_e32 v93, 1, v89
	v_cndmask_b32_e64 v94, v94, v90, s[24:25]
	v_cndmask_b32_e64 v93, v89, v93, s[24:25]
	v_cmp_ge_i32_e64 s[28:29], v94, v25
	s_waitcnt lgkmcnt(0)
	v_cmp_lt_u16_sdwa s[0:1], v92, v91 src0_sel:BYTE_0 src1_sel:BYTE_0
	v_cmp_lt_i32_e64 s[26:27], v93, v26
	s_or_b64 s[0:1], s[28:29], s[0:1]
	s_and_b64 s[26:27], s[26:27], s[0:1]
	s_xor_b64 s[0:1], s[26:27], -1
                                        ; implicit-def: $vgpr95
	s_and_saveexec_b64 s[28:29], s[0:1]
	s_xor_b64 s[28:29], exec, s[28:29]
	s_cbranch_execz .LBB119_188
; %bb.187:                              ;   in Loop: Header=BB119_2 Depth=1
	ds_read_u8 v95, v94 offset:1
.LBB119_188:                            ;   in Loop: Header=BB119_2 Depth=1
	s_or_saveexec_b64 s[28:29], s[28:29]
	v_mov_b32_e32 v96, v92
	s_xor_b64 exec, exec, s[28:29]
	s_cbranch_execz .LBB119_190
; %bb.189:                              ;   in Loop: Header=BB119_2 Depth=1
	ds_read_u8 v96, v93 offset:1
	s_waitcnt lgkmcnt(1)
	v_mov_b32_e32 v95, v91
.LBB119_190:                            ;   in Loop: Header=BB119_2 Depth=1
	s_or_b64 exec, exec, s[28:29]
	v_add_u32_e32 v99, 1, v94
	v_add_u32_e32 v97, 1, v93
	v_cndmask_b32_e64 v99, v99, v94, s[26:27]
	v_cndmask_b32_e64 v98, v93, v97, s[26:27]
	v_cmp_ge_i32_e64 s[30:31], v99, v25
	s_waitcnt lgkmcnt(0)
	v_cmp_lt_u16_sdwa s[0:1], v96, v95 src0_sel:BYTE_0 src1_sel:BYTE_0
	v_cmp_lt_i32_e64 s[28:29], v98, v26
	s_or_b64 s[0:1], s[30:31], s[0:1]
	s_and_b64 s[28:29], s[28:29], s[0:1]
	s_xor_b64 s[0:1], s[28:29], -1
                                        ; implicit-def: $vgpr97
	s_and_saveexec_b64 s[30:31], s[0:1]
	s_xor_b64 s[30:31], exec, s[30:31]
	s_cbranch_execz .LBB119_192
; %bb.191:                              ;   in Loop: Header=BB119_2 Depth=1
	ds_read_u8 v97, v99 offset:1
.LBB119_192:                            ;   in Loop: Header=BB119_2 Depth=1
	s_or_saveexec_b64 s[30:31], s[30:31]
	v_mov_b32_e32 v100, v96
	s_xor_b64 exec, exec, s[30:31]
	s_cbranch_execz .LBB119_194
; %bb.193:                              ;   in Loop: Header=BB119_2 Depth=1
	ds_read_u8 v100, v98 offset:1
	s_waitcnt lgkmcnt(1)
	v_mov_b32_e32 v97, v95
.LBB119_194:                            ;   in Loop: Header=BB119_2 Depth=1
	s_or_b64 exec, exec, s[30:31]
	v_add_u32_e32 v101, 1, v99
	v_cndmask_b32_e64 v95, v95, v96, s[28:29]
	v_add_u32_e32 v96, 1, v98
	v_cndmask_b32_e64 v101, v101, v99, s[28:29]
	v_cndmask_b32_e64 v96, v98, v96, s[28:29]
	;; [unrolled: 1-line block ×4, first 2 shown]
	v_cmp_ge_i32_e64 s[18:19], v101, v25
	s_waitcnt lgkmcnt(0)
	v_cmp_lt_u16_sdwa s[0:1], v100, v97 src0_sel:BYTE_0 src1_sel:BYTE_0
	v_lshlrev_b16_e32 v65, 8, v65
	v_cndmask_b32_e64 v73, v73, v74, s[16:17]
	v_cndmask_b32_e64 v71, v71, v72, s[16:17]
	v_cmp_lt_i32_e64 s[16:17], v96, v26
	s_or_b64 s[0:1], s[18:19], s[0:1]
	v_lshlrev_b16_e32 v70, 8, v70
	v_lshlrev_b16_e32 v67, 8, v67
	v_or_b32_sdwa v63, v63, v65 dst_sel:DWORD dst_unused:UNUSED_PAD src0_sel:BYTE_0 src1_sel:DWORD
	v_lshlrev_b16_e32 v65, 8, v66
	s_and_b64 s[16:17], s[16:17], s[0:1]
	v_or_b32_sdwa v68, v68, v70 dst_sel:DWORD dst_unused:UNUSED_PAD src0_sel:BYTE_0 src1_sel:DWORD
	v_or_b32_sdwa v67, v69, v67 dst_sel:WORD_1 dst_unused:UNUSED_PAD src0_sel:BYTE_0 src1_sel:DWORD
	v_or_b32_sdwa v64, v64, v65 dst_sel:WORD_1 dst_unused:UNUSED_PAD src0_sel:BYTE_0 src1_sel:DWORD
	v_cndmask_b32_e64 v72, v101, v96, s[16:17]
	v_or_b32_sdwa v67, v68, v67 dst_sel:DWORD dst_unused:UNUSED_PAD src0_sel:WORD_0 src1_sel:DWORD
	v_or_b32_sdwa v66, v63, v64 dst_sel:DWORD dst_unused:UNUSED_PAD src0_sel:WORD_0 src1_sel:DWORD
	v_cndmask_b32_e64 v98, v99, v98, s[28:29]
	v_cndmask_b32_e64 v91, v91, v92, s[26:27]
	v_cndmask_b32_e64 v92, v94, v93, s[26:27]
	v_cndmask_b32_e64 v87, v87, v88, s[24:25]
	v_cndmask_b32_e64 v88, v90, v89, s[24:25]
	v_cndmask_b32_e64 v83, v83, v84, s[22:23]
	v_cndmask_b32_e64 v84, v86, v85, s[22:23]
	v_cndmask_b32_e64 v79, v79, v80, s[20:21]
	v_cndmask_b32_e64 v80, v82, v81, s[20:21]
	s_barrier
	ds_write_b64 v2, v[66:67]
	s_waitcnt lgkmcnt(0)
	s_barrier
	ds_read_u8 v67, v72
	ds_read_u8 v63, v71
	;; [unrolled: 1-line block ×8, first 2 shown]
	v_lshlrev_b16_e32 v71, 8, v75
	v_lshlrev_b16_e32 v72, 8, v83
	v_cndmask_b32_e64 v74, v97, v100, s[16:17]
	v_or_b32_sdwa v71, v73, v71 dst_sel:DWORD dst_unused:UNUSED_PAD src0_sel:BYTE_0 src1_sel:DWORD
	v_or_b32_sdwa v72, v79, v72 dst_sel:WORD_1 dst_unused:UNUSED_PAD src0_sel:BYTE_0 src1_sel:DWORD
	v_lshlrev_b16_e32 v73, 8, v74
	v_or_b32_sdwa v72, v71, v72 dst_sel:DWORD dst_unused:UNUSED_PAD src0_sel:WORD_0 src1_sel:DWORD
	v_lshlrev_b16_e32 v71, 8, v91
	v_or_b32_sdwa v71, v87, v71 dst_sel:DWORD dst_unused:UNUSED_PAD src0_sel:BYTE_0 src1_sel:DWORD
	v_or_b32_sdwa v73, v95, v73 dst_sel:WORD_1 dst_unused:UNUSED_PAD src0_sel:BYTE_0 src1_sel:DWORD
	s_waitcnt lgkmcnt(0)
	v_or_b32_sdwa v73, v71, v73 dst_sel:DWORD dst_unused:UNUSED_PAD src0_sel:WORD_0 src1_sel:DWORD
	s_barrier
	ds_write_b64 v2, v[72:73]
	v_mov_b32_e32 v72, v45
	s_waitcnt lgkmcnt(0)
	s_barrier
	s_and_saveexec_b64 s[18:19], s[10:11]
	s_cbranch_execz .LBB119_198
; %bb.195:                              ;   in Loop: Header=BB119_2 Depth=1
	s_mov_b64 s[20:21], 0
	v_mov_b32_e32 v72, v45
	v_mov_b32_e32 v71, v46
.LBB119_196:                            ;   Parent Loop BB119_2 Depth=1
                                        ; =>  This Inner Loop Header: Depth=2
	v_sub_u32_e32 v73, v71, v72
	v_lshrrev_b32_e32 v74, 31, v73
	v_add_u32_e32 v73, v73, v74
	v_ashrrev_i32_e32 v73, 1, v73
	v_add_u32_e32 v73, v73, v72
	v_not_b32_e32 v75, v73
	v_add_u32_e32 v74, v41, v73
	v_add3_u32 v75, v42, v75, v43
	ds_read_u8 v74, v74
	ds_read_u8 v75, v75
	v_add_u32_e32 v76, 1, v73
	s_waitcnt lgkmcnt(0)
	v_cmp_lt_u16_e64 s[16:17], v75, v74
	s_nop 1
	v_cndmask_b32_e64 v71, v71, v73, s[16:17]
	v_cndmask_b32_e64 v72, v76, v72, s[16:17]
	v_cmp_ge_i32_e64 s[16:17], v72, v71
	s_or_b64 s[20:21], s[16:17], s[20:21]
	s_andn2_b64 exec, exec, s[20:21]
	s_cbranch_execnz .LBB119_196
; %bb.197:                              ;   in Loop: Header=BB119_2 Depth=1
	s_or_b64 exec, exec, s[20:21]
.LBB119_198:                            ;   in Loop: Header=BB119_2 Depth=1
	s_or_b64 exec, exec, s[18:19]
	v_add_u32_e32 v71, v72, v41
	v_sub_u32_e32 v72, v60, v72
	ds_read_u8 v73, v71
	ds_read_u8 v74, v72
	v_cmp_le_i32_e64 s[18:19], v43, v71
	v_cmp_gt_i32_e64 s[16:17], v44, v72
                                        ; implicit-def: $vgpr75
                                        ; implicit-def: $vgpr76
	s_waitcnt lgkmcnt(0)
	v_cmp_lt_u16_sdwa s[0:1], v74, v73 src0_sel:BYTE_0 src1_sel:BYTE_0
	s_or_b64 s[0:1], s[18:19], s[0:1]
	s_and_b64 s[16:17], s[16:17], s[0:1]
	s_xor_b64 s[0:1], s[16:17], -1
	s_and_saveexec_b64 s[18:19], s[0:1]
	s_xor_b64 s[18:19], exec, s[18:19]
	s_cbranch_execz .LBB119_200
; %bb.199:                              ;   in Loop: Header=BB119_2 Depth=1
	ds_read_u8 v76, v71 offset:1
	v_mov_b32_e32 v75, v74
.LBB119_200:                            ;   in Loop: Header=BB119_2 Depth=1
	s_andn2_saveexec_b64 s[18:19], s[18:19]
	s_cbranch_execz .LBB119_202
; %bb.201:                              ;   in Loop: Header=BB119_2 Depth=1
	ds_read_u8 v75, v72 offset:1
	s_waitcnt lgkmcnt(1)
	v_mov_b32_e32 v76, v73
.LBB119_202:                            ;   in Loop: Header=BB119_2 Depth=1
	s_or_b64 exec, exec, s[18:19]
	v_add_u32_e32 v78, 1, v71
	v_add_u32_e32 v77, 1, v72
	v_cndmask_b32_e64 v78, v78, v71, s[16:17]
	v_cndmask_b32_e64 v77, v72, v77, s[16:17]
	v_cmp_ge_i32_e64 s[20:21], v78, v43
	s_waitcnt lgkmcnt(0)
	v_cmp_lt_u16_sdwa s[0:1], v75, v76 src0_sel:BYTE_0 src1_sel:BYTE_0
	v_cmp_lt_i32_e64 s[18:19], v77, v44
	s_or_b64 s[0:1], s[20:21], s[0:1]
	s_and_b64 s[18:19], s[18:19], s[0:1]
	s_xor_b64 s[0:1], s[18:19], -1
                                        ; implicit-def: $vgpr79
	s_and_saveexec_b64 s[20:21], s[0:1]
	s_xor_b64 s[20:21], exec, s[20:21]
	s_cbranch_execz .LBB119_204
; %bb.203:                              ;   in Loop: Header=BB119_2 Depth=1
	ds_read_u8 v79, v78 offset:1
.LBB119_204:                            ;   in Loop: Header=BB119_2 Depth=1
	s_or_saveexec_b64 s[20:21], s[20:21]
	v_mov_b32_e32 v80, v75
	s_xor_b64 exec, exec, s[20:21]
	s_cbranch_execz .LBB119_206
; %bb.205:                              ;   in Loop: Header=BB119_2 Depth=1
	ds_read_u8 v80, v77 offset:1
	s_waitcnt lgkmcnt(1)
	v_mov_b32_e32 v79, v76
.LBB119_206:                            ;   in Loop: Header=BB119_2 Depth=1
	s_or_b64 exec, exec, s[20:21]
	v_add_u32_e32 v82, 1, v78
	v_add_u32_e32 v81, 1, v77
	v_cndmask_b32_e64 v82, v82, v78, s[18:19]
	v_cndmask_b32_e64 v81, v77, v81, s[18:19]
	v_cmp_ge_i32_e64 s[22:23], v82, v43
	s_waitcnt lgkmcnt(0)
	v_cmp_lt_u16_sdwa s[0:1], v80, v79 src0_sel:BYTE_0 src1_sel:BYTE_0
	v_cmp_lt_i32_e64 s[20:21], v81, v44
	s_or_b64 s[0:1], s[22:23], s[0:1]
	s_and_b64 s[20:21], s[20:21], s[0:1]
	s_xor_b64 s[0:1], s[20:21], -1
                                        ; implicit-def: $vgpr83
	s_and_saveexec_b64 s[22:23], s[0:1]
	s_xor_b64 s[22:23], exec, s[22:23]
	s_cbranch_execz .LBB119_208
; %bb.207:                              ;   in Loop: Header=BB119_2 Depth=1
	ds_read_u8 v83, v82 offset:1
.LBB119_208:                            ;   in Loop: Header=BB119_2 Depth=1
	s_or_saveexec_b64 s[22:23], s[22:23]
	v_mov_b32_e32 v84, v80
	s_xor_b64 exec, exec, s[22:23]
	s_cbranch_execz .LBB119_210
; %bb.209:                              ;   in Loop: Header=BB119_2 Depth=1
	ds_read_u8 v84, v81 offset:1
	s_waitcnt lgkmcnt(1)
	v_mov_b32_e32 v83, v79
.LBB119_210:                            ;   in Loop: Header=BB119_2 Depth=1
	s_or_b64 exec, exec, s[22:23]
	v_add_u32_e32 v86, 1, v82
	v_add_u32_e32 v85, 1, v81
	v_cndmask_b32_e64 v86, v86, v82, s[20:21]
	v_cndmask_b32_e64 v85, v81, v85, s[20:21]
	v_cmp_ge_i32_e64 s[24:25], v86, v43
	s_waitcnt lgkmcnt(0)
	v_cmp_lt_u16_sdwa s[0:1], v84, v83 src0_sel:BYTE_0 src1_sel:BYTE_0
	v_cmp_lt_i32_e64 s[22:23], v85, v44
	s_or_b64 s[0:1], s[24:25], s[0:1]
	s_and_b64 s[22:23], s[22:23], s[0:1]
	s_xor_b64 s[0:1], s[22:23], -1
                                        ; implicit-def: $vgpr87
	s_and_saveexec_b64 s[24:25], s[0:1]
	s_xor_b64 s[24:25], exec, s[24:25]
	s_cbranch_execz .LBB119_212
; %bb.211:                              ;   in Loop: Header=BB119_2 Depth=1
	ds_read_u8 v87, v86 offset:1
.LBB119_212:                            ;   in Loop: Header=BB119_2 Depth=1
	s_or_saveexec_b64 s[24:25], s[24:25]
	v_mov_b32_e32 v88, v84
	s_xor_b64 exec, exec, s[24:25]
	s_cbranch_execz .LBB119_214
; %bb.213:                              ;   in Loop: Header=BB119_2 Depth=1
	ds_read_u8 v88, v85 offset:1
	s_waitcnt lgkmcnt(1)
	v_mov_b32_e32 v87, v83
.LBB119_214:                            ;   in Loop: Header=BB119_2 Depth=1
	s_or_b64 exec, exec, s[24:25]
	v_add_u32_e32 v90, 1, v86
	v_add_u32_e32 v89, 1, v85
	v_cndmask_b32_e64 v90, v90, v86, s[22:23]
	v_cndmask_b32_e64 v89, v85, v89, s[22:23]
	v_cmp_ge_i32_e64 s[26:27], v90, v43
	s_waitcnt lgkmcnt(0)
	v_cmp_lt_u16_sdwa s[0:1], v88, v87 src0_sel:BYTE_0 src1_sel:BYTE_0
	v_cmp_lt_i32_e64 s[24:25], v89, v44
	s_or_b64 s[0:1], s[26:27], s[0:1]
	s_and_b64 s[24:25], s[24:25], s[0:1]
	s_xor_b64 s[0:1], s[24:25], -1
                                        ; implicit-def: $vgpr91
	s_and_saveexec_b64 s[26:27], s[0:1]
	s_xor_b64 s[26:27], exec, s[26:27]
	s_cbranch_execz .LBB119_216
; %bb.215:                              ;   in Loop: Header=BB119_2 Depth=1
	ds_read_u8 v91, v90 offset:1
.LBB119_216:                            ;   in Loop: Header=BB119_2 Depth=1
	s_or_saveexec_b64 s[26:27], s[26:27]
	v_mov_b32_e32 v92, v88
	s_xor_b64 exec, exec, s[26:27]
	s_cbranch_execz .LBB119_218
; %bb.217:                              ;   in Loop: Header=BB119_2 Depth=1
	ds_read_u8 v92, v89 offset:1
	s_waitcnt lgkmcnt(1)
	v_mov_b32_e32 v91, v87
.LBB119_218:                            ;   in Loop: Header=BB119_2 Depth=1
	s_or_b64 exec, exec, s[26:27]
	v_add_u32_e32 v94, 1, v90
	v_add_u32_e32 v93, 1, v89
	v_cndmask_b32_e64 v94, v94, v90, s[24:25]
	v_cndmask_b32_e64 v93, v89, v93, s[24:25]
	v_cmp_ge_i32_e64 s[28:29], v94, v43
	s_waitcnt lgkmcnt(0)
	v_cmp_lt_u16_sdwa s[0:1], v92, v91 src0_sel:BYTE_0 src1_sel:BYTE_0
	v_cmp_lt_i32_e64 s[26:27], v93, v44
	s_or_b64 s[0:1], s[28:29], s[0:1]
	s_and_b64 s[26:27], s[26:27], s[0:1]
	s_xor_b64 s[0:1], s[26:27], -1
                                        ; implicit-def: $vgpr95
	s_and_saveexec_b64 s[28:29], s[0:1]
	s_xor_b64 s[28:29], exec, s[28:29]
	s_cbranch_execz .LBB119_220
; %bb.219:                              ;   in Loop: Header=BB119_2 Depth=1
	ds_read_u8 v95, v94 offset:1
.LBB119_220:                            ;   in Loop: Header=BB119_2 Depth=1
	s_or_saveexec_b64 s[28:29], s[28:29]
	v_mov_b32_e32 v96, v92
	s_xor_b64 exec, exec, s[28:29]
	s_cbranch_execz .LBB119_222
; %bb.221:                              ;   in Loop: Header=BB119_2 Depth=1
	ds_read_u8 v96, v93 offset:1
	s_waitcnt lgkmcnt(1)
	v_mov_b32_e32 v95, v91
.LBB119_222:                            ;   in Loop: Header=BB119_2 Depth=1
	s_or_b64 exec, exec, s[28:29]
	v_add_u32_e32 v99, 1, v94
	v_add_u32_e32 v97, 1, v93
	v_cndmask_b32_e64 v99, v99, v94, s[26:27]
	v_cndmask_b32_e64 v98, v93, v97, s[26:27]
	v_cmp_ge_i32_e64 s[30:31], v99, v43
	s_waitcnt lgkmcnt(0)
	v_cmp_lt_u16_sdwa s[0:1], v96, v95 src0_sel:BYTE_0 src1_sel:BYTE_0
	v_cmp_lt_i32_e64 s[28:29], v98, v44
	s_or_b64 s[0:1], s[30:31], s[0:1]
	s_and_b64 s[28:29], s[28:29], s[0:1]
	s_xor_b64 s[0:1], s[28:29], -1
                                        ; implicit-def: $vgpr97
	s_and_saveexec_b64 s[30:31], s[0:1]
	s_xor_b64 s[30:31], exec, s[30:31]
	s_cbranch_execz .LBB119_224
; %bb.223:                              ;   in Loop: Header=BB119_2 Depth=1
	ds_read_u8 v97, v99 offset:1
.LBB119_224:                            ;   in Loop: Header=BB119_2 Depth=1
	s_or_saveexec_b64 s[30:31], s[30:31]
	v_mov_b32_e32 v100, v96
	s_xor_b64 exec, exec, s[30:31]
	s_cbranch_execz .LBB119_226
; %bb.225:                              ;   in Loop: Header=BB119_2 Depth=1
	ds_read_u8 v100, v98 offset:1
	s_waitcnt lgkmcnt(1)
	v_mov_b32_e32 v97, v95
.LBB119_226:                            ;   in Loop: Header=BB119_2 Depth=1
	s_or_b64 exec, exec, s[30:31]
	v_add_u32_e32 v101, 1, v99
	v_cndmask_b32_e64 v95, v95, v96, s[28:29]
	v_add_u32_e32 v96, 1, v98
	v_cndmask_b32_e64 v101, v101, v99, s[28:29]
	v_cndmask_b32_e64 v96, v98, v96, s[28:29]
	;; [unrolled: 1-line block ×4, first 2 shown]
	v_cmp_ge_i32_e64 s[18:19], v101, v43
	s_waitcnt lgkmcnt(0)
	v_cmp_lt_u16_sdwa s[0:1], v100, v97 src0_sel:BYTE_0 src1_sel:BYTE_0
	v_lshlrev_b16_e32 v65, 8, v65
	v_cndmask_b32_e64 v73, v73, v74, s[16:17]
	v_cndmask_b32_e64 v71, v71, v72, s[16:17]
	v_cmp_lt_i32_e64 s[16:17], v96, v44
	s_or_b64 s[0:1], s[18:19], s[0:1]
	v_lshlrev_b16_e32 v70, 8, v70
	v_lshlrev_b16_e32 v67, 8, v67
	v_or_b32_sdwa v63, v63, v65 dst_sel:DWORD dst_unused:UNUSED_PAD src0_sel:BYTE_0 src1_sel:DWORD
	v_lshlrev_b16_e32 v65, 8, v66
	s_and_b64 s[16:17], s[16:17], s[0:1]
	v_or_b32_sdwa v68, v68, v70 dst_sel:DWORD dst_unused:UNUSED_PAD src0_sel:BYTE_0 src1_sel:DWORD
	v_or_b32_sdwa v67, v69, v67 dst_sel:WORD_1 dst_unused:UNUSED_PAD src0_sel:BYTE_0 src1_sel:DWORD
	v_or_b32_sdwa v64, v64, v65 dst_sel:WORD_1 dst_unused:UNUSED_PAD src0_sel:BYTE_0 src1_sel:DWORD
	v_cndmask_b32_e64 v72, v101, v96, s[16:17]
	v_or_b32_sdwa v67, v68, v67 dst_sel:DWORD dst_unused:UNUSED_PAD src0_sel:WORD_0 src1_sel:DWORD
	v_or_b32_sdwa v66, v63, v64 dst_sel:DWORD dst_unused:UNUSED_PAD src0_sel:WORD_0 src1_sel:DWORD
	v_cndmask_b32_e64 v98, v99, v98, s[28:29]
	v_cndmask_b32_e64 v91, v91, v92, s[26:27]
	;; [unrolled: 1-line block ×9, first 2 shown]
	s_barrier
	ds_write_b64 v2, v[66:67]
	s_waitcnt lgkmcnt(0)
	s_barrier
	ds_read_u8 v67, v72
	ds_read_u8 v63, v71
	;; [unrolled: 1-line block ×8, first 2 shown]
	v_lshlrev_b16_e32 v71, 8, v75
	v_lshlrev_b16_e32 v72, 8, v83
	v_cndmask_b32_e64 v74, v97, v100, s[16:17]
	v_or_b32_sdwa v71, v73, v71 dst_sel:DWORD dst_unused:UNUSED_PAD src0_sel:BYTE_0 src1_sel:DWORD
	v_or_b32_sdwa v72, v79, v72 dst_sel:WORD_1 dst_unused:UNUSED_PAD src0_sel:BYTE_0 src1_sel:DWORD
	v_lshlrev_b16_e32 v73, 8, v74
	v_or_b32_sdwa v72, v71, v72 dst_sel:DWORD dst_unused:UNUSED_PAD src0_sel:WORD_0 src1_sel:DWORD
	v_lshlrev_b16_e32 v71, 8, v91
	v_or_b32_sdwa v71, v87, v71 dst_sel:DWORD dst_unused:UNUSED_PAD src0_sel:BYTE_0 src1_sel:DWORD
	v_or_b32_sdwa v73, v95, v73 dst_sel:WORD_1 dst_unused:UNUSED_PAD src0_sel:BYTE_0 src1_sel:DWORD
	s_waitcnt lgkmcnt(0)
	v_or_b32_sdwa v73, v71, v73 dst_sel:DWORD dst_unused:UNUSED_PAD src0_sel:WORD_0 src1_sel:DWORD
	s_barrier
	ds_write_b64 v2, v[72:73]
	v_mov_b32_e32 v72, v52
	s_waitcnt lgkmcnt(0)
	s_barrier
	s_and_saveexec_b64 s[18:19], s[12:13]
	s_cbranch_execz .LBB119_230
; %bb.227:                              ;   in Loop: Header=BB119_2 Depth=1
	s_mov_b64 s[20:21], 0
	v_mov_b32_e32 v72, v52
	v_mov_b32_e32 v71, v53
.LBB119_228:                            ;   Parent Loop BB119_2 Depth=1
                                        ; =>  This Inner Loop Header: Depth=2
	v_sub_u32_e32 v73, v71, v72
	v_lshrrev_b32_e32 v74, 31, v73
	v_add_u32_e32 v73, v73, v74
	v_ashrrev_i32_e32 v73, 1, v73
	v_add_u32_e32 v73, v73, v72
	v_not_b32_e32 v75, v73
	v_add_u32_e32 v74, v48, v73
	v_add3_u32 v75, v49, v75, v50
	ds_read_u8 v74, v74
	ds_read_u8 v75, v75
	v_add_u32_e32 v76, 1, v73
	s_waitcnt lgkmcnt(0)
	v_cmp_lt_u16_e64 s[16:17], v75, v74
	s_nop 1
	v_cndmask_b32_e64 v71, v71, v73, s[16:17]
	v_cndmask_b32_e64 v72, v76, v72, s[16:17]
	v_cmp_ge_i32_e64 s[16:17], v72, v71
	s_or_b64 s[20:21], s[16:17], s[20:21]
	s_andn2_b64 exec, exec, s[20:21]
	s_cbranch_execnz .LBB119_228
; %bb.229:                              ;   in Loop: Header=BB119_2 Depth=1
	s_or_b64 exec, exec, s[20:21]
.LBB119_230:                            ;   in Loop: Header=BB119_2 Depth=1
	s_or_b64 exec, exec, s[18:19]
	v_add_u32_e32 v71, v72, v48
	v_sub_u32_e32 v72, v61, v72
	ds_read_u8 v73, v71
	ds_read_u8 v74, v72
	v_cmp_le_i32_e64 s[18:19], v50, v71
	v_cmp_gt_i32_e64 s[16:17], v51, v72
                                        ; implicit-def: $vgpr75
                                        ; implicit-def: $vgpr76
	s_waitcnt lgkmcnt(0)
	v_cmp_lt_u16_sdwa s[0:1], v74, v73 src0_sel:BYTE_0 src1_sel:BYTE_0
	s_or_b64 s[0:1], s[18:19], s[0:1]
	s_and_b64 s[16:17], s[16:17], s[0:1]
	s_xor_b64 s[0:1], s[16:17], -1
	s_and_saveexec_b64 s[18:19], s[0:1]
	s_xor_b64 s[18:19], exec, s[18:19]
	s_cbranch_execz .LBB119_232
; %bb.231:                              ;   in Loop: Header=BB119_2 Depth=1
	ds_read_u8 v76, v71 offset:1
	v_mov_b32_e32 v75, v74
.LBB119_232:                            ;   in Loop: Header=BB119_2 Depth=1
	s_andn2_saveexec_b64 s[18:19], s[18:19]
	s_cbranch_execz .LBB119_234
; %bb.233:                              ;   in Loop: Header=BB119_2 Depth=1
	ds_read_u8 v75, v72 offset:1
	s_waitcnt lgkmcnt(1)
	v_mov_b32_e32 v76, v73
.LBB119_234:                            ;   in Loop: Header=BB119_2 Depth=1
	s_or_b64 exec, exec, s[18:19]
	v_add_u32_e32 v78, 1, v71
	v_add_u32_e32 v77, 1, v72
	v_cndmask_b32_e64 v78, v78, v71, s[16:17]
	v_cndmask_b32_e64 v77, v72, v77, s[16:17]
	v_cmp_ge_i32_e64 s[20:21], v78, v50
	s_waitcnt lgkmcnt(0)
	v_cmp_lt_u16_sdwa s[0:1], v75, v76 src0_sel:BYTE_0 src1_sel:BYTE_0
	v_cmp_lt_i32_e64 s[18:19], v77, v51
	s_or_b64 s[0:1], s[20:21], s[0:1]
	s_and_b64 s[18:19], s[18:19], s[0:1]
	s_xor_b64 s[0:1], s[18:19], -1
                                        ; implicit-def: $vgpr79
	s_and_saveexec_b64 s[20:21], s[0:1]
	s_xor_b64 s[20:21], exec, s[20:21]
	s_cbranch_execz .LBB119_236
; %bb.235:                              ;   in Loop: Header=BB119_2 Depth=1
	ds_read_u8 v79, v78 offset:1
.LBB119_236:                            ;   in Loop: Header=BB119_2 Depth=1
	s_or_saveexec_b64 s[20:21], s[20:21]
	v_mov_b32_e32 v80, v75
	s_xor_b64 exec, exec, s[20:21]
	s_cbranch_execz .LBB119_238
; %bb.237:                              ;   in Loop: Header=BB119_2 Depth=1
	ds_read_u8 v80, v77 offset:1
	s_waitcnt lgkmcnt(1)
	v_mov_b32_e32 v79, v76
.LBB119_238:                            ;   in Loop: Header=BB119_2 Depth=1
	s_or_b64 exec, exec, s[20:21]
	v_add_u32_e32 v82, 1, v78
	v_add_u32_e32 v81, 1, v77
	v_cndmask_b32_e64 v82, v82, v78, s[18:19]
	v_cndmask_b32_e64 v81, v77, v81, s[18:19]
	v_cmp_ge_i32_e64 s[22:23], v82, v50
	s_waitcnt lgkmcnt(0)
	v_cmp_lt_u16_sdwa s[0:1], v80, v79 src0_sel:BYTE_0 src1_sel:BYTE_0
	v_cmp_lt_i32_e64 s[20:21], v81, v51
	s_or_b64 s[0:1], s[22:23], s[0:1]
	s_and_b64 s[20:21], s[20:21], s[0:1]
	s_xor_b64 s[0:1], s[20:21], -1
                                        ; implicit-def: $vgpr83
	s_and_saveexec_b64 s[22:23], s[0:1]
	s_xor_b64 s[22:23], exec, s[22:23]
	s_cbranch_execz .LBB119_240
; %bb.239:                              ;   in Loop: Header=BB119_2 Depth=1
	ds_read_u8 v83, v82 offset:1
.LBB119_240:                            ;   in Loop: Header=BB119_2 Depth=1
	s_or_saveexec_b64 s[22:23], s[22:23]
	v_mov_b32_e32 v84, v80
	s_xor_b64 exec, exec, s[22:23]
	s_cbranch_execz .LBB119_242
; %bb.241:                              ;   in Loop: Header=BB119_2 Depth=1
	ds_read_u8 v84, v81 offset:1
	s_waitcnt lgkmcnt(1)
	v_mov_b32_e32 v83, v79
.LBB119_242:                            ;   in Loop: Header=BB119_2 Depth=1
	s_or_b64 exec, exec, s[22:23]
	v_add_u32_e32 v86, 1, v82
	v_add_u32_e32 v85, 1, v81
	v_cndmask_b32_e64 v86, v86, v82, s[20:21]
	v_cndmask_b32_e64 v85, v81, v85, s[20:21]
	v_cmp_ge_i32_e64 s[24:25], v86, v50
	s_waitcnt lgkmcnt(0)
	v_cmp_lt_u16_sdwa s[0:1], v84, v83 src0_sel:BYTE_0 src1_sel:BYTE_0
	v_cmp_lt_i32_e64 s[22:23], v85, v51
	s_or_b64 s[0:1], s[24:25], s[0:1]
	s_and_b64 s[22:23], s[22:23], s[0:1]
	s_xor_b64 s[0:1], s[22:23], -1
                                        ; implicit-def: $vgpr87
	s_and_saveexec_b64 s[24:25], s[0:1]
	s_xor_b64 s[24:25], exec, s[24:25]
	s_cbranch_execz .LBB119_244
; %bb.243:                              ;   in Loop: Header=BB119_2 Depth=1
	ds_read_u8 v87, v86 offset:1
.LBB119_244:                            ;   in Loop: Header=BB119_2 Depth=1
	s_or_saveexec_b64 s[24:25], s[24:25]
	v_mov_b32_e32 v88, v84
	s_xor_b64 exec, exec, s[24:25]
	s_cbranch_execz .LBB119_246
; %bb.245:                              ;   in Loop: Header=BB119_2 Depth=1
	ds_read_u8 v88, v85 offset:1
	s_waitcnt lgkmcnt(1)
	v_mov_b32_e32 v87, v83
.LBB119_246:                            ;   in Loop: Header=BB119_2 Depth=1
	s_or_b64 exec, exec, s[24:25]
	v_add_u32_e32 v90, 1, v86
	v_add_u32_e32 v89, 1, v85
	v_cndmask_b32_e64 v90, v90, v86, s[22:23]
	v_cndmask_b32_e64 v89, v85, v89, s[22:23]
	v_cmp_ge_i32_e64 s[26:27], v90, v50
	s_waitcnt lgkmcnt(0)
	v_cmp_lt_u16_sdwa s[0:1], v88, v87 src0_sel:BYTE_0 src1_sel:BYTE_0
	v_cmp_lt_i32_e64 s[24:25], v89, v51
	s_or_b64 s[0:1], s[26:27], s[0:1]
	s_and_b64 s[24:25], s[24:25], s[0:1]
	s_xor_b64 s[0:1], s[24:25], -1
                                        ; implicit-def: $vgpr91
	s_and_saveexec_b64 s[26:27], s[0:1]
	s_xor_b64 s[26:27], exec, s[26:27]
	s_cbranch_execz .LBB119_248
; %bb.247:                              ;   in Loop: Header=BB119_2 Depth=1
	ds_read_u8 v91, v90 offset:1
.LBB119_248:                            ;   in Loop: Header=BB119_2 Depth=1
	s_or_saveexec_b64 s[26:27], s[26:27]
	v_mov_b32_e32 v92, v88
	s_xor_b64 exec, exec, s[26:27]
	s_cbranch_execz .LBB119_250
; %bb.249:                              ;   in Loop: Header=BB119_2 Depth=1
	ds_read_u8 v92, v89 offset:1
	s_waitcnt lgkmcnt(1)
	v_mov_b32_e32 v91, v87
.LBB119_250:                            ;   in Loop: Header=BB119_2 Depth=1
	s_or_b64 exec, exec, s[26:27]
	v_add_u32_e32 v94, 1, v90
	v_add_u32_e32 v93, 1, v89
	v_cndmask_b32_e64 v94, v94, v90, s[24:25]
	v_cndmask_b32_e64 v93, v89, v93, s[24:25]
	v_cmp_ge_i32_e64 s[28:29], v94, v50
	s_waitcnt lgkmcnt(0)
	v_cmp_lt_u16_sdwa s[0:1], v92, v91 src0_sel:BYTE_0 src1_sel:BYTE_0
	v_cmp_lt_i32_e64 s[26:27], v93, v51
	s_or_b64 s[0:1], s[28:29], s[0:1]
	s_and_b64 s[26:27], s[26:27], s[0:1]
	s_xor_b64 s[0:1], s[26:27], -1
                                        ; implicit-def: $vgpr95
	s_and_saveexec_b64 s[28:29], s[0:1]
	s_xor_b64 s[28:29], exec, s[28:29]
	s_cbranch_execz .LBB119_252
; %bb.251:                              ;   in Loop: Header=BB119_2 Depth=1
	ds_read_u8 v95, v94 offset:1
.LBB119_252:                            ;   in Loop: Header=BB119_2 Depth=1
	s_or_saveexec_b64 s[28:29], s[28:29]
	v_mov_b32_e32 v96, v92
	s_xor_b64 exec, exec, s[28:29]
	s_cbranch_execz .LBB119_254
; %bb.253:                              ;   in Loop: Header=BB119_2 Depth=1
	ds_read_u8 v96, v93 offset:1
	s_waitcnt lgkmcnt(1)
	v_mov_b32_e32 v95, v91
.LBB119_254:                            ;   in Loop: Header=BB119_2 Depth=1
	s_or_b64 exec, exec, s[28:29]
	v_add_u32_e32 v99, 1, v94
	v_add_u32_e32 v97, 1, v93
	v_cndmask_b32_e64 v99, v99, v94, s[26:27]
	v_cndmask_b32_e64 v98, v93, v97, s[26:27]
	v_cmp_ge_i32_e64 s[30:31], v99, v50
	s_waitcnt lgkmcnt(0)
	v_cmp_lt_u16_sdwa s[0:1], v96, v95 src0_sel:BYTE_0 src1_sel:BYTE_0
	v_cmp_lt_i32_e64 s[28:29], v98, v51
	s_or_b64 s[0:1], s[30:31], s[0:1]
	s_and_b64 s[28:29], s[28:29], s[0:1]
	s_xor_b64 s[0:1], s[28:29], -1
                                        ; implicit-def: $vgpr97
	s_and_saveexec_b64 s[30:31], s[0:1]
	s_xor_b64 s[30:31], exec, s[30:31]
	s_cbranch_execz .LBB119_256
; %bb.255:                              ;   in Loop: Header=BB119_2 Depth=1
	ds_read_u8 v97, v99 offset:1
.LBB119_256:                            ;   in Loop: Header=BB119_2 Depth=1
	s_or_saveexec_b64 s[30:31], s[30:31]
	v_mov_b32_e32 v100, v96
	s_xor_b64 exec, exec, s[30:31]
	s_cbranch_execz .LBB119_258
; %bb.257:                              ;   in Loop: Header=BB119_2 Depth=1
	ds_read_u8 v100, v98 offset:1
	s_waitcnt lgkmcnt(1)
	v_mov_b32_e32 v97, v95
.LBB119_258:                            ;   in Loop: Header=BB119_2 Depth=1
	s_or_b64 exec, exec, s[30:31]
	v_add_u32_e32 v101, 1, v99
	v_cndmask_b32_e64 v95, v95, v96, s[28:29]
	v_add_u32_e32 v96, 1, v98
	v_cndmask_b32_e64 v101, v101, v99, s[28:29]
	v_cndmask_b32_e64 v96, v98, v96, s[28:29]
	;; [unrolled: 1-line block ×4, first 2 shown]
	v_cmp_ge_i32_e64 s[18:19], v101, v50
	s_waitcnt lgkmcnt(0)
	v_cmp_lt_u16_sdwa s[0:1], v100, v97 src0_sel:BYTE_0 src1_sel:BYTE_0
	v_lshlrev_b16_e32 v65, 8, v65
	v_cndmask_b32_e64 v73, v73, v74, s[16:17]
	v_cndmask_b32_e64 v71, v71, v72, s[16:17]
	v_cmp_lt_i32_e64 s[16:17], v96, v51
	s_or_b64 s[0:1], s[18:19], s[0:1]
	v_lshlrev_b16_e32 v70, 8, v70
	v_lshlrev_b16_e32 v67, 8, v67
	v_or_b32_sdwa v63, v63, v65 dst_sel:DWORD dst_unused:UNUSED_PAD src0_sel:BYTE_0 src1_sel:DWORD
	v_lshlrev_b16_e32 v65, 8, v66
	s_and_b64 s[16:17], s[16:17], s[0:1]
	v_or_b32_sdwa v68, v68, v70 dst_sel:DWORD dst_unused:UNUSED_PAD src0_sel:BYTE_0 src1_sel:DWORD
	v_or_b32_sdwa v67, v69, v67 dst_sel:WORD_1 dst_unused:UNUSED_PAD src0_sel:BYTE_0 src1_sel:DWORD
	v_or_b32_sdwa v64, v64, v65 dst_sel:WORD_1 dst_unused:UNUSED_PAD src0_sel:BYTE_0 src1_sel:DWORD
	v_cndmask_b32_e64 v72, v101, v96, s[16:17]
	v_or_b32_sdwa v67, v68, v67 dst_sel:DWORD dst_unused:UNUSED_PAD src0_sel:WORD_0 src1_sel:DWORD
	v_or_b32_sdwa v66, v63, v64 dst_sel:DWORD dst_unused:UNUSED_PAD src0_sel:WORD_0 src1_sel:DWORD
	v_cndmask_b32_e64 v98, v99, v98, s[28:29]
	v_cndmask_b32_e64 v91, v91, v92, s[26:27]
	;; [unrolled: 1-line block ×9, first 2 shown]
	s_barrier
	ds_write_b64 v2, v[66:67]
	s_waitcnt lgkmcnt(0)
	s_barrier
	ds_read_u8 v67, v72
	ds_read_u8 v63, v71
	;; [unrolled: 1-line block ×8, first 2 shown]
	v_lshlrev_b16_e32 v71, 8, v75
	v_lshlrev_b16_e32 v72, 8, v83
	v_cndmask_b32_e64 v74, v97, v100, s[16:17]
	v_or_b32_sdwa v71, v73, v71 dst_sel:DWORD dst_unused:UNUSED_PAD src0_sel:BYTE_0 src1_sel:DWORD
	v_or_b32_sdwa v72, v79, v72 dst_sel:WORD_1 dst_unused:UNUSED_PAD src0_sel:BYTE_0 src1_sel:DWORD
	v_lshlrev_b16_e32 v73, 8, v74
	v_or_b32_sdwa v72, v71, v72 dst_sel:DWORD dst_unused:UNUSED_PAD src0_sel:WORD_0 src1_sel:DWORD
	v_lshlrev_b16_e32 v71, 8, v91
	v_or_b32_sdwa v71, v87, v71 dst_sel:DWORD dst_unused:UNUSED_PAD src0_sel:BYTE_0 src1_sel:DWORD
	v_or_b32_sdwa v73, v95, v73 dst_sel:WORD_1 dst_unused:UNUSED_PAD src0_sel:BYTE_0 src1_sel:DWORD
	s_waitcnt lgkmcnt(0)
	v_or_b32_sdwa v73, v71, v73 dst_sel:DWORD dst_unused:UNUSED_PAD src0_sel:WORD_0 src1_sel:DWORD
	v_mov_b32_e32 v71, v54
	s_barrier
	ds_write_b64 v2, v[72:73]
	s_waitcnt lgkmcnt(0)
	s_barrier
	s_and_saveexec_b64 s[18:19], s[14:15]
	s_cbranch_execz .LBB119_262
; %bb.259:                              ;   in Loop: Header=BB119_2 Depth=1
	s_mov_b64 s[20:21], 0
	v_mov_b32_e32 v71, v54
	v_mov_b32_e32 v72, v55
.LBB119_260:                            ;   Parent Loop BB119_2 Depth=1
                                        ; =>  This Inner Loop Header: Depth=2
	v_sub_u32_e32 v73, v72, v71
	v_lshrrev_b32_e32 v74, 31, v73
	v_add_u32_e32 v73, v73, v74
	v_ashrrev_i32_e32 v73, 1, v73
	v_add_u32_e32 v73, v73, v71
	v_not_b32_e32 v74, v73
	v_add3_u32 v74, v2, v74, v47
	ds_read_u8 v75, v73
	ds_read_u8 v74, v74
	v_add_u32_e32 v76, 1, v73
	s_waitcnt lgkmcnt(0)
	v_cmp_lt_u16_e64 s[16:17], v74, v75
	s_nop 1
	v_cndmask_b32_e64 v72, v72, v73, s[16:17]
	v_cndmask_b32_e64 v71, v76, v71, s[16:17]
	v_cmp_ge_i32_e64 s[16:17], v71, v72
	s_or_b64 s[20:21], s[16:17], s[20:21]
	s_andn2_b64 exec, exec, s[20:21]
	s_cbranch_execnz .LBB119_260
; %bb.261:                              ;   in Loop: Header=BB119_2 Depth=1
	s_or_b64 exec, exec, s[20:21]
.LBB119_262:                            ;   in Loop: Header=BB119_2 Depth=1
	s_or_b64 exec, exec, s[18:19]
	v_sub_u32_e32 v72, v62, v71
	ds_read_u8 v73, v71
	ds_read_u8 v74, v72
	v_cmp_le_i32_e64 s[18:19], v47, v71
	v_cmp_gt_i32_e64 s[16:17], s91, v72
                                        ; implicit-def: $vgpr75
                                        ; implicit-def: $vgpr76
	s_waitcnt lgkmcnt(0)
	v_cmp_lt_u16_sdwa s[0:1], v74, v73 src0_sel:BYTE_0 src1_sel:BYTE_0
	s_or_b64 s[0:1], s[18:19], s[0:1]
	s_and_b64 s[16:17], s[16:17], s[0:1]
	s_xor_b64 s[0:1], s[16:17], -1
	s_and_saveexec_b64 s[18:19], s[0:1]
	s_xor_b64 s[18:19], exec, s[18:19]
	s_cbranch_execz .LBB119_264
; %bb.263:                              ;   in Loop: Header=BB119_2 Depth=1
	ds_read_u8 v76, v71 offset:1
	v_mov_b32_e32 v75, v74
.LBB119_264:                            ;   in Loop: Header=BB119_2 Depth=1
	s_andn2_saveexec_b64 s[18:19], s[18:19]
	s_cbranch_execz .LBB119_266
; %bb.265:                              ;   in Loop: Header=BB119_2 Depth=1
	ds_read_u8 v75, v72 offset:1
	s_waitcnt lgkmcnt(1)
	v_mov_b32_e32 v76, v73
.LBB119_266:                            ;   in Loop: Header=BB119_2 Depth=1
	s_or_b64 exec, exec, s[18:19]
	v_add_u32_e32 v78, 1, v71
	v_add_u32_e32 v77, 1, v72
	v_cndmask_b32_e64 v78, v78, v71, s[16:17]
	v_cndmask_b32_e64 v77, v72, v77, s[16:17]
	v_cmp_ge_i32_e64 s[20:21], v78, v47
	s_waitcnt lgkmcnt(0)
	v_cmp_lt_u16_sdwa s[0:1], v75, v76 src0_sel:BYTE_0 src1_sel:BYTE_0
	v_cmp_gt_i32_e64 s[18:19], s91, v77
	s_or_b64 s[0:1], s[20:21], s[0:1]
	s_and_b64 s[18:19], s[18:19], s[0:1]
	s_xor_b64 s[0:1], s[18:19], -1
                                        ; implicit-def: $vgpr79
	s_and_saveexec_b64 s[20:21], s[0:1]
	s_xor_b64 s[20:21], exec, s[20:21]
	s_cbranch_execz .LBB119_268
; %bb.267:                              ;   in Loop: Header=BB119_2 Depth=1
	ds_read_u8 v79, v78 offset:1
.LBB119_268:                            ;   in Loop: Header=BB119_2 Depth=1
	s_or_saveexec_b64 s[20:21], s[20:21]
	v_mov_b32_e32 v80, v75
	s_xor_b64 exec, exec, s[20:21]
	s_cbranch_execz .LBB119_270
; %bb.269:                              ;   in Loop: Header=BB119_2 Depth=1
	ds_read_u8 v80, v77 offset:1
	s_waitcnt lgkmcnt(1)
	v_mov_b32_e32 v79, v76
.LBB119_270:                            ;   in Loop: Header=BB119_2 Depth=1
	s_or_b64 exec, exec, s[20:21]
	v_add_u32_e32 v82, 1, v78
	v_add_u32_e32 v81, 1, v77
	v_cndmask_b32_e64 v82, v82, v78, s[18:19]
	v_cndmask_b32_e64 v81, v77, v81, s[18:19]
	v_cmp_ge_i32_e64 s[22:23], v82, v47
	s_waitcnt lgkmcnt(0)
	v_cmp_lt_u16_sdwa s[0:1], v80, v79 src0_sel:BYTE_0 src1_sel:BYTE_0
	v_cmp_gt_i32_e64 s[20:21], s91, v81
	s_or_b64 s[0:1], s[22:23], s[0:1]
	s_and_b64 s[20:21], s[20:21], s[0:1]
	s_xor_b64 s[0:1], s[20:21], -1
                                        ; implicit-def: $vgpr83
	s_and_saveexec_b64 s[22:23], s[0:1]
	s_xor_b64 s[22:23], exec, s[22:23]
	s_cbranch_execz .LBB119_272
; %bb.271:                              ;   in Loop: Header=BB119_2 Depth=1
	ds_read_u8 v83, v82 offset:1
.LBB119_272:                            ;   in Loop: Header=BB119_2 Depth=1
	s_or_saveexec_b64 s[22:23], s[22:23]
	v_mov_b32_e32 v84, v80
	s_xor_b64 exec, exec, s[22:23]
	s_cbranch_execz .LBB119_274
; %bb.273:                              ;   in Loop: Header=BB119_2 Depth=1
	ds_read_u8 v84, v81 offset:1
	s_waitcnt lgkmcnt(1)
	v_mov_b32_e32 v83, v79
.LBB119_274:                            ;   in Loop: Header=BB119_2 Depth=1
	s_or_b64 exec, exec, s[22:23]
	v_add_u32_e32 v86, 1, v82
	v_add_u32_e32 v85, 1, v81
	v_cndmask_b32_e64 v86, v86, v82, s[20:21]
	v_cndmask_b32_e64 v85, v81, v85, s[20:21]
	v_cmp_ge_i32_e64 s[24:25], v86, v47
	s_waitcnt lgkmcnt(0)
	v_cmp_lt_u16_sdwa s[0:1], v84, v83 src0_sel:BYTE_0 src1_sel:BYTE_0
	v_cmp_gt_i32_e64 s[22:23], s91, v85
	s_or_b64 s[0:1], s[24:25], s[0:1]
	s_and_b64 s[22:23], s[22:23], s[0:1]
	s_xor_b64 s[0:1], s[22:23], -1
                                        ; implicit-def: $vgpr87
	s_and_saveexec_b64 s[24:25], s[0:1]
	s_xor_b64 s[24:25], exec, s[24:25]
	s_cbranch_execz .LBB119_276
; %bb.275:                              ;   in Loop: Header=BB119_2 Depth=1
	ds_read_u8 v87, v86 offset:1
.LBB119_276:                            ;   in Loop: Header=BB119_2 Depth=1
	s_or_saveexec_b64 s[24:25], s[24:25]
	v_mov_b32_e32 v88, v84
	s_xor_b64 exec, exec, s[24:25]
	s_cbranch_execz .LBB119_278
; %bb.277:                              ;   in Loop: Header=BB119_2 Depth=1
	ds_read_u8 v88, v85 offset:1
	s_waitcnt lgkmcnt(1)
	v_mov_b32_e32 v87, v83
.LBB119_278:                            ;   in Loop: Header=BB119_2 Depth=1
	s_or_b64 exec, exec, s[24:25]
	v_add_u32_e32 v90, 1, v86
	v_add_u32_e32 v89, 1, v85
	v_cndmask_b32_e64 v90, v90, v86, s[22:23]
	v_cndmask_b32_e64 v89, v85, v89, s[22:23]
	v_cmp_ge_i32_e64 s[26:27], v90, v47
	s_waitcnt lgkmcnt(0)
	v_cmp_lt_u16_sdwa s[0:1], v88, v87 src0_sel:BYTE_0 src1_sel:BYTE_0
	v_cmp_gt_i32_e64 s[24:25], s91, v89
	s_or_b64 s[0:1], s[26:27], s[0:1]
	s_and_b64 s[24:25], s[24:25], s[0:1]
	s_xor_b64 s[0:1], s[24:25], -1
                                        ; implicit-def: $vgpr91
	s_and_saveexec_b64 s[26:27], s[0:1]
	s_xor_b64 s[26:27], exec, s[26:27]
	s_cbranch_execz .LBB119_280
; %bb.279:                              ;   in Loop: Header=BB119_2 Depth=1
	ds_read_u8 v91, v90 offset:1
.LBB119_280:                            ;   in Loop: Header=BB119_2 Depth=1
	s_or_saveexec_b64 s[26:27], s[26:27]
	v_mov_b32_e32 v92, v88
	s_xor_b64 exec, exec, s[26:27]
	s_cbranch_execz .LBB119_282
; %bb.281:                              ;   in Loop: Header=BB119_2 Depth=1
	ds_read_u8 v92, v89 offset:1
	s_waitcnt lgkmcnt(1)
	v_mov_b32_e32 v91, v87
.LBB119_282:                            ;   in Loop: Header=BB119_2 Depth=1
	s_or_b64 exec, exec, s[26:27]
	v_add_u32_e32 v94, 1, v90
	v_add_u32_e32 v93, 1, v89
	v_cndmask_b32_e64 v94, v94, v90, s[24:25]
	v_cndmask_b32_e64 v93, v89, v93, s[24:25]
	v_cmp_ge_i32_e64 s[28:29], v94, v47
	s_waitcnt lgkmcnt(0)
	v_cmp_lt_u16_sdwa s[0:1], v92, v91 src0_sel:BYTE_0 src1_sel:BYTE_0
	v_cmp_gt_i32_e64 s[26:27], s91, v93
	s_or_b64 s[0:1], s[28:29], s[0:1]
	s_and_b64 s[26:27], s[26:27], s[0:1]
	s_xor_b64 s[0:1], s[26:27], -1
                                        ; implicit-def: $vgpr95
	s_and_saveexec_b64 s[28:29], s[0:1]
	s_xor_b64 s[28:29], exec, s[28:29]
	s_cbranch_execz .LBB119_284
; %bb.283:                              ;   in Loop: Header=BB119_2 Depth=1
	ds_read_u8 v95, v94 offset:1
.LBB119_284:                            ;   in Loop: Header=BB119_2 Depth=1
	s_or_saveexec_b64 s[28:29], s[28:29]
	v_mov_b32_e32 v96, v92
	s_xor_b64 exec, exec, s[28:29]
	s_cbranch_execz .LBB119_286
; %bb.285:                              ;   in Loop: Header=BB119_2 Depth=1
	ds_read_u8 v96, v93 offset:1
	s_waitcnt lgkmcnt(1)
	v_mov_b32_e32 v95, v91
.LBB119_286:                            ;   in Loop: Header=BB119_2 Depth=1
	s_or_b64 exec, exec, s[28:29]
	v_add_u32_e32 v98, 1, v94
	v_add_u32_e32 v97, 1, v93
	v_cndmask_b32_e64 v101, v98, v94, s[26:27]
	v_cndmask_b32_e64 v97, v93, v97, s[26:27]
	v_cmp_ge_i32_e64 s[30:31], v101, v47
	s_waitcnt lgkmcnt(0)
	v_cmp_lt_u16_sdwa s[0:1], v96, v95 src0_sel:BYTE_0 src1_sel:BYTE_0
	v_cmp_gt_i32_e64 s[28:29], s91, v97
	s_or_b64 s[0:1], s[30:31], s[0:1]
	s_and_b64 s[28:29], s[28:29], s[0:1]
	s_xor_b64 s[0:1], s[28:29], -1
                                        ; implicit-def: $vgpr100
                                        ; implicit-def: $vgpr99
	s_and_saveexec_b64 s[30:31], s[0:1]
	s_xor_b64 s[30:31], exec, s[30:31]
	s_cbranch_execz .LBB119_288
; %bb.287:                              ;   in Loop: Header=BB119_2 Depth=1
	ds_read_u8 v100, v101 offset:1
	v_add_u32_e32 v99, 1, v101
.LBB119_288:                            ;   in Loop: Header=BB119_2 Depth=1
	s_or_saveexec_b64 s[30:31], s[30:31]
	v_mov_b32_e32 v98, v101
	v_mov_b32_e32 v102, v96
	s_xor_b64 exec, exec, s[30:31]
	s_cbranch_execz .LBB119_1
; %bb.289:                              ;   in Loop: Header=BB119_2 Depth=1
	ds_read_u8 v102, v97 offset:1
	s_waitcnt lgkmcnt(1)
	v_add_u32_e32 v100, 1, v97
	v_mov_b32_e32 v98, v97
	v_mov_b32_e32 v99, v101
	;; [unrolled: 1-line block ×4, first 2 shown]
	s_branch .LBB119_1
.LBB119_290:
	v_readlane_b32 s0, v103, 0
	v_readlane_b32 s2, v103, 2
	;; [unrolled: 1-line block ×4, first 2 shown]
	s_add_u32 s0, s2, s33
	s_addc_u32 s1, s3, 0
	v_add_u16_e32 v2, v73, v69
	v_lshl_add_u64 v[0:1], s[0:1], 0, v[0:1]
	v_add_u16_e32 v3, v74, v70
	v_add_u16_e32 v4, v75, v72
	v_add_u16_e32 v5, v76, v77
	v_add_u16_e32 v6, v79, v78
	v_add_u16_e32 v7, v80, v81
	v_add_u16_e32 v8, v83, v67
	v_add_u16_e32 v9, v71, v68
	global_store_byte v[0:1], v2, off
	global_store_byte v[0:1], v3, off offset:512
	global_store_byte v[0:1], v4, off offset:1024
	;; [unrolled: 1-line block ×7, first 2 shown]
	s_endpgm
	.section	.rodata,"a",@progbits
	.p2align	6, 0x0
	.amdhsa_kernel _Z17sort_pairs_kernelIhLj512ELj8EN10test_utils4lessELj10EEvPKT_PS2_T2_
		.amdhsa_group_segment_fixed_size 4097
		.amdhsa_private_segment_fixed_size 0
		.amdhsa_kernarg_size 20
		.amdhsa_user_sgpr_count 2
		.amdhsa_user_sgpr_dispatch_ptr 0
		.amdhsa_user_sgpr_queue_ptr 0
		.amdhsa_user_sgpr_kernarg_segment_ptr 1
		.amdhsa_user_sgpr_dispatch_id 0
		.amdhsa_user_sgpr_kernarg_preload_length 0
		.amdhsa_user_sgpr_kernarg_preload_offset 0
		.amdhsa_user_sgpr_private_segment_size 0
		.amdhsa_uses_dynamic_stack 0
		.amdhsa_enable_private_segment 0
		.amdhsa_system_sgpr_workgroup_id_x 1
		.amdhsa_system_sgpr_workgroup_id_y 0
		.amdhsa_system_sgpr_workgroup_id_z 0
		.amdhsa_system_sgpr_workgroup_info 0
		.amdhsa_system_vgpr_workitem_id 0
		.amdhsa_next_free_vgpr 104
		.amdhsa_next_free_sgpr 100
		.amdhsa_accum_offset 104
		.amdhsa_reserve_vcc 1
		.amdhsa_float_round_mode_32 0
		.amdhsa_float_round_mode_16_64 0
		.amdhsa_float_denorm_mode_32 3
		.amdhsa_float_denorm_mode_16_64 3
		.amdhsa_dx10_clamp 1
		.amdhsa_ieee_mode 1
		.amdhsa_fp16_overflow 0
		.amdhsa_tg_split 0
		.amdhsa_exception_fp_ieee_invalid_op 0
		.amdhsa_exception_fp_denorm_src 0
		.amdhsa_exception_fp_ieee_div_zero 0
		.amdhsa_exception_fp_ieee_overflow 0
		.amdhsa_exception_fp_ieee_underflow 0
		.amdhsa_exception_fp_ieee_inexact 0
		.amdhsa_exception_int_div_zero 0
	.end_amdhsa_kernel
	.section	.text._Z17sort_pairs_kernelIhLj512ELj8EN10test_utils4lessELj10EEvPKT_PS2_T2_,"axG",@progbits,_Z17sort_pairs_kernelIhLj512ELj8EN10test_utils4lessELj10EEvPKT_PS2_T2_,comdat
.Lfunc_end119:
	.size	_Z17sort_pairs_kernelIhLj512ELj8EN10test_utils4lessELj10EEvPKT_PS2_T2_, .Lfunc_end119-_Z17sort_pairs_kernelIhLj512ELj8EN10test_utils4lessELj10EEvPKT_PS2_T2_
                                        ; -- End function
	.section	.AMDGPU.csdata,"",@progbits
; Kernel info:
; codeLenInByte = 15544
; NumSgprs: 106
; NumVgprs: 104
; NumAgprs: 0
; TotalNumVgprs: 104
; ScratchSize: 0
; MemoryBound: 0
; FloatMode: 240
; IeeeMode: 1
; LDSByteSize: 4097 bytes/workgroup (compile time only)
; SGPRBlocks: 13
; VGPRBlocks: 12
; NumSGPRsForWavesPerEU: 106
; NumVGPRsForWavesPerEU: 104
; AccumOffset: 104
; Occupancy: 4
; WaveLimiterHint : 1
; COMPUTE_PGM_RSRC2:SCRATCH_EN: 0
; COMPUTE_PGM_RSRC2:USER_SGPR: 2
; COMPUTE_PGM_RSRC2:TRAP_HANDLER: 0
; COMPUTE_PGM_RSRC2:TGID_X_EN: 1
; COMPUTE_PGM_RSRC2:TGID_Y_EN: 0
; COMPUTE_PGM_RSRC2:TGID_Z_EN: 0
; COMPUTE_PGM_RSRC2:TIDIG_COMP_CNT: 0
; COMPUTE_PGM_RSRC3_GFX90A:ACCUM_OFFSET: 25
; COMPUTE_PGM_RSRC3_GFX90A:TG_SPLIT: 0
	.section	.text._Z16sort_keys_kernelIxLj64ELj1EN10test_utils4lessELj10EEvPKT_PS2_T2_,"axG",@progbits,_Z16sort_keys_kernelIxLj64ELj1EN10test_utils4lessELj10EEvPKT_PS2_T2_,comdat
	.protected	_Z16sort_keys_kernelIxLj64ELj1EN10test_utils4lessELj10EEvPKT_PS2_T2_ ; -- Begin function _Z16sort_keys_kernelIxLj64ELj1EN10test_utils4lessELj10EEvPKT_PS2_T2_
	.globl	_Z16sort_keys_kernelIxLj64ELj1EN10test_utils4lessELj10EEvPKT_PS2_T2_
	.p2align	8
	.type	_Z16sort_keys_kernelIxLj64ELj1EN10test_utils4lessELj10EEvPKT_PS2_T2_,@function
_Z16sort_keys_kernelIxLj64ELj1EN10test_utils4lessELj10EEvPKT_PS2_T2_: ; @_Z16sort_keys_kernelIxLj64ELj1EN10test_utils4lessELj10EEvPKT_PS2_T2_
; %bb.0:
	s_load_dwordx4 s[16:19], s[0:1], 0x0
	s_lshl_b32 s20, s2, 6
	s_mov_b32 s21, 0
	s_lshl_b64 s[22:23], s[20:21], 3
	v_lshlrev_b32_e32 v1, 3, v0
	s_waitcnt lgkmcnt(0)
	s_add_u32 s0, s16, s22
	s_addc_u32 s1, s17, s23
	global_load_dwordx2 v[2:3], v1, s[0:1]
	v_and_b32_e32 v15, 60, v0
	v_and_b32_e32 v23, 56, v0
	v_and_b32_e32 v31, 48, v0
	v_and_b32_e32 v39, 32, v0
	v_and_b32_e32 v7, 62, v0
	v_or_b32_e32 v19, 2, v15
	v_add_u32_e32 v13, 4, v15
	v_or_b32_e32 v27, 4, v23
	v_add_u32_e32 v21, 8, v23
	v_or_b32_e32 v35, 8, v31
	v_add_u32_e32 v29, 16, v31
	v_or_b32_e32 v43, 16, v39
	v_add_u32_e32 v37, 32, v39
	v_and_b32_e32 v4, 1, v0
	v_or_b32_e32 v5, 1, v7
	v_and_b32_e32 v12, 3, v0
	v_sub_u32_e32 v17, v13, v19
	v_and_b32_e32 v20, 7, v0
	v_sub_u32_e32 v25, v21, v27
	;; [unrolled: 2-line block ×4, first 2 shown]
	v_sub_u32_e32 v6, v5, v7
	v_add_u32_e32 v9, -1, v4
	v_cmp_lt_i32_e32 vcc, 0, v4
	v_sub_u32_e32 v14, v19, v15
	v_sub_u32_e32 v18, v12, v17
	v_cmp_ge_i32_e64 s[0:1], v12, v17
	v_sub_u32_e32 v22, v27, v23
	v_sub_u32_e32 v26, v20, v25
	v_cmp_ge_i32_e64 s[2:3], v20, v25
	;; [unrolled: 3-line block ×4, first 2 shown]
	v_cndmask_b32_e32 v9, 0, v9, vcc
	v_min_i32_e32 v10, v4, v6
	v_cndmask_b32_e64 v17, 0, v18, s[0:1]
	v_min_i32_e32 v18, v12, v14
	v_cndmask_b32_e64 v25, 0, v26, s[2:3]
	;; [unrolled: 2-line block ×4, first 2 shown]
	v_min_i32_e32 v42, v36, v38
	v_sub_u32_e64 v45, v0, 32 clamp
	v_min_i32_e32 v46, 32, v0
	v_lshlrev_b32_e32 v7, 3, v7
	v_lshlrev_b32_e32 v8, 3, v5
	v_cmp_lt_i32_e32 vcc, v9, v10
	v_add_u32_e32 v11, v5, v4
	v_lshlrev_b32_e32 v15, 3, v15
	v_lshlrev_b32_e32 v16, 3, v19
	v_cmp_lt_i32_e64 s[0:1], v17, v18
	v_add_u32_e32 v19, v19, v12
	v_lshlrev_b32_e32 v23, 3, v23
	v_lshlrev_b32_e32 v24, 3, v27
	v_cmp_lt_i32_e64 s[2:3], v25, v26
	;; [unrolled: 4-line block ×4, first 2 shown]
	v_add_u32_e32 v43, v43, v36
	v_mov_b32_e32 v44, 0x100
	v_cmp_lt_i32_e64 s[8:9], v45, v46
	v_add_u32_e32 v47, 32, v0
	s_branch .LBB120_2
.LBB120_1:                              ;   in Loop: Header=BB120_2 Depth=1
	s_or_b64 exec, exec, s[12:13]
	v_sub_u32_e32 v3, v47, v2
	v_lshlrev_b32_e32 v48, 3, v2
	v_lshlrev_b32_e32 v50, 3, v3
	ds_read_b64 v[48:49], v48
	ds_read_b64 v[50:51], v50
	v_cmp_le_i32_e64 s[10:11], 32, v2
	v_cmp_gt_i32_e64 s[12:13], 64, v3
	s_add_i32 s21, s21, 1
	s_waitcnt lgkmcnt(0)
	v_cmp_lt_i64_e64 s[14:15], v[50:51], v[48:49]
	s_or_b64 s[10:11], s[10:11], s[14:15]
	s_and_b64 s[10:11], s[12:13], s[10:11]
	v_cndmask_b32_e64 v3, v49, v51, s[10:11]
	s_cmp_eq_u32 s21, 10
	v_cndmask_b32_e64 v2, v48, v50, s[10:11]
	s_cbranch_scc1 .LBB120_26
.LBB120_2:                              ; =>This Loop Header: Depth=1
                                        ;     Child Loop BB120_4 Depth 2
                                        ;     Child Loop BB120_8 Depth 2
	;; [unrolled: 1-line block ×6, first 2 shown]
	s_waitcnt lgkmcnt(0)
	; wave barrier
	s_waitcnt vmcnt(0)
	ds_write_b64 v1, v[2:3]
	v_mov_b32_e32 v2, v9
	s_waitcnt lgkmcnt(0)
	; wave barrier
	s_waitcnt lgkmcnt(0)
	s_and_saveexec_b64 s[12:13], vcc
	s_cbranch_execz .LBB120_6
; %bb.3:                                ;   in Loop: Header=BB120_2 Depth=1
	s_mov_b64 s[14:15], 0
	v_mov_b32_e32 v2, v9
	v_mov_b32_e32 v3, v10
.LBB120_4:                              ;   Parent Loop BB120_2 Depth=1
                                        ; =>  This Inner Loop Header: Depth=2
	v_sub_u32_e32 v48, v3, v2
	v_lshrrev_b32_e32 v49, 31, v48
	v_add_u32_e32 v48, v48, v49
	v_ashrrev_i32_e32 v48, 1, v48
	v_add_u32_e32 v52, v48, v2
	v_xad_u32 v49, v52, -1, v4
	v_lshl_add_u32 v48, v52, 3, v7
	v_lshl_add_u32 v50, v49, 3, v8
	ds_read_b64 v[48:49], v48
	ds_read_b64 v[50:51], v50
	v_add_u32_e32 v53, 1, v52
	s_waitcnt lgkmcnt(0)
	v_cmp_lt_i64_e64 s[10:11], v[50:51], v[48:49]
	s_nop 1
	v_cndmask_b32_e64 v3, v3, v52, s[10:11]
	v_cndmask_b32_e64 v2, v53, v2, s[10:11]
	v_cmp_ge_i32_e64 s[10:11], v2, v3
	s_or_b64 s[14:15], s[10:11], s[14:15]
	s_andn2_b64 exec, exec, s[14:15]
	s_cbranch_execnz .LBB120_4
; %bb.5:                                ;   in Loop: Header=BB120_2 Depth=1
	s_or_b64 exec, exec, s[14:15]
.LBB120_6:                              ;   in Loop: Header=BB120_2 Depth=1
	s_or_b64 exec, exec, s[12:13]
	v_sub_u32_e32 v3, v11, v2
	v_lshl_add_u32 v48, v2, 3, v7
	v_lshlrev_b32_e32 v50, 3, v3
	ds_read_b64 v[48:49], v48
	ds_read_b64 v[50:51], v50
	v_cmp_ge_i32_e64 s[10:11], v2, v6
	v_cmp_ge_i32_e64 s[12:13], v5, v3
	s_waitcnt lgkmcnt(0)
	; wave barrier
	s_waitcnt lgkmcnt(0)
	v_cmp_lt_i64_e64 s[14:15], v[50:51], v[48:49]
	s_or_b64 s[10:11], s[10:11], s[14:15]
	s_and_b64 s[10:11], s[12:13], s[10:11]
	v_cndmask_b32_e64 v3, v49, v51, s[10:11]
	v_cndmask_b32_e64 v2, v48, v50, s[10:11]
	ds_write_b64 v1, v[2:3]
	v_mov_b32_e32 v2, v17
	s_waitcnt lgkmcnt(0)
	; wave barrier
	s_waitcnt lgkmcnt(0)
	s_and_saveexec_b64 s[12:13], s[0:1]
	s_cbranch_execz .LBB120_10
; %bb.7:                                ;   in Loop: Header=BB120_2 Depth=1
	s_mov_b64 s[14:15], 0
	v_mov_b32_e32 v2, v17
	v_mov_b32_e32 v3, v18
.LBB120_8:                              ;   Parent Loop BB120_2 Depth=1
                                        ; =>  This Inner Loop Header: Depth=2
	v_sub_u32_e32 v48, v3, v2
	v_lshrrev_b32_e32 v49, 31, v48
	v_add_u32_e32 v48, v48, v49
	v_ashrrev_i32_e32 v48, 1, v48
	v_add_u32_e32 v52, v48, v2
	v_xad_u32 v49, v52, -1, v12
	v_lshl_add_u32 v48, v52, 3, v15
	v_lshl_add_u32 v50, v49, 3, v16
	ds_read_b64 v[48:49], v48
	ds_read_b64 v[50:51], v50
	v_add_u32_e32 v53, 1, v52
	s_waitcnt lgkmcnt(0)
	v_cmp_lt_i64_e64 s[10:11], v[50:51], v[48:49]
	s_nop 1
	v_cndmask_b32_e64 v3, v3, v52, s[10:11]
	v_cndmask_b32_e64 v2, v53, v2, s[10:11]
	v_cmp_ge_i32_e64 s[10:11], v2, v3
	s_or_b64 s[14:15], s[10:11], s[14:15]
	s_andn2_b64 exec, exec, s[14:15]
	s_cbranch_execnz .LBB120_8
; %bb.9:                                ;   in Loop: Header=BB120_2 Depth=1
	s_or_b64 exec, exec, s[14:15]
.LBB120_10:                             ;   in Loop: Header=BB120_2 Depth=1
	s_or_b64 exec, exec, s[12:13]
	v_sub_u32_e32 v3, v19, v2
	v_lshl_add_u32 v48, v2, 3, v15
	v_lshlrev_b32_e32 v50, 3, v3
	ds_read_b64 v[48:49], v48
	ds_read_b64 v[50:51], v50
	v_cmp_ge_i32_e64 s[10:11], v2, v14
	v_cmp_gt_i32_e64 s[12:13], v13, v3
	s_waitcnt lgkmcnt(0)
	; wave barrier
	s_waitcnt lgkmcnt(0)
	v_cmp_lt_i64_e64 s[14:15], v[50:51], v[48:49]
	s_or_b64 s[10:11], s[10:11], s[14:15]
	s_and_b64 s[10:11], s[12:13], s[10:11]
	v_cndmask_b32_e64 v3, v49, v51, s[10:11]
	v_cndmask_b32_e64 v2, v48, v50, s[10:11]
	ds_write_b64 v1, v[2:3]
	v_mov_b32_e32 v2, v25
	s_waitcnt lgkmcnt(0)
	; wave barrier
	s_waitcnt lgkmcnt(0)
	s_and_saveexec_b64 s[12:13], s[2:3]
	s_cbranch_execz .LBB120_14
; %bb.11:                               ;   in Loop: Header=BB120_2 Depth=1
	s_mov_b64 s[14:15], 0
	v_mov_b32_e32 v2, v25
	v_mov_b32_e32 v3, v26
.LBB120_12:                             ;   Parent Loop BB120_2 Depth=1
                                        ; =>  This Inner Loop Header: Depth=2
	v_sub_u32_e32 v48, v3, v2
	v_lshrrev_b32_e32 v49, 31, v48
	v_add_u32_e32 v48, v48, v49
	v_ashrrev_i32_e32 v48, 1, v48
	v_add_u32_e32 v52, v48, v2
	v_xad_u32 v49, v52, -1, v20
	v_lshl_add_u32 v48, v52, 3, v23
	v_lshl_add_u32 v50, v49, 3, v24
	ds_read_b64 v[48:49], v48
	ds_read_b64 v[50:51], v50
	v_add_u32_e32 v53, 1, v52
	s_waitcnt lgkmcnt(0)
	v_cmp_lt_i64_e64 s[10:11], v[50:51], v[48:49]
	s_nop 1
	v_cndmask_b32_e64 v3, v3, v52, s[10:11]
	v_cndmask_b32_e64 v2, v53, v2, s[10:11]
	v_cmp_ge_i32_e64 s[10:11], v2, v3
	s_or_b64 s[14:15], s[10:11], s[14:15]
	s_andn2_b64 exec, exec, s[14:15]
	s_cbranch_execnz .LBB120_12
; %bb.13:                               ;   in Loop: Header=BB120_2 Depth=1
	s_or_b64 exec, exec, s[14:15]
.LBB120_14:                             ;   in Loop: Header=BB120_2 Depth=1
	s_or_b64 exec, exec, s[12:13]
	v_sub_u32_e32 v3, v27, v2
	v_lshl_add_u32 v48, v2, 3, v23
	v_lshlrev_b32_e32 v50, 3, v3
	ds_read_b64 v[48:49], v48
	ds_read_b64 v[50:51], v50
	v_cmp_ge_i32_e64 s[10:11], v2, v22
	v_cmp_gt_i32_e64 s[12:13], v21, v3
	s_waitcnt lgkmcnt(0)
	; wave barrier
	s_waitcnt lgkmcnt(0)
	v_cmp_lt_i64_e64 s[14:15], v[50:51], v[48:49]
	s_or_b64 s[10:11], s[10:11], s[14:15]
	s_and_b64 s[10:11], s[12:13], s[10:11]
	v_cndmask_b32_e64 v3, v49, v51, s[10:11]
	v_cndmask_b32_e64 v2, v48, v50, s[10:11]
	ds_write_b64 v1, v[2:3]
	v_mov_b32_e32 v2, v33
	s_waitcnt lgkmcnt(0)
	; wave barrier
	s_waitcnt lgkmcnt(0)
	s_and_saveexec_b64 s[12:13], s[4:5]
	s_cbranch_execz .LBB120_18
; %bb.15:                               ;   in Loop: Header=BB120_2 Depth=1
	s_mov_b64 s[14:15], 0
	v_mov_b32_e32 v2, v33
	v_mov_b32_e32 v3, v34
.LBB120_16:                             ;   Parent Loop BB120_2 Depth=1
                                        ; =>  This Inner Loop Header: Depth=2
	v_sub_u32_e32 v48, v3, v2
	v_lshrrev_b32_e32 v49, 31, v48
	v_add_u32_e32 v48, v48, v49
	v_ashrrev_i32_e32 v48, 1, v48
	v_add_u32_e32 v52, v48, v2
	v_xad_u32 v49, v52, -1, v28
	v_lshl_add_u32 v48, v52, 3, v31
	v_lshl_add_u32 v50, v49, 3, v32
	ds_read_b64 v[48:49], v48
	ds_read_b64 v[50:51], v50
	v_add_u32_e32 v53, 1, v52
	s_waitcnt lgkmcnt(0)
	v_cmp_lt_i64_e64 s[10:11], v[50:51], v[48:49]
	s_nop 1
	v_cndmask_b32_e64 v3, v3, v52, s[10:11]
	v_cndmask_b32_e64 v2, v53, v2, s[10:11]
	v_cmp_ge_i32_e64 s[10:11], v2, v3
	s_or_b64 s[14:15], s[10:11], s[14:15]
	s_andn2_b64 exec, exec, s[14:15]
	s_cbranch_execnz .LBB120_16
; %bb.17:                               ;   in Loop: Header=BB120_2 Depth=1
	s_or_b64 exec, exec, s[14:15]
.LBB120_18:                             ;   in Loop: Header=BB120_2 Depth=1
	;; [unrolled: 52-line block ×3, first 2 shown]
	s_or_b64 exec, exec, s[12:13]
	v_sub_u32_e32 v3, v43, v2
	v_lshl_add_u32 v48, v2, 3, v39
	v_lshlrev_b32_e32 v50, 3, v3
	ds_read_b64 v[48:49], v48
	ds_read_b64 v[50:51], v50
	v_cmp_ge_i32_e64 s[10:11], v2, v38
	v_cmp_gt_i32_e64 s[12:13], v37, v3
	s_waitcnt lgkmcnt(0)
	; wave barrier
	s_waitcnt lgkmcnt(0)
	v_cmp_lt_i64_e64 s[14:15], v[50:51], v[48:49]
	s_or_b64 s[10:11], s[10:11], s[14:15]
	s_and_b64 s[10:11], s[12:13], s[10:11]
	v_cndmask_b32_e64 v3, v49, v51, s[10:11]
	v_cndmask_b32_e64 v2, v48, v50, s[10:11]
	ds_write_b64 v1, v[2:3]
	v_mov_b32_e32 v2, v45
	s_waitcnt lgkmcnt(0)
	; wave barrier
	s_waitcnt lgkmcnt(0)
	s_and_saveexec_b64 s[12:13], s[8:9]
	s_cbranch_execz .LBB120_1
; %bb.23:                               ;   in Loop: Header=BB120_2 Depth=1
	s_mov_b64 s[14:15], 0
	v_mov_b32_e32 v2, v45
	v_mov_b32_e32 v3, v46
.LBB120_24:                             ;   Parent Loop BB120_2 Depth=1
                                        ; =>  This Inner Loop Header: Depth=2
	v_sub_u32_e32 v48, v3, v2
	v_lshrrev_b32_e32 v49, 31, v48
	v_add_u32_e32 v48, v48, v49
	v_ashrrev_i32_e32 v48, 1, v48
	v_add_u32_e32 v52, v48, v2
	v_xad_u32 v49, v52, -1, v0
	v_lshlrev_b32_e32 v48, 3, v52
	v_lshl_add_u32 v50, v49, 3, v44
	ds_read_b64 v[48:49], v48
	ds_read_b64 v[50:51], v50
	v_add_u32_e32 v53, 1, v52
	s_waitcnt lgkmcnt(0)
	v_cmp_lt_i64_e64 s[10:11], v[50:51], v[48:49]
	s_nop 1
	v_cndmask_b32_e64 v3, v3, v52, s[10:11]
	v_cndmask_b32_e64 v2, v53, v2, s[10:11]
	v_cmp_ge_i32_e64 s[10:11], v2, v3
	s_or_b64 s[14:15], s[10:11], s[14:15]
	s_andn2_b64 exec, exec, s[14:15]
	s_cbranch_execnz .LBB120_24
; %bb.25:                               ;   in Loop: Header=BB120_2 Depth=1
	s_or_b64 exec, exec, s[14:15]
	s_branch .LBB120_1
.LBB120_26:
	s_add_u32 s0, s18, s22
	s_addc_u32 s1, s19, s23
	v_lshlrev_b32_e32 v0, 3, v0
	global_store_dwordx2 v0, v[2:3], s[0:1]
	s_endpgm
	.section	.rodata,"a",@progbits
	.p2align	6, 0x0
	.amdhsa_kernel _Z16sort_keys_kernelIxLj64ELj1EN10test_utils4lessELj10EEvPKT_PS2_T2_
		.amdhsa_group_segment_fixed_size 520
		.amdhsa_private_segment_fixed_size 0
		.amdhsa_kernarg_size 20
		.amdhsa_user_sgpr_count 2
		.amdhsa_user_sgpr_dispatch_ptr 0
		.amdhsa_user_sgpr_queue_ptr 0
		.amdhsa_user_sgpr_kernarg_segment_ptr 1
		.amdhsa_user_sgpr_dispatch_id 0
		.amdhsa_user_sgpr_kernarg_preload_length 0
		.amdhsa_user_sgpr_kernarg_preload_offset 0
		.amdhsa_user_sgpr_private_segment_size 0
		.amdhsa_uses_dynamic_stack 0
		.amdhsa_enable_private_segment 0
		.amdhsa_system_sgpr_workgroup_id_x 1
		.amdhsa_system_sgpr_workgroup_id_y 0
		.amdhsa_system_sgpr_workgroup_id_z 0
		.amdhsa_system_sgpr_workgroup_info 0
		.amdhsa_system_vgpr_workitem_id 0
		.amdhsa_next_free_vgpr 54
		.amdhsa_next_free_sgpr 24
		.amdhsa_accum_offset 56
		.amdhsa_reserve_vcc 1
		.amdhsa_float_round_mode_32 0
		.amdhsa_float_round_mode_16_64 0
		.amdhsa_float_denorm_mode_32 3
		.amdhsa_float_denorm_mode_16_64 3
		.amdhsa_dx10_clamp 1
		.amdhsa_ieee_mode 1
		.amdhsa_fp16_overflow 0
		.amdhsa_tg_split 0
		.amdhsa_exception_fp_ieee_invalid_op 0
		.amdhsa_exception_fp_denorm_src 0
		.amdhsa_exception_fp_ieee_div_zero 0
		.amdhsa_exception_fp_ieee_overflow 0
		.amdhsa_exception_fp_ieee_underflow 0
		.amdhsa_exception_fp_ieee_inexact 0
		.amdhsa_exception_int_div_zero 0
	.end_amdhsa_kernel
	.section	.text._Z16sort_keys_kernelIxLj64ELj1EN10test_utils4lessELj10EEvPKT_PS2_T2_,"axG",@progbits,_Z16sort_keys_kernelIxLj64ELj1EN10test_utils4lessELj10EEvPKT_PS2_T2_,comdat
.Lfunc_end120:
	.size	_Z16sort_keys_kernelIxLj64ELj1EN10test_utils4lessELj10EEvPKT_PS2_T2_, .Lfunc_end120-_Z16sort_keys_kernelIxLj64ELj1EN10test_utils4lessELj10EEvPKT_PS2_T2_
                                        ; -- End function
	.section	.AMDGPU.csdata,"",@progbits
; Kernel info:
; codeLenInByte = 1948
; NumSgprs: 30
; NumVgprs: 54
; NumAgprs: 0
; TotalNumVgprs: 54
; ScratchSize: 0
; MemoryBound: 0
; FloatMode: 240
; IeeeMode: 1
; LDSByteSize: 520 bytes/workgroup (compile time only)
; SGPRBlocks: 3
; VGPRBlocks: 6
; NumSGPRsForWavesPerEU: 30
; NumVGPRsForWavesPerEU: 54
; AccumOffset: 56
; Occupancy: 8
; WaveLimiterHint : 0
; COMPUTE_PGM_RSRC2:SCRATCH_EN: 0
; COMPUTE_PGM_RSRC2:USER_SGPR: 2
; COMPUTE_PGM_RSRC2:TRAP_HANDLER: 0
; COMPUTE_PGM_RSRC2:TGID_X_EN: 1
; COMPUTE_PGM_RSRC2:TGID_Y_EN: 0
; COMPUTE_PGM_RSRC2:TGID_Z_EN: 0
; COMPUTE_PGM_RSRC2:TIDIG_COMP_CNT: 0
; COMPUTE_PGM_RSRC3_GFX90A:ACCUM_OFFSET: 13
; COMPUTE_PGM_RSRC3_GFX90A:TG_SPLIT: 0
	.section	.text._Z17sort_pairs_kernelIxLj64ELj1EN10test_utils4lessELj10EEvPKT_PS2_T2_,"axG",@progbits,_Z17sort_pairs_kernelIxLj64ELj1EN10test_utils4lessELj10EEvPKT_PS2_T2_,comdat
	.protected	_Z17sort_pairs_kernelIxLj64ELj1EN10test_utils4lessELj10EEvPKT_PS2_T2_ ; -- Begin function _Z17sort_pairs_kernelIxLj64ELj1EN10test_utils4lessELj10EEvPKT_PS2_T2_
	.globl	_Z17sort_pairs_kernelIxLj64ELj1EN10test_utils4lessELj10EEvPKT_PS2_T2_
	.p2align	8
	.type	_Z17sort_pairs_kernelIxLj64ELj1EN10test_utils4lessELj10EEvPKT_PS2_T2_,@function
_Z17sort_pairs_kernelIxLj64ELj1EN10test_utils4lessELj10EEvPKT_PS2_T2_: ; @_Z17sort_pairs_kernelIxLj64ELj1EN10test_utils4lessELj10EEvPKT_PS2_T2_
; %bb.0:
	s_load_dwordx4 s[16:19], s[0:1], 0x0
	s_lshl_b32 s20, s2, 6
	s_mov_b32 s21, 0
	s_lshl_b64 s[22:23], s[20:21], 3
	v_lshlrev_b32_e32 v1, 3, v0
	s_waitcnt lgkmcnt(0)
	s_add_u32 s0, s16, s22
	s_addc_u32 s1, s17, s23
	global_load_dwordx2 v[2:3], v1, s[0:1]
	v_and_b32_e32 v7, 62, v0
	v_and_b32_e32 v9, 60, v0
	;; [unrolled: 1-line block ×4, first 2 shown]
	v_or_b32_e32 v19, 1, v7
	v_or_b32_e32 v21, 2, v9
	v_add_u32_e32 v22, 4, v9
	v_and_b32_e32 v10, 3, v0
	v_and_b32_e32 v13, 48, v0
	v_add_u32_e32 v4, -1, v8
	v_or_b32_e32 v24, 4, v11
	v_add_u32_e32 v25, 8, v11
	v_sub_u32_e32 v5, v19, v7
	v_cmp_lt_i32_e64 s[0:1], 0, v8
	v_sub_u32_e32 v49, v22, v21
	v_and_b32_e32 v12, 7, v0
	v_and_b32_e32 v15, 32, v0
	v_or_b32_e32 v27, 8, v13
	v_add_u32_e32 v28, 16, v13
	v_cndmask_b32_e64 v34, 0, v4, s[0:1]
	v_sub_u32_e32 v4, v21, v9
	v_sub_u32_e32 v50, v25, v24
	v_min_i32_e32 v44, v8, v5
	v_sub_u32_e32 v5, v10, v49
	v_cmp_ge_i32_e64 s[2:3], v10, v49
	v_and_b32_e32 v14, 15, v0
	v_or_b32_e32 v30, 16, v15
	v_add_u32_e32 v31, 32, v15
	v_sub_u32_e32 v51, v28, v27
	v_min_i32_e32 v45, v10, v4
	v_sub_u32_e32 v4, v12, v50
	v_cndmask_b32_e64 v49, 0, v5, s[2:3]
	v_cmp_ge_i32_e64 s[2:3], v12, v50
	v_and_b32_e32 v16, 31, v0
	v_sub_u32_e32 v52, v31, v30
	v_sub_u32_e32 v53, v14, v51
	v_cndmask_b32_e64 v50, 0, v4, s[2:3]
	v_cmp_ge_i32_e64 s[2:3], v14, v51
	v_sub_u32_e32 v46, v24, v11
	v_sub_u32_e32 v47, v27, v13
	v_sub_u32_e32 v48, v30, v15
	v_sub_u32_e32 v54, v16, v52
	v_cndmask_b32_e64 v51, 0, v53, s[2:3]
	v_cmp_ge_i32_e64 s[2:3], v16, v52
	v_sub_u32_e64 v17, v0, 32 clamp
	v_min_i32_e32 v18, 32, v0
	v_min_i32_e32 v46, v12, v46
	;; [unrolled: 1-line block ×4, first 2 shown]
	v_cndmask_b32_e64 v52, 0, v54, s[2:3]
	v_mov_b32_e32 v6, 0x100
	v_lshlrev_b32_e32 v20, 3, v7
	v_lshlrev_b32_e32 v23, 3, v9
	;; [unrolled: 1-line block ×5, first 2 shown]
	v_cmp_lt_i32_e32 vcc, v17, v18
	v_lshlrev_b32_e32 v33, 3, v19
	v_add_u32_e32 v35, v19, v8
	v_lshlrev_b32_e32 v36, 3, v21
	v_add_u32_e32 v37, v21, v10
	;; [unrolled: 2-line block ×5, first 2 shown]
	v_cmp_lt_i32_e64 s[0:1], v34, v44
	v_cmp_lt_i32_e64 s[2:3], v49, v45
	;; [unrolled: 1-line block ×5, first 2 shown]
	v_add_u32_e32 v53, 32, v0
	s_waitcnt vmcnt(0)
	v_lshl_add_u64 v[4:5], v[2:3], 0, 1
	s_branch .LBB121_2
.LBB121_1:                              ;   in Loop: Header=BB121_2 Depth=1
	s_or_b64 exec, exec, s[12:13]
	v_sub_u32_e32 v58, v53, v2
	v_lshlrev_b32_e32 v3, 3, v2
	v_lshlrev_b32_e32 v56, 3, v58
	ds_read_b64 v[54:55], v3
	ds_read_b64 v[56:57], v56
	v_cmp_le_i32_e64 s[10:11], 32, v2
	v_cmp_gt_i32_e64 s[12:13], 64, v58
	s_waitcnt lgkmcnt(0)
	; wave barrier
	s_waitcnt lgkmcnt(0)
	v_cmp_lt_i64_e64 s[14:15], v[56:57], v[54:55]
	s_or_b64 s[10:11], s[10:11], s[14:15]
	s_and_b64 s[10:11], s[12:13], s[10:11]
	v_cndmask_b32_e64 v2, v2, v58, s[10:11]
	v_lshlrev_b32_e32 v2, 3, v2
	ds_write_b64 v1, v[4:5]
	s_waitcnt lgkmcnt(0)
	; wave barrier
	s_waitcnt lgkmcnt(0)
	ds_read_b64 v[4:5], v2
	s_add_i32 s21, s21, 1
	v_cndmask_b32_e64 v3, v55, v57, s[10:11]
	s_cmp_lg_u32 s21, 10
	v_cndmask_b32_e64 v2, v54, v56, s[10:11]
	s_cbranch_scc0 .LBB121_26
.LBB121_2:                              ; =>This Loop Header: Depth=1
                                        ;     Child Loop BB121_4 Depth 2
                                        ;     Child Loop BB121_8 Depth 2
	;; [unrolled: 1-line block ×6, first 2 shown]
	s_waitcnt lgkmcnt(0)
	; wave barrier
	ds_write_b64 v1, v[2:3]
	v_mov_b32_e32 v2, v34
	s_waitcnt lgkmcnt(0)
	; wave barrier
	s_waitcnt lgkmcnt(0)
	s_and_saveexec_b64 s[12:13], s[0:1]
	s_cbranch_execz .LBB121_6
; %bb.3:                                ;   in Loop: Header=BB121_2 Depth=1
	s_mov_b64 s[14:15], 0
	v_mov_b32_e32 v2, v34
	v_mov_b32_e32 v3, v44
.LBB121_4:                              ;   Parent Loop BB121_2 Depth=1
                                        ; =>  This Inner Loop Header: Depth=2
	v_sub_u32_e32 v54, v3, v2
	v_lshrrev_b32_e32 v55, 31, v54
	v_add_u32_e32 v54, v54, v55
	v_ashrrev_i32_e32 v54, 1, v54
	v_add_u32_e32 v58, v54, v2
	v_xad_u32 v55, v58, -1, v8
	v_lshl_add_u32 v54, v58, 3, v20
	v_lshl_add_u32 v56, v55, 3, v33
	ds_read_b64 v[54:55], v54
	ds_read_b64 v[56:57], v56
	v_add_u32_e32 v59, 1, v58
	s_waitcnt lgkmcnt(0)
	v_cmp_lt_i64_e64 s[10:11], v[56:57], v[54:55]
	s_nop 1
	v_cndmask_b32_e64 v3, v3, v58, s[10:11]
	v_cndmask_b32_e64 v2, v59, v2, s[10:11]
	v_cmp_ge_i32_e64 s[10:11], v2, v3
	s_or_b64 s[14:15], s[10:11], s[14:15]
	s_andn2_b64 exec, exec, s[14:15]
	s_cbranch_execnz .LBB121_4
; %bb.5:                                ;   in Loop: Header=BB121_2 Depth=1
	s_or_b64 exec, exec, s[14:15]
.LBB121_6:                              ;   in Loop: Header=BB121_2 Depth=1
	s_or_b64 exec, exec, s[12:13]
	v_sub_u32_e32 v3, v35, v2
	v_lshl_add_u32 v54, v2, 3, v20
	v_lshlrev_b32_e32 v56, 3, v3
	ds_read_b64 v[54:55], v54
	ds_read_b64 v[56:57], v56
	v_add_u32_e32 v2, v2, v7
	v_cmp_le_i32_e64 s[12:13], v19, v2
	v_cmp_ge_i32_e64 s[10:11], v19, v3
	s_waitcnt lgkmcnt(0)
	v_cmp_lt_i64_e64 s[14:15], v[56:57], v[54:55]
	s_or_b64 s[12:13], s[12:13], s[14:15]
	s_and_b64 s[10:11], s[10:11], s[12:13]
	v_cndmask_b32_e64 v2, v2, v3, s[10:11]
	v_lshlrev_b32_e32 v2, 3, v2
	; wave barrier
	ds_write_b64 v1, v[4:5]
	s_waitcnt lgkmcnt(0)
	; wave barrier
	s_waitcnt lgkmcnt(0)
	ds_read_b64 v[2:3], v2
	v_cndmask_b32_e64 v55, v55, v57, s[10:11]
	v_cndmask_b32_e64 v54, v54, v56, s[10:11]
	v_mov_b32_e32 v4, v49
	s_waitcnt lgkmcnt(0)
	; wave barrier
	s_waitcnt lgkmcnt(0)
	ds_write_b64 v1, v[54:55]
	s_waitcnt lgkmcnt(0)
	; wave barrier
	s_waitcnt lgkmcnt(0)
	s_and_saveexec_b64 s[12:13], s[2:3]
	s_cbranch_execz .LBB121_10
; %bb.7:                                ;   in Loop: Header=BB121_2 Depth=1
	s_mov_b64 s[14:15], 0
	v_mov_b32_e32 v4, v49
	v_mov_b32_e32 v5, v45
.LBB121_8:                              ;   Parent Loop BB121_2 Depth=1
                                        ; =>  This Inner Loop Header: Depth=2
	v_sub_u32_e32 v54, v5, v4
	v_lshrrev_b32_e32 v55, 31, v54
	v_add_u32_e32 v54, v54, v55
	v_ashrrev_i32_e32 v54, 1, v54
	v_add_u32_e32 v58, v54, v4
	v_xad_u32 v55, v58, -1, v10
	v_lshl_add_u32 v54, v58, 3, v23
	v_lshl_add_u32 v56, v55, 3, v36
	ds_read_b64 v[54:55], v54
	ds_read_b64 v[56:57], v56
	v_add_u32_e32 v59, 1, v58
	s_waitcnt lgkmcnt(0)
	v_cmp_lt_i64_e64 s[10:11], v[56:57], v[54:55]
	s_nop 1
	v_cndmask_b32_e64 v5, v5, v58, s[10:11]
	v_cndmask_b32_e64 v4, v59, v4, s[10:11]
	v_cmp_ge_i32_e64 s[10:11], v4, v5
	s_or_b64 s[14:15], s[10:11], s[14:15]
	s_andn2_b64 exec, exec, s[14:15]
	s_cbranch_execnz .LBB121_8
; %bb.9:                                ;   in Loop: Header=BB121_2 Depth=1
	s_or_b64 exec, exec, s[14:15]
.LBB121_10:                             ;   in Loop: Header=BB121_2 Depth=1
	s_or_b64 exec, exec, s[12:13]
	v_sub_u32_e32 v58, v37, v4
	v_lshl_add_u32 v5, v4, 3, v23
	v_lshlrev_b32_e32 v56, 3, v58
	ds_read_b64 v[54:55], v5
	ds_read_b64 v[56:57], v56
	v_add_u32_e32 v59, v4, v9
	v_cmp_le_i32_e64 s[12:13], v21, v59
	v_cmp_gt_i32_e64 s[10:11], v22, v58
	s_waitcnt lgkmcnt(0)
	v_cmp_lt_i64_e64 s[14:15], v[56:57], v[54:55]
	s_or_b64 s[12:13], s[12:13], s[14:15]
	s_and_b64 s[10:11], s[10:11], s[12:13]
	v_cndmask_b32_e64 v4, v54, v56, s[10:11]
	v_cndmask_b32_e64 v54, v59, v58, s[10:11]
	; wave barrier
	ds_write_b64 v1, v[2:3]
	v_lshlrev_b32_e32 v2, 3, v54
	s_waitcnt lgkmcnt(0)
	; wave barrier
	s_waitcnt lgkmcnt(0)
	ds_read_b64 v[2:3], v2
	v_cndmask_b32_e64 v5, v55, v57, s[10:11]
	s_waitcnt lgkmcnt(0)
	; wave barrier
	s_waitcnt lgkmcnt(0)
	ds_write_b64 v1, v[4:5]
	v_mov_b32_e32 v4, v50
	s_waitcnt lgkmcnt(0)
	; wave barrier
	s_waitcnt lgkmcnt(0)
	s_and_saveexec_b64 s[12:13], s[4:5]
	s_cbranch_execz .LBB121_14
; %bb.11:                               ;   in Loop: Header=BB121_2 Depth=1
	s_mov_b64 s[14:15], 0
	v_mov_b32_e32 v4, v50
	v_mov_b32_e32 v5, v46
.LBB121_12:                             ;   Parent Loop BB121_2 Depth=1
                                        ; =>  This Inner Loop Header: Depth=2
	v_sub_u32_e32 v54, v5, v4
	v_lshrrev_b32_e32 v55, 31, v54
	v_add_u32_e32 v54, v54, v55
	v_ashrrev_i32_e32 v54, 1, v54
	v_add_u32_e32 v58, v54, v4
	v_xad_u32 v55, v58, -1, v12
	v_lshl_add_u32 v54, v58, 3, v26
	v_lshl_add_u32 v56, v55, 3, v38
	ds_read_b64 v[54:55], v54
	ds_read_b64 v[56:57], v56
	v_add_u32_e32 v59, 1, v58
	s_waitcnt lgkmcnt(0)
	v_cmp_lt_i64_e64 s[10:11], v[56:57], v[54:55]
	s_nop 1
	v_cndmask_b32_e64 v5, v5, v58, s[10:11]
	v_cndmask_b32_e64 v4, v59, v4, s[10:11]
	v_cmp_ge_i32_e64 s[10:11], v4, v5
	s_or_b64 s[14:15], s[10:11], s[14:15]
	s_andn2_b64 exec, exec, s[14:15]
	s_cbranch_execnz .LBB121_12
; %bb.13:                               ;   in Loop: Header=BB121_2 Depth=1
	s_or_b64 exec, exec, s[14:15]
.LBB121_14:                             ;   in Loop: Header=BB121_2 Depth=1
	s_or_b64 exec, exec, s[12:13]
	v_sub_u32_e32 v58, v39, v4
	v_lshl_add_u32 v5, v4, 3, v26
	v_lshlrev_b32_e32 v56, 3, v58
	ds_read_b64 v[54:55], v5
	ds_read_b64 v[56:57], v56
	v_add_u32_e32 v59, v4, v11
	v_cmp_le_i32_e64 s[12:13], v24, v59
	v_cmp_gt_i32_e64 s[10:11], v25, v58
	s_waitcnt lgkmcnt(0)
	v_cmp_lt_i64_e64 s[14:15], v[56:57], v[54:55]
	s_or_b64 s[12:13], s[12:13], s[14:15]
	s_and_b64 s[10:11], s[10:11], s[12:13]
	v_cndmask_b32_e64 v4, v54, v56, s[10:11]
	v_cndmask_b32_e64 v54, v59, v58, s[10:11]
	; wave barrier
	ds_write_b64 v1, v[2:3]
	v_lshlrev_b32_e32 v2, 3, v54
	s_waitcnt lgkmcnt(0)
	; wave barrier
	s_waitcnt lgkmcnt(0)
	ds_read_b64 v[2:3], v2
	v_cndmask_b32_e64 v5, v55, v57, s[10:11]
	s_waitcnt lgkmcnt(0)
	; wave barrier
	s_waitcnt lgkmcnt(0)
	ds_write_b64 v1, v[4:5]
	v_mov_b32_e32 v4, v51
	s_waitcnt lgkmcnt(0)
	; wave barrier
	s_waitcnt lgkmcnt(0)
	s_and_saveexec_b64 s[12:13], s[6:7]
	s_cbranch_execz .LBB121_18
; %bb.15:                               ;   in Loop: Header=BB121_2 Depth=1
	s_mov_b64 s[14:15], 0
	v_mov_b32_e32 v4, v51
	v_mov_b32_e32 v5, v47
.LBB121_16:                             ;   Parent Loop BB121_2 Depth=1
                                        ; =>  This Inner Loop Header: Depth=2
	v_sub_u32_e32 v54, v5, v4
	v_lshrrev_b32_e32 v55, 31, v54
	v_add_u32_e32 v54, v54, v55
	v_ashrrev_i32_e32 v54, 1, v54
	v_add_u32_e32 v58, v54, v4
	v_xad_u32 v55, v58, -1, v14
	v_lshl_add_u32 v54, v58, 3, v29
	v_lshl_add_u32 v56, v55, 3, v40
	ds_read_b64 v[54:55], v54
	ds_read_b64 v[56:57], v56
	v_add_u32_e32 v59, 1, v58
	s_waitcnt lgkmcnt(0)
	v_cmp_lt_i64_e64 s[10:11], v[56:57], v[54:55]
	s_nop 1
	v_cndmask_b32_e64 v5, v5, v58, s[10:11]
	v_cndmask_b32_e64 v4, v59, v4, s[10:11]
	v_cmp_ge_i32_e64 s[10:11], v4, v5
	s_or_b64 s[14:15], s[10:11], s[14:15]
	s_andn2_b64 exec, exec, s[14:15]
	s_cbranch_execnz .LBB121_16
; %bb.17:                               ;   in Loop: Header=BB121_2 Depth=1
	s_or_b64 exec, exec, s[14:15]
.LBB121_18:                             ;   in Loop: Header=BB121_2 Depth=1
	;; [unrolled: 62-line block ×3, first 2 shown]
	s_or_b64 exec, exec, s[12:13]
	v_sub_u32_e32 v5, v43, v4
	v_lshl_add_u32 v54, v4, 3, v32
	v_lshlrev_b32_e32 v56, 3, v5
	ds_read_b64 v[54:55], v54
	ds_read_b64 v[56:57], v56
	v_add_u32_e32 v4, v4, v15
	v_cmp_le_i32_e64 s[12:13], v30, v4
	v_cmp_gt_i32_e64 s[10:11], v31, v5
	s_waitcnt lgkmcnt(0)
	v_cmp_lt_i64_e64 s[14:15], v[56:57], v[54:55]
	s_or_b64 s[12:13], s[12:13], s[14:15]
	s_and_b64 s[10:11], s[10:11], s[12:13]
	v_cndmask_b32_e64 v4, v4, v5, s[10:11]
	; wave barrier
	ds_write_b64 v1, v[2:3]
	v_lshlrev_b32_e32 v2, 3, v4
	s_waitcnt lgkmcnt(0)
	; wave barrier
	s_waitcnt lgkmcnt(0)
	ds_read_b64 v[4:5], v2
	v_cndmask_b32_e64 v55, v55, v57, s[10:11]
	v_cndmask_b32_e64 v54, v54, v56, s[10:11]
	v_mov_b32_e32 v2, v17
	s_waitcnt lgkmcnt(0)
	; wave barrier
	s_waitcnt lgkmcnt(0)
	ds_write_b64 v1, v[54:55]
	s_waitcnt lgkmcnt(0)
	; wave barrier
	s_waitcnt lgkmcnt(0)
	s_and_saveexec_b64 s[12:13], vcc
	s_cbranch_execz .LBB121_1
; %bb.23:                               ;   in Loop: Header=BB121_2 Depth=1
	s_mov_b64 s[14:15], 0
	v_mov_b32_e32 v2, v17
	v_mov_b32_e32 v3, v18
.LBB121_24:                             ;   Parent Loop BB121_2 Depth=1
                                        ; =>  This Inner Loop Header: Depth=2
	v_sub_u32_e32 v54, v3, v2
	v_lshrrev_b32_e32 v55, 31, v54
	v_add_u32_e32 v54, v54, v55
	v_ashrrev_i32_e32 v54, 1, v54
	v_add_u32_e32 v58, v54, v2
	v_xad_u32 v55, v58, -1, v0
	v_lshlrev_b32_e32 v54, 3, v58
	v_lshl_add_u32 v56, v55, 3, v6
	ds_read_b64 v[54:55], v54
	ds_read_b64 v[56:57], v56
	v_add_u32_e32 v59, 1, v58
	s_waitcnt lgkmcnt(0)
	v_cmp_lt_i64_e64 s[10:11], v[56:57], v[54:55]
	s_nop 1
	v_cndmask_b32_e64 v3, v3, v58, s[10:11]
	v_cndmask_b32_e64 v2, v59, v2, s[10:11]
	v_cmp_ge_i32_e64 s[10:11], v2, v3
	s_or_b64 s[14:15], s[10:11], s[14:15]
	s_andn2_b64 exec, exec, s[14:15]
	s_cbranch_execnz .LBB121_24
; %bb.25:                               ;   in Loop: Header=BB121_2 Depth=1
	s_or_b64 exec, exec, s[14:15]
	s_branch .LBB121_1
.LBB121_26:
	s_add_u32 s0, s18, s22
	s_waitcnt lgkmcnt(0)
	v_lshl_add_u64 v[2:3], v[2:3], 0, v[4:5]
	s_addc_u32 s1, s19, s23
	v_lshlrev_b32_e32 v0, 3, v0
	global_store_dwordx2 v0, v[2:3], s[0:1]
	s_endpgm
	.section	.rodata,"a",@progbits
	.p2align	6, 0x0
	.amdhsa_kernel _Z17sort_pairs_kernelIxLj64ELj1EN10test_utils4lessELj10EEvPKT_PS2_T2_
		.amdhsa_group_segment_fixed_size 520
		.amdhsa_private_segment_fixed_size 0
		.amdhsa_kernarg_size 20
		.amdhsa_user_sgpr_count 2
		.amdhsa_user_sgpr_dispatch_ptr 0
		.amdhsa_user_sgpr_queue_ptr 0
		.amdhsa_user_sgpr_kernarg_segment_ptr 1
		.amdhsa_user_sgpr_dispatch_id 0
		.amdhsa_user_sgpr_kernarg_preload_length 0
		.amdhsa_user_sgpr_kernarg_preload_offset 0
		.amdhsa_user_sgpr_private_segment_size 0
		.amdhsa_uses_dynamic_stack 0
		.amdhsa_enable_private_segment 0
		.amdhsa_system_sgpr_workgroup_id_x 1
		.amdhsa_system_sgpr_workgroup_id_y 0
		.amdhsa_system_sgpr_workgroup_id_z 0
		.amdhsa_system_sgpr_workgroup_info 0
		.amdhsa_system_vgpr_workitem_id 0
		.amdhsa_next_free_vgpr 60
		.amdhsa_next_free_sgpr 24
		.amdhsa_accum_offset 60
		.amdhsa_reserve_vcc 1
		.amdhsa_float_round_mode_32 0
		.amdhsa_float_round_mode_16_64 0
		.amdhsa_float_denorm_mode_32 3
		.amdhsa_float_denorm_mode_16_64 3
		.amdhsa_dx10_clamp 1
		.amdhsa_ieee_mode 1
		.amdhsa_fp16_overflow 0
		.amdhsa_tg_split 0
		.amdhsa_exception_fp_ieee_invalid_op 0
		.amdhsa_exception_fp_denorm_src 0
		.amdhsa_exception_fp_ieee_div_zero 0
		.amdhsa_exception_fp_ieee_overflow 0
		.amdhsa_exception_fp_ieee_underflow 0
		.amdhsa_exception_fp_ieee_inexact 0
		.amdhsa_exception_int_div_zero 0
	.end_amdhsa_kernel
	.section	.text._Z17sort_pairs_kernelIxLj64ELj1EN10test_utils4lessELj10EEvPKT_PS2_T2_,"axG",@progbits,_Z17sort_pairs_kernelIxLj64ELj1EN10test_utils4lessELj10EEvPKT_PS2_T2_,comdat
.Lfunc_end121:
	.size	_Z17sort_pairs_kernelIxLj64ELj1EN10test_utils4lessELj10EEvPKT_PS2_T2_, .Lfunc_end121-_Z17sort_pairs_kernelIxLj64ELj1EN10test_utils4lessELj10EEvPKT_PS2_T2_
                                        ; -- End function
	.section	.AMDGPU.csdata,"",@progbits
; Kernel info:
; codeLenInByte = 2236
; NumSgprs: 30
; NumVgprs: 60
; NumAgprs: 0
; TotalNumVgprs: 60
; ScratchSize: 0
; MemoryBound: 0
; FloatMode: 240
; IeeeMode: 1
; LDSByteSize: 520 bytes/workgroup (compile time only)
; SGPRBlocks: 3
; VGPRBlocks: 7
; NumSGPRsForWavesPerEU: 30
; NumVGPRsForWavesPerEU: 60
; AccumOffset: 60
; Occupancy: 8
; WaveLimiterHint : 0
; COMPUTE_PGM_RSRC2:SCRATCH_EN: 0
; COMPUTE_PGM_RSRC2:USER_SGPR: 2
; COMPUTE_PGM_RSRC2:TRAP_HANDLER: 0
; COMPUTE_PGM_RSRC2:TGID_X_EN: 1
; COMPUTE_PGM_RSRC2:TGID_Y_EN: 0
; COMPUTE_PGM_RSRC2:TGID_Z_EN: 0
; COMPUTE_PGM_RSRC2:TIDIG_COMP_CNT: 0
; COMPUTE_PGM_RSRC3_GFX90A:ACCUM_OFFSET: 14
; COMPUTE_PGM_RSRC3_GFX90A:TG_SPLIT: 0
	.section	.text._Z16sort_keys_kernelIxLj64ELj2EN10test_utils4lessELj10EEvPKT_PS2_T2_,"axG",@progbits,_Z16sort_keys_kernelIxLj64ELj2EN10test_utils4lessELj10EEvPKT_PS2_T2_,comdat
	.protected	_Z16sort_keys_kernelIxLj64ELj2EN10test_utils4lessELj10EEvPKT_PS2_T2_ ; -- Begin function _Z16sort_keys_kernelIxLj64ELj2EN10test_utils4lessELj10EEvPKT_PS2_T2_
	.globl	_Z16sort_keys_kernelIxLj64ELj2EN10test_utils4lessELj10EEvPKT_PS2_T2_
	.p2align	8
	.type	_Z16sort_keys_kernelIxLj64ELj2EN10test_utils4lessELj10EEvPKT_PS2_T2_,@function
_Z16sort_keys_kernelIxLj64ELj2EN10test_utils4lessELj10EEvPKT_PS2_T2_: ; @_Z16sort_keys_kernelIxLj64ELj2EN10test_utils4lessELj10EEvPKT_PS2_T2_
; %bb.0:
	s_load_dwordx4 s[16:19], s[0:1], 0x0
	s_lshl_b32 s20, s2, 7
	s_mov_b32 s21, 0
	s_lshl_b64 s[22:23], s[20:21], 3
	v_lshlrev_b32_e32 v1, 3, v0
	s_waitcnt lgkmcnt(0)
	s_add_u32 s0, s16, s22
	s_addc_u32 s1, s17, s23
	global_load_dwordx2 v[2:3], v1, s[0:1]
	global_load_dwordx2 v[4:5], v1, s[0:1] offset:512
	v_lshlrev_b32_e32 v1, 1, v0
	v_and_b32_e32 v11, 0x7c, v1
	v_or_b32_e32 v13, 2, v11
	v_add_u32_e32 v14, 4, v11
	v_and_b32_e32 v20, 0x78, v1
	v_and_b32_e32 v12, 2, v1
	v_sub_u32_e32 v7, v14, v13
	v_or_b32_e32 v22, 4, v20
	v_add_u32_e32 v23, 8, v20
	v_and_b32_e32 v29, 0x70, v1
	v_sub_u32_e32 v6, v13, v11
	v_sub_u32_e32 v8, v12, v7
	v_cmp_ge_i32_e32 vcc, v12, v7
	v_and_b32_e32 v21, 6, v1
	v_sub_u32_e32 v7, v23, v22
	v_or_b32_e32 v31, 8, v29
	v_add_u32_e32 v32, 16, v29
	v_and_b32_e32 v38, 0x60, v1
	v_cndmask_b32_e32 v17, 0, v8, vcc
	v_min_i32_e32 v18, v12, v6
	v_sub_u32_e32 v6, v22, v20
	v_sub_u32_e32 v8, v21, v7
	v_cmp_ge_i32_e64 s[0:1], v21, v7
	v_and_b32_e32 v30, 14, v1
	v_sub_u32_e32 v7, v32, v31
	v_or_b32_e32 v40, 16, v38
	v_add_u32_e32 v41, 32, v38
	v_and_b32_e32 v47, 64, v1
	v_cndmask_b32_e64 v26, 0, v8, s[0:1]
	v_min_i32_e32 v27, v21, v6
	v_sub_u32_e32 v6, v31, v29
	v_sub_u32_e32 v8, v30, v7
	v_cmp_ge_i32_e64 s[2:3], v30, v7
	v_and_b32_e32 v39, 30, v1
	v_sub_u32_e32 v7, v41, v40
	v_or_b32_e32 v49, 32, v47
	v_add_u32_e32 v50, 64, v47
	v_cndmask_b32_e64 v35, 0, v8, s[2:3]
	v_min_i32_e32 v36, v30, v6
	v_sub_u32_e32 v6, v40, v38
	v_sub_u32_e32 v8, v39, v7
	v_cmp_ge_i32_e64 s[4:5], v39, v7
	v_and_b32_e32 v48, 62, v1
	v_sub_u32_e32 v7, v50, v49
	v_cndmask_b32_e64 v44, 0, v8, s[4:5]
	v_min_i32_e32 v45, v39, v6
	v_sub_u32_e32 v6, v49, v47
	v_sub_u32_e32 v8, v48, v7
	v_cmp_ge_i32_e64 s[6:7], v48, v7
	v_min_i32_e32 v54, v48, v6
	v_sub_u32_e64 v57, v1, 64 clamp
	v_cndmask_b32_e64 v53, 0, v8, s[6:7]
	v_min_i32_e32 v58, 64, v1
	v_lshlrev_b32_e32 v10, 4, v0
	v_lshlrev_b32_e32 v15, 3, v11
	;; [unrolled: 1-line block ×3, first 2 shown]
	v_cmp_lt_i32_e32 vcc, v17, v18
	v_add_u32_e32 v19, v13, v12
	v_lshlrev_b32_e32 v24, 3, v20
	v_lshlrev_b32_e32 v25, 3, v22
	v_cmp_lt_i32_e64 s[0:1], v26, v27
	v_add_u32_e32 v28, v22, v21
	v_lshlrev_b32_e32 v33, 3, v29
	v_lshlrev_b32_e32 v34, 3, v31
	v_cmp_lt_i32_e64 s[2:3], v35, v36
	;; [unrolled: 4-line block ×4, first 2 shown]
	v_add_u32_e32 v55, v49, v48
	v_mov_b32_e32 v56, 0x200
	v_cmp_lt_i32_e64 s[8:9], v57, v58
	v_add_u32_e32 v59, 64, v1
	s_movk_i32 s16, 0x80
	s_branch .LBB122_2
.LBB122_1:                              ;   in Loop: Header=BB122_2 Depth=1
	s_or_b64 exec, exec, s[12:13]
	v_cmp_le_i32_e64 s[12:13], 64, v60
	s_waitcnt lgkmcnt(0)
	v_cmp_lt_i64_e64 s[14:15], v[8:9], v[6:7]
	v_cndmask_b32_e64 v3, v3, v5, s[10:11]
	v_cndmask_b32_e64 v2, v2, v4, s[10:11]
	v_cmp_gt_i32_e64 s[10:11], s16, v61
	s_or_b64 s[12:13], s[12:13], s[14:15]
	s_and_b64 s[10:11], s[10:11], s[12:13]
	s_add_i32 s21, s21, 1
	v_cndmask_b32_e64 v5, v7, v9, s[10:11]
	s_cmp_eq_u32 s21, 10
	v_cndmask_b32_e64 v4, v6, v8, s[10:11]
	s_cbranch_scc1 .LBB122_50
.LBB122_2:                              ; =>This Loop Header: Depth=1
                                        ;     Child Loop BB122_4 Depth 2
                                        ;     Child Loop BB122_12 Depth 2
	;; [unrolled: 1-line block ×6, first 2 shown]
	s_waitcnt vmcnt(0)
	v_cmp_lt_i64_e64 s[10:11], v[4:5], v[2:3]
	s_waitcnt lgkmcnt(0)
	; wave barrier
	s_nop 0
	v_cndmask_b32_e64 v7, v5, v3, s[10:11]
	v_cndmask_b32_e64 v6, v4, v2, s[10:11]
	;; [unrolled: 1-line block ×4, first 2 shown]
	ds_write2_b64 v10, v[2:3], v[6:7] offset1:1
	v_mov_b32_e32 v6, v17
	s_waitcnt lgkmcnt(0)
	; wave barrier
	s_waitcnt lgkmcnt(0)
	s_and_saveexec_b64 s[12:13], vcc
	s_cbranch_execz .LBB122_6
; %bb.3:                                ;   in Loop: Header=BB122_2 Depth=1
	s_mov_b64 s[14:15], 0
	v_mov_b32_e32 v6, v17
	v_mov_b32_e32 v2, v18
.LBB122_4:                              ;   Parent Loop BB122_2 Depth=1
                                        ; =>  This Inner Loop Header: Depth=2
	v_sub_u32_e32 v3, v2, v6
	v_lshrrev_b32_e32 v4, 31, v3
	v_add_u32_e32 v3, v3, v4
	v_ashrrev_i32_e32 v3, 1, v3
	v_add_u32_e32 v3, v3, v6
	v_lshl_add_u32 v4, v3, 3, v15
	v_xad_u32 v5, v3, -1, v12
	v_lshl_add_u32 v7, v5, 3, v16
	ds_read_b64 v[4:5], v4
	ds_read_b64 v[8:9], v7
	v_add_u32_e32 v7, 1, v3
	s_waitcnt lgkmcnt(0)
	v_cmp_lt_i64_e64 s[10:11], v[8:9], v[4:5]
	s_nop 1
	v_cndmask_b32_e64 v2, v2, v3, s[10:11]
	v_cndmask_b32_e64 v6, v7, v6, s[10:11]
	v_cmp_ge_i32_e64 s[10:11], v6, v2
	s_or_b64 s[14:15], s[10:11], s[14:15]
	s_andn2_b64 exec, exec, s[14:15]
	s_cbranch_execnz .LBB122_4
; %bb.5:                                ;   in Loop: Header=BB122_2 Depth=1
	s_or_b64 exec, exec, s[14:15]
.LBB122_6:                              ;   in Loop: Header=BB122_2 Depth=1
	s_or_b64 exec, exec, s[12:13]
	v_sub_u32_e32 v60, v19, v6
	v_lshl_add_u32 v8, v6, 3, v15
	v_lshlrev_b32_e32 v62, 3, v60
	ds_read_b64 v[2:3], v8
	ds_read_b64 v[4:5], v62
	v_add_u32_e32 v61, v6, v11
	v_cmp_le_i32_e64 s[12:13], v13, v61
	v_cmp_gt_i32_e64 s[10:11], v14, v60
                                        ; implicit-def: $vgpr6_vgpr7
	s_waitcnt lgkmcnt(0)
	v_cmp_lt_i64_e64 s[14:15], v[4:5], v[2:3]
	s_or_b64 s[12:13], s[12:13], s[14:15]
	s_and_b64 s[10:11], s[10:11], s[12:13]
	s_xor_b64 s[12:13], s[10:11], -1
	s_and_saveexec_b64 s[14:15], s[12:13]
	s_xor_b64 s[12:13], exec, s[14:15]
	s_cbranch_execz .LBB122_8
; %bb.7:                                ;   in Loop: Header=BB122_2 Depth=1
	ds_read_b64 v[6:7], v8 offset:8
                                        ; implicit-def: $vgpr62
.LBB122_8:                              ;   in Loop: Header=BB122_2 Depth=1
	s_or_saveexec_b64 s[12:13], s[12:13]
	v_mov_b64_e32 v[8:9], v[4:5]
	s_xor_b64 exec, exec, s[12:13]
	s_cbranch_execz .LBB122_10
; %bb.9:                                ;   in Loop: Header=BB122_2 Depth=1
	ds_read_b64 v[8:9], v62 offset:8
	s_waitcnt lgkmcnt(1)
	v_mov_b64_e32 v[6:7], v[2:3]
.LBB122_10:                             ;   in Loop: Header=BB122_2 Depth=1
	s_or_b64 exec, exec, s[12:13]
	v_cndmask_b32_e64 v3, v3, v5, s[10:11]
	v_add_u32_e32 v5, 1, v61
	v_cndmask_b32_e64 v2, v2, v4, s[10:11]
	v_add_u32_e32 v4, 1, v60
	v_cndmask_b32_e64 v5, v5, v61, s[10:11]
	v_cndmask_b32_e64 v4, v60, v4, s[10:11]
	v_cmp_ge_i32_e64 s[12:13], v5, v13
	s_waitcnt lgkmcnt(0)
	v_cmp_lt_i64_e64 s[14:15], v[8:9], v[6:7]
	v_cmp_lt_i32_e64 s[10:11], v4, v14
	s_or_b64 s[12:13], s[12:13], s[14:15]
	s_and_b64 s[10:11], s[10:11], s[12:13]
	v_cndmask_b32_e64 v5, v7, v9, s[10:11]
	v_cndmask_b32_e64 v4, v6, v8, s[10:11]
	v_mov_b32_e32 v6, v26
	s_waitcnt lgkmcnt(0)
	; wave barrier
	ds_write2_b64 v10, v[2:3], v[4:5] offset1:1
	s_waitcnt lgkmcnt(0)
	; wave barrier
	s_waitcnt lgkmcnt(0)
	s_and_saveexec_b64 s[12:13], s[0:1]
	s_cbranch_execz .LBB122_14
; %bb.11:                               ;   in Loop: Header=BB122_2 Depth=1
	s_mov_b64 s[14:15], 0
	v_mov_b32_e32 v6, v26
	v_mov_b32_e32 v2, v27
.LBB122_12:                             ;   Parent Loop BB122_2 Depth=1
                                        ; =>  This Inner Loop Header: Depth=2
	v_sub_u32_e32 v3, v2, v6
	v_lshrrev_b32_e32 v4, 31, v3
	v_add_u32_e32 v3, v3, v4
	v_ashrrev_i32_e32 v3, 1, v3
	v_add_u32_e32 v3, v3, v6
	v_lshl_add_u32 v4, v3, 3, v24
	v_xad_u32 v5, v3, -1, v21
	v_lshl_add_u32 v7, v5, 3, v25
	ds_read_b64 v[4:5], v4
	ds_read_b64 v[8:9], v7
	v_add_u32_e32 v7, 1, v3
	s_waitcnt lgkmcnt(0)
	v_cmp_lt_i64_e64 s[10:11], v[8:9], v[4:5]
	s_nop 1
	v_cndmask_b32_e64 v2, v2, v3, s[10:11]
	v_cndmask_b32_e64 v6, v7, v6, s[10:11]
	v_cmp_ge_i32_e64 s[10:11], v6, v2
	s_or_b64 s[14:15], s[10:11], s[14:15]
	s_andn2_b64 exec, exec, s[14:15]
	s_cbranch_execnz .LBB122_12
; %bb.13:                               ;   in Loop: Header=BB122_2 Depth=1
	s_or_b64 exec, exec, s[14:15]
.LBB122_14:                             ;   in Loop: Header=BB122_2 Depth=1
	s_or_b64 exec, exec, s[12:13]
	v_sub_u32_e32 v60, v28, v6
	v_lshl_add_u32 v8, v6, 3, v24
	v_lshlrev_b32_e32 v62, 3, v60
	ds_read_b64 v[2:3], v8
	ds_read_b64 v[4:5], v62
	v_add_u32_e32 v61, v6, v20
	v_cmp_le_i32_e64 s[12:13], v22, v61
	v_cmp_gt_i32_e64 s[10:11], v23, v60
                                        ; implicit-def: $vgpr6_vgpr7
	s_waitcnt lgkmcnt(0)
	v_cmp_lt_i64_e64 s[14:15], v[4:5], v[2:3]
	s_or_b64 s[12:13], s[12:13], s[14:15]
	s_and_b64 s[10:11], s[10:11], s[12:13]
	s_xor_b64 s[12:13], s[10:11], -1
	s_and_saveexec_b64 s[14:15], s[12:13]
	s_xor_b64 s[12:13], exec, s[14:15]
	s_cbranch_execz .LBB122_16
; %bb.15:                               ;   in Loop: Header=BB122_2 Depth=1
	ds_read_b64 v[6:7], v8 offset:8
                                        ; implicit-def: $vgpr62
.LBB122_16:                             ;   in Loop: Header=BB122_2 Depth=1
	s_or_saveexec_b64 s[12:13], s[12:13]
	v_mov_b64_e32 v[8:9], v[4:5]
	s_xor_b64 exec, exec, s[12:13]
	s_cbranch_execz .LBB122_18
; %bb.17:                               ;   in Loop: Header=BB122_2 Depth=1
	ds_read_b64 v[8:9], v62 offset:8
	s_waitcnt lgkmcnt(1)
	v_mov_b64_e32 v[6:7], v[2:3]
.LBB122_18:                             ;   in Loop: Header=BB122_2 Depth=1
	s_or_b64 exec, exec, s[12:13]
	v_cndmask_b32_e64 v3, v3, v5, s[10:11]
	v_add_u32_e32 v5, 1, v61
	v_cndmask_b32_e64 v2, v2, v4, s[10:11]
	v_add_u32_e32 v4, 1, v60
	v_cndmask_b32_e64 v5, v5, v61, s[10:11]
	v_cndmask_b32_e64 v4, v60, v4, s[10:11]
	v_cmp_ge_i32_e64 s[12:13], v5, v22
	s_waitcnt lgkmcnt(0)
	v_cmp_lt_i64_e64 s[14:15], v[8:9], v[6:7]
	v_cmp_lt_i32_e64 s[10:11], v4, v23
	s_or_b64 s[12:13], s[12:13], s[14:15]
	s_and_b64 s[10:11], s[10:11], s[12:13]
	v_cndmask_b32_e64 v5, v7, v9, s[10:11]
	v_cndmask_b32_e64 v4, v6, v8, s[10:11]
	v_mov_b32_e32 v6, v35
	s_waitcnt lgkmcnt(0)
	; wave barrier
	ds_write2_b64 v10, v[2:3], v[4:5] offset1:1
	s_waitcnt lgkmcnt(0)
	; wave barrier
	s_waitcnt lgkmcnt(0)
	s_and_saveexec_b64 s[12:13], s[2:3]
	s_cbranch_execz .LBB122_22
; %bb.19:                               ;   in Loop: Header=BB122_2 Depth=1
	s_mov_b64 s[14:15], 0
	v_mov_b32_e32 v6, v35
	v_mov_b32_e32 v2, v36
.LBB122_20:                             ;   Parent Loop BB122_2 Depth=1
                                        ; =>  This Inner Loop Header: Depth=2
	v_sub_u32_e32 v3, v2, v6
	v_lshrrev_b32_e32 v4, 31, v3
	v_add_u32_e32 v3, v3, v4
	v_ashrrev_i32_e32 v3, 1, v3
	v_add_u32_e32 v3, v3, v6
	v_lshl_add_u32 v4, v3, 3, v33
	v_xad_u32 v5, v3, -1, v30
	v_lshl_add_u32 v7, v5, 3, v34
	ds_read_b64 v[4:5], v4
	ds_read_b64 v[8:9], v7
	v_add_u32_e32 v7, 1, v3
	s_waitcnt lgkmcnt(0)
	v_cmp_lt_i64_e64 s[10:11], v[8:9], v[4:5]
	s_nop 1
	v_cndmask_b32_e64 v2, v2, v3, s[10:11]
	v_cndmask_b32_e64 v6, v7, v6, s[10:11]
	v_cmp_ge_i32_e64 s[10:11], v6, v2
	s_or_b64 s[14:15], s[10:11], s[14:15]
	s_andn2_b64 exec, exec, s[14:15]
	s_cbranch_execnz .LBB122_20
; %bb.21:                               ;   in Loop: Header=BB122_2 Depth=1
	s_or_b64 exec, exec, s[14:15]
.LBB122_22:                             ;   in Loop: Header=BB122_2 Depth=1
	s_or_b64 exec, exec, s[12:13]
	v_sub_u32_e32 v60, v37, v6
	v_lshl_add_u32 v8, v6, 3, v33
	v_lshlrev_b32_e32 v62, 3, v60
	ds_read_b64 v[2:3], v8
	ds_read_b64 v[4:5], v62
	v_add_u32_e32 v61, v6, v29
	v_cmp_le_i32_e64 s[12:13], v31, v61
	v_cmp_gt_i32_e64 s[10:11], v32, v60
                                        ; implicit-def: $vgpr6_vgpr7
	s_waitcnt lgkmcnt(0)
	v_cmp_lt_i64_e64 s[14:15], v[4:5], v[2:3]
	s_or_b64 s[12:13], s[12:13], s[14:15]
	s_and_b64 s[10:11], s[10:11], s[12:13]
	s_xor_b64 s[12:13], s[10:11], -1
	s_and_saveexec_b64 s[14:15], s[12:13]
	s_xor_b64 s[12:13], exec, s[14:15]
	s_cbranch_execz .LBB122_24
; %bb.23:                               ;   in Loop: Header=BB122_2 Depth=1
	ds_read_b64 v[6:7], v8 offset:8
                                        ; implicit-def: $vgpr62
.LBB122_24:                             ;   in Loop: Header=BB122_2 Depth=1
	s_or_saveexec_b64 s[12:13], s[12:13]
	v_mov_b64_e32 v[8:9], v[4:5]
	s_xor_b64 exec, exec, s[12:13]
	s_cbranch_execz .LBB122_26
; %bb.25:                               ;   in Loop: Header=BB122_2 Depth=1
	ds_read_b64 v[8:9], v62 offset:8
	s_waitcnt lgkmcnt(1)
	v_mov_b64_e32 v[6:7], v[2:3]
.LBB122_26:                             ;   in Loop: Header=BB122_2 Depth=1
	s_or_b64 exec, exec, s[12:13]
	v_cndmask_b32_e64 v3, v3, v5, s[10:11]
	v_add_u32_e32 v5, 1, v61
	v_cndmask_b32_e64 v2, v2, v4, s[10:11]
	v_add_u32_e32 v4, 1, v60
	v_cndmask_b32_e64 v5, v5, v61, s[10:11]
	v_cndmask_b32_e64 v4, v60, v4, s[10:11]
	v_cmp_ge_i32_e64 s[12:13], v5, v31
	s_waitcnt lgkmcnt(0)
	v_cmp_lt_i64_e64 s[14:15], v[8:9], v[6:7]
	v_cmp_lt_i32_e64 s[10:11], v4, v32
	s_or_b64 s[12:13], s[12:13], s[14:15]
	s_and_b64 s[10:11], s[10:11], s[12:13]
	v_cndmask_b32_e64 v5, v7, v9, s[10:11]
	v_cndmask_b32_e64 v4, v6, v8, s[10:11]
	v_mov_b32_e32 v6, v44
	s_waitcnt lgkmcnt(0)
	; wave barrier
	ds_write2_b64 v10, v[2:3], v[4:5] offset1:1
	s_waitcnt lgkmcnt(0)
	; wave barrier
	s_waitcnt lgkmcnt(0)
	s_and_saveexec_b64 s[12:13], s[4:5]
	s_cbranch_execz .LBB122_30
; %bb.27:                               ;   in Loop: Header=BB122_2 Depth=1
	s_mov_b64 s[14:15], 0
	v_mov_b32_e32 v6, v44
	v_mov_b32_e32 v2, v45
.LBB122_28:                             ;   Parent Loop BB122_2 Depth=1
                                        ; =>  This Inner Loop Header: Depth=2
	v_sub_u32_e32 v3, v2, v6
	v_lshrrev_b32_e32 v4, 31, v3
	v_add_u32_e32 v3, v3, v4
	v_ashrrev_i32_e32 v3, 1, v3
	v_add_u32_e32 v3, v3, v6
	v_lshl_add_u32 v4, v3, 3, v42
	v_xad_u32 v5, v3, -1, v39
	v_lshl_add_u32 v7, v5, 3, v43
	ds_read_b64 v[4:5], v4
	ds_read_b64 v[8:9], v7
	v_add_u32_e32 v7, 1, v3
	s_waitcnt lgkmcnt(0)
	v_cmp_lt_i64_e64 s[10:11], v[8:9], v[4:5]
	s_nop 1
	v_cndmask_b32_e64 v2, v2, v3, s[10:11]
	v_cndmask_b32_e64 v6, v7, v6, s[10:11]
	v_cmp_ge_i32_e64 s[10:11], v6, v2
	s_or_b64 s[14:15], s[10:11], s[14:15]
	s_andn2_b64 exec, exec, s[14:15]
	s_cbranch_execnz .LBB122_28
; %bb.29:                               ;   in Loop: Header=BB122_2 Depth=1
	s_or_b64 exec, exec, s[14:15]
.LBB122_30:                             ;   in Loop: Header=BB122_2 Depth=1
	s_or_b64 exec, exec, s[12:13]
	v_sub_u32_e32 v60, v46, v6
	v_lshl_add_u32 v8, v6, 3, v42
	v_lshlrev_b32_e32 v62, 3, v60
	ds_read_b64 v[2:3], v8
	ds_read_b64 v[4:5], v62
	v_add_u32_e32 v61, v6, v38
	v_cmp_le_i32_e64 s[12:13], v40, v61
	v_cmp_gt_i32_e64 s[10:11], v41, v60
                                        ; implicit-def: $vgpr6_vgpr7
	s_waitcnt lgkmcnt(0)
	v_cmp_lt_i64_e64 s[14:15], v[4:5], v[2:3]
	s_or_b64 s[12:13], s[12:13], s[14:15]
	s_and_b64 s[10:11], s[10:11], s[12:13]
	s_xor_b64 s[12:13], s[10:11], -1
	s_and_saveexec_b64 s[14:15], s[12:13]
	s_xor_b64 s[12:13], exec, s[14:15]
	s_cbranch_execz .LBB122_32
; %bb.31:                               ;   in Loop: Header=BB122_2 Depth=1
	ds_read_b64 v[6:7], v8 offset:8
                                        ; implicit-def: $vgpr62
.LBB122_32:                             ;   in Loop: Header=BB122_2 Depth=1
	s_or_saveexec_b64 s[12:13], s[12:13]
	v_mov_b64_e32 v[8:9], v[4:5]
	s_xor_b64 exec, exec, s[12:13]
	s_cbranch_execz .LBB122_34
; %bb.33:                               ;   in Loop: Header=BB122_2 Depth=1
	ds_read_b64 v[8:9], v62 offset:8
	s_waitcnt lgkmcnt(1)
	v_mov_b64_e32 v[6:7], v[2:3]
.LBB122_34:                             ;   in Loop: Header=BB122_2 Depth=1
	s_or_b64 exec, exec, s[12:13]
	v_cndmask_b32_e64 v3, v3, v5, s[10:11]
	v_add_u32_e32 v5, 1, v61
	v_cndmask_b32_e64 v2, v2, v4, s[10:11]
	v_add_u32_e32 v4, 1, v60
	v_cndmask_b32_e64 v5, v5, v61, s[10:11]
	v_cndmask_b32_e64 v4, v60, v4, s[10:11]
	v_cmp_ge_i32_e64 s[12:13], v5, v40
	s_waitcnt lgkmcnt(0)
	v_cmp_lt_i64_e64 s[14:15], v[8:9], v[6:7]
	v_cmp_lt_i32_e64 s[10:11], v4, v41
	s_or_b64 s[12:13], s[12:13], s[14:15]
	s_and_b64 s[10:11], s[10:11], s[12:13]
	v_cndmask_b32_e64 v5, v7, v9, s[10:11]
	v_cndmask_b32_e64 v4, v6, v8, s[10:11]
	v_mov_b32_e32 v6, v53
	s_waitcnt lgkmcnt(0)
	; wave barrier
	ds_write2_b64 v10, v[2:3], v[4:5] offset1:1
	s_waitcnt lgkmcnt(0)
	; wave barrier
	s_waitcnt lgkmcnt(0)
	s_and_saveexec_b64 s[12:13], s[6:7]
	s_cbranch_execz .LBB122_38
; %bb.35:                               ;   in Loop: Header=BB122_2 Depth=1
	s_mov_b64 s[14:15], 0
	v_mov_b32_e32 v6, v53
	v_mov_b32_e32 v2, v54
.LBB122_36:                             ;   Parent Loop BB122_2 Depth=1
                                        ; =>  This Inner Loop Header: Depth=2
	v_sub_u32_e32 v3, v2, v6
	v_lshrrev_b32_e32 v4, 31, v3
	v_add_u32_e32 v3, v3, v4
	v_ashrrev_i32_e32 v3, 1, v3
	v_add_u32_e32 v3, v3, v6
	v_lshl_add_u32 v4, v3, 3, v51
	v_xad_u32 v5, v3, -1, v48
	v_lshl_add_u32 v7, v5, 3, v52
	ds_read_b64 v[4:5], v4
	ds_read_b64 v[8:9], v7
	v_add_u32_e32 v7, 1, v3
	s_waitcnt lgkmcnt(0)
	v_cmp_lt_i64_e64 s[10:11], v[8:9], v[4:5]
	s_nop 1
	v_cndmask_b32_e64 v2, v2, v3, s[10:11]
	v_cndmask_b32_e64 v6, v7, v6, s[10:11]
	v_cmp_ge_i32_e64 s[10:11], v6, v2
	s_or_b64 s[14:15], s[10:11], s[14:15]
	s_andn2_b64 exec, exec, s[14:15]
	s_cbranch_execnz .LBB122_36
; %bb.37:                               ;   in Loop: Header=BB122_2 Depth=1
	s_or_b64 exec, exec, s[14:15]
.LBB122_38:                             ;   in Loop: Header=BB122_2 Depth=1
	s_or_b64 exec, exec, s[12:13]
	v_sub_u32_e32 v60, v55, v6
	v_lshl_add_u32 v8, v6, 3, v51
	v_lshlrev_b32_e32 v62, 3, v60
	ds_read_b64 v[2:3], v8
	ds_read_b64 v[4:5], v62
	v_add_u32_e32 v61, v6, v47
	v_cmp_le_i32_e64 s[12:13], v49, v61
	v_cmp_gt_i32_e64 s[10:11], v50, v60
                                        ; implicit-def: $vgpr6_vgpr7
	s_waitcnt lgkmcnt(0)
	v_cmp_lt_i64_e64 s[14:15], v[4:5], v[2:3]
	s_or_b64 s[12:13], s[12:13], s[14:15]
	s_and_b64 s[10:11], s[10:11], s[12:13]
	s_xor_b64 s[12:13], s[10:11], -1
	s_and_saveexec_b64 s[14:15], s[12:13]
	s_xor_b64 s[12:13], exec, s[14:15]
	s_cbranch_execz .LBB122_40
; %bb.39:                               ;   in Loop: Header=BB122_2 Depth=1
	ds_read_b64 v[6:7], v8 offset:8
                                        ; implicit-def: $vgpr62
.LBB122_40:                             ;   in Loop: Header=BB122_2 Depth=1
	s_or_saveexec_b64 s[12:13], s[12:13]
	v_mov_b64_e32 v[8:9], v[4:5]
	s_xor_b64 exec, exec, s[12:13]
	s_cbranch_execz .LBB122_42
; %bb.41:                               ;   in Loop: Header=BB122_2 Depth=1
	ds_read_b64 v[8:9], v62 offset:8
	s_waitcnt lgkmcnt(1)
	v_mov_b64_e32 v[6:7], v[2:3]
.LBB122_42:                             ;   in Loop: Header=BB122_2 Depth=1
	s_or_b64 exec, exec, s[12:13]
	v_cndmask_b32_e64 v3, v3, v5, s[10:11]
	v_add_u32_e32 v5, 1, v61
	v_cndmask_b32_e64 v2, v2, v4, s[10:11]
	v_add_u32_e32 v4, 1, v60
	v_cndmask_b32_e64 v5, v5, v61, s[10:11]
	v_cndmask_b32_e64 v4, v60, v4, s[10:11]
	v_cmp_ge_i32_e64 s[12:13], v5, v49
	s_waitcnt lgkmcnt(0)
	v_cmp_lt_i64_e64 s[14:15], v[8:9], v[6:7]
	v_cmp_lt_i32_e64 s[10:11], v4, v50
	s_or_b64 s[12:13], s[12:13], s[14:15]
	s_and_b64 s[10:11], s[10:11], s[12:13]
	v_cndmask_b32_e64 v5, v7, v9, s[10:11]
	v_cndmask_b32_e64 v4, v6, v8, s[10:11]
	v_mov_b32_e32 v60, v57
	s_waitcnt lgkmcnt(0)
	; wave barrier
	ds_write2_b64 v10, v[2:3], v[4:5] offset1:1
	s_waitcnt lgkmcnt(0)
	; wave barrier
	s_waitcnt lgkmcnt(0)
	s_and_saveexec_b64 s[12:13], s[8:9]
	s_cbranch_execz .LBB122_46
; %bb.43:                               ;   in Loop: Header=BB122_2 Depth=1
	s_mov_b64 s[14:15], 0
	v_mov_b32_e32 v60, v57
	v_mov_b32_e32 v2, v58
.LBB122_44:                             ;   Parent Loop BB122_2 Depth=1
                                        ; =>  This Inner Loop Header: Depth=2
	v_sub_u32_e32 v3, v2, v60
	v_lshrrev_b32_e32 v4, 31, v3
	v_add_u32_e32 v3, v3, v4
	v_ashrrev_i32_e32 v3, 1, v3
	v_add_u32_e32 v3, v3, v60
	v_xad_u32 v5, v3, -1, v1
	v_lshlrev_b32_e32 v4, 3, v3
	v_lshl_add_u32 v6, v5, 3, v56
	ds_read_b64 v[4:5], v4
	ds_read_b64 v[6:7], v6
	v_add_u32_e32 v8, 1, v3
	s_waitcnt lgkmcnt(0)
	v_cmp_lt_i64_e64 s[10:11], v[6:7], v[4:5]
	s_nop 1
	v_cndmask_b32_e64 v2, v2, v3, s[10:11]
	v_cndmask_b32_e64 v60, v8, v60, s[10:11]
	v_cmp_ge_i32_e64 s[10:11], v60, v2
	s_or_b64 s[14:15], s[10:11], s[14:15]
	s_andn2_b64 exec, exec, s[14:15]
	s_cbranch_execnz .LBB122_44
; %bb.45:                               ;   in Loop: Header=BB122_2 Depth=1
	s_or_b64 exec, exec, s[14:15]
.LBB122_46:                             ;   in Loop: Header=BB122_2 Depth=1
	s_or_b64 exec, exec, s[12:13]
	v_sub_u32_e32 v61, v59, v60
	v_lshlrev_b32_e32 v8, 3, v60
	v_lshlrev_b32_e32 v62, 3, v61
	ds_read_b64 v[2:3], v8
	ds_read_b64 v[4:5], v62
	v_cmp_le_i32_e64 s[12:13], 64, v60
	v_cmp_gt_i32_e64 s[10:11], s16, v61
                                        ; implicit-def: $vgpr6_vgpr7
	s_waitcnt lgkmcnt(0)
	v_cmp_lt_i64_e64 s[14:15], v[4:5], v[2:3]
	s_or_b64 s[12:13], s[12:13], s[14:15]
	s_and_b64 s[10:11], s[10:11], s[12:13]
	s_xor_b64 s[12:13], s[10:11], -1
	s_and_saveexec_b64 s[14:15], s[12:13]
	s_xor_b64 s[12:13], exec, s[14:15]
	s_cbranch_execz .LBB122_48
; %bb.47:                               ;   in Loop: Header=BB122_2 Depth=1
	ds_read_b64 v[6:7], v8 offset:8
	v_add_u32_e32 v60, 1, v60
                                        ; implicit-def: $vgpr62
.LBB122_48:                             ;   in Loop: Header=BB122_2 Depth=1
	s_or_saveexec_b64 s[12:13], s[12:13]
	v_mov_b64_e32 v[8:9], v[4:5]
	s_xor_b64 exec, exec, s[12:13]
	s_cbranch_execz .LBB122_1
; %bb.49:                               ;   in Loop: Header=BB122_2 Depth=1
	ds_read_b64 v[8:9], v62 offset:8
	v_add_u32_e32 v61, 1, v61
	s_waitcnt lgkmcnt(1)
	v_mov_b64_e32 v[6:7], v[2:3]
	s_branch .LBB122_1
.LBB122_50:
	s_add_u32 s0, s18, s22
	s_addc_u32 s1, s19, s23
	v_lshlrev_b32_e32 v0, 3, v0
	global_store_dwordx2 v0, v[2:3], s[0:1]
	global_store_dwordx2 v0, v[4:5], s[0:1] offset:512
	s_endpgm
	.section	.rodata,"a",@progbits
	.p2align	6, 0x0
	.amdhsa_kernel _Z16sort_keys_kernelIxLj64ELj2EN10test_utils4lessELj10EEvPKT_PS2_T2_
		.amdhsa_group_segment_fixed_size 1032
		.amdhsa_private_segment_fixed_size 0
		.amdhsa_kernarg_size 20
		.amdhsa_user_sgpr_count 2
		.amdhsa_user_sgpr_dispatch_ptr 0
		.amdhsa_user_sgpr_queue_ptr 0
		.amdhsa_user_sgpr_kernarg_segment_ptr 1
		.amdhsa_user_sgpr_dispatch_id 0
		.amdhsa_user_sgpr_kernarg_preload_length 0
		.amdhsa_user_sgpr_kernarg_preload_offset 0
		.amdhsa_user_sgpr_private_segment_size 0
		.amdhsa_uses_dynamic_stack 0
		.amdhsa_enable_private_segment 0
		.amdhsa_system_sgpr_workgroup_id_x 1
		.amdhsa_system_sgpr_workgroup_id_y 0
		.amdhsa_system_sgpr_workgroup_id_z 0
		.amdhsa_system_sgpr_workgroup_info 0
		.amdhsa_system_vgpr_workitem_id 0
		.amdhsa_next_free_vgpr 63
		.amdhsa_next_free_sgpr 24
		.amdhsa_accum_offset 64
		.amdhsa_reserve_vcc 1
		.amdhsa_float_round_mode_32 0
		.amdhsa_float_round_mode_16_64 0
		.amdhsa_float_denorm_mode_32 3
		.amdhsa_float_denorm_mode_16_64 3
		.amdhsa_dx10_clamp 1
		.amdhsa_ieee_mode 1
		.amdhsa_fp16_overflow 0
		.amdhsa_tg_split 0
		.amdhsa_exception_fp_ieee_invalid_op 0
		.amdhsa_exception_fp_denorm_src 0
		.amdhsa_exception_fp_ieee_div_zero 0
		.amdhsa_exception_fp_ieee_overflow 0
		.amdhsa_exception_fp_ieee_underflow 0
		.amdhsa_exception_fp_ieee_inexact 0
		.amdhsa_exception_int_div_zero 0
	.end_amdhsa_kernel
	.section	.text._Z16sort_keys_kernelIxLj64ELj2EN10test_utils4lessELj10EEvPKT_PS2_T2_,"axG",@progbits,_Z16sort_keys_kernelIxLj64ELj2EN10test_utils4lessELj10EEvPKT_PS2_T2_,comdat
.Lfunc_end122:
	.size	_Z16sort_keys_kernelIxLj64ELj2EN10test_utils4lessELj10EEvPKT_PS2_T2_, .Lfunc_end122-_Z16sort_keys_kernelIxLj64ELj2EN10test_utils4lessELj10EEvPKT_PS2_T2_
                                        ; -- End function
	.section	.AMDGPU.csdata,"",@progbits
; Kernel info:
; codeLenInByte = 2864
; NumSgprs: 30
; NumVgprs: 63
; NumAgprs: 0
; TotalNumVgprs: 63
; ScratchSize: 0
; MemoryBound: 0
; FloatMode: 240
; IeeeMode: 1
; LDSByteSize: 1032 bytes/workgroup (compile time only)
; SGPRBlocks: 3
; VGPRBlocks: 7
; NumSGPRsForWavesPerEU: 30
; NumVGPRsForWavesPerEU: 63
; AccumOffset: 64
; Occupancy: 8
; WaveLimiterHint : 1
; COMPUTE_PGM_RSRC2:SCRATCH_EN: 0
; COMPUTE_PGM_RSRC2:USER_SGPR: 2
; COMPUTE_PGM_RSRC2:TRAP_HANDLER: 0
; COMPUTE_PGM_RSRC2:TGID_X_EN: 1
; COMPUTE_PGM_RSRC2:TGID_Y_EN: 0
; COMPUTE_PGM_RSRC2:TGID_Z_EN: 0
; COMPUTE_PGM_RSRC2:TIDIG_COMP_CNT: 0
; COMPUTE_PGM_RSRC3_GFX90A:ACCUM_OFFSET: 15
; COMPUTE_PGM_RSRC3_GFX90A:TG_SPLIT: 0
	.section	.text._Z17sort_pairs_kernelIxLj64ELj2EN10test_utils4lessELj10EEvPKT_PS2_T2_,"axG",@progbits,_Z17sort_pairs_kernelIxLj64ELj2EN10test_utils4lessELj10EEvPKT_PS2_T2_,comdat
	.protected	_Z17sort_pairs_kernelIxLj64ELj2EN10test_utils4lessELj10EEvPKT_PS2_T2_ ; -- Begin function _Z17sort_pairs_kernelIxLj64ELj2EN10test_utils4lessELj10EEvPKT_PS2_T2_
	.globl	_Z17sort_pairs_kernelIxLj64ELj2EN10test_utils4lessELj10EEvPKT_PS2_T2_
	.p2align	8
	.type	_Z17sort_pairs_kernelIxLj64ELj2EN10test_utils4lessELj10EEvPKT_PS2_T2_,@function
_Z17sort_pairs_kernelIxLj64ELj2EN10test_utils4lessELj10EEvPKT_PS2_T2_: ; @_Z17sort_pairs_kernelIxLj64ELj2EN10test_utils4lessELj10EEvPKT_PS2_T2_
; %bb.0:
	s_load_dwordx4 s[16:19], s[0:1], 0x0
	s_lshl_b32 s22, s2, 7
	s_mov_b32 s23, 0
	s_lshl_b64 s[20:21], s[22:23], 3
	v_lshlrev_b32_e32 v1, 3, v0
	s_waitcnt lgkmcnt(0)
	s_add_u32 s0, s16, s20
	s_addc_u32 s1, s17, s21
	global_load_dwordx2 v[2:3], v1, s[0:1]
	global_load_dwordx2 v[4:5], v1, s[0:1] offset:512
	v_lshlrev_b32_e32 v18, 1, v0
	v_and_b32_e32 v20, 0x7c, v18
	v_and_b32_e32 v22, 0x78, v18
	v_or_b32_e32 v32, 2, v20
	v_add_u32_e32 v33, 4, v20
	v_and_b32_e32 v21, 2, v18
	v_and_b32_e32 v24, 0x70, v18
	v_or_b32_e32 v35, 4, v22
	v_add_u32_e32 v36, 8, v22
	v_sub_u32_e32 v7, v33, v32
	v_and_b32_e32 v23, 6, v18
	v_and_b32_e32 v26, 0x60, v18
	v_or_b32_e32 v38, 8, v24
	v_add_u32_e32 v39, 16, v24
	v_sub_u32_e32 v6, v32, v20
	v_sub_u32_e32 v9, v36, v35
	;; [unrolled: 1-line block ×3, first 2 shown]
	v_cmp_ge_i32_e32 vcc, v21, v7
	v_and_b32_e32 v25, 14, v18
	v_and_b32_e32 v28, 64, v18
	v_or_b32_e32 v41, 16, v26
	v_add_u32_e32 v42, 32, v26
	v_sub_u32_e32 v8, v35, v22
	v_sub_u32_e32 v11, v39, v38
	v_min_i32_e32 v57, v21, v6
	v_sub_u32_e32 v6, v23, v9
	v_cndmask_b32_e32 v62, 0, v16, vcc
	v_cmp_ge_i32_e32 vcc, v23, v9
	v_and_b32_e32 v27, 30, v18
	v_or_b32_e32 v44, 32, v28
	v_add_u32_e32 v45, 64, v28
	v_sub_u32_e32 v10, v38, v24
	v_sub_u32_e32 v13, v42, v41
	v_min_i32_e32 v58, v23, v8
	v_sub_u32_e32 v8, v25, v11
	v_cndmask_b32_e32 v63, 0, v6, vcc
	v_cmp_ge_i32_e32 vcc, v25, v11
	v_and_b32_e32 v29, 62, v18
	v_sub_u32_e32 v12, v41, v26
	v_sub_u32_e32 v15, v45, v44
	v_min_i32_e32 v59, v25, v10
	v_sub_u32_e32 v10, v27, v13
	v_cndmask_b32_e32 v64, 0, v8, vcc
	v_cmp_ge_i32_e32 vcc, v27, v13
	v_sub_u32_e32 v14, v44, v28
	v_min_i32_e32 v60, v27, v12
	v_sub_u32_e32 v12, v29, v15
	v_cndmask_b32_e32 v65, 0, v10, vcc
	v_cmp_ge_i32_e32 vcc, v29, v15
	v_sub_u32_e64 v30, v18, 64 clamp
	v_min_i32_e32 v31, 64, v18
	v_min_i32_e32 v61, v29, v14
	v_cndmask_b32_e32 v66, 0, v12, vcc
	v_mov_b32_e32 v1, 0x200
	v_lshlrev_b32_e32 v19, 4, v0
	v_lshlrev_b32_e32 v34, 3, v20
	;; [unrolled: 1-line block ×7, first 2 shown]
	v_add_u32_e32 v48, v32, v21
	v_lshlrev_b32_e32 v49, 3, v35
	v_add_u32_e32 v50, v35, v23
	v_lshlrev_b32_e32 v51, 3, v38
	;; [unrolled: 2-line block ×4, first 2 shown]
	v_add_u32_e32 v56, v44, v29
	v_cmp_lt_i32_e32 vcc, v62, v57
	v_cmp_lt_i32_e64 s[0:1], v63, v58
	v_cmp_lt_i32_e64 s[2:3], v64, v59
	;; [unrolled: 1-line block ×5, first 2 shown]
	s_movk_i32 s22, 0x80
	v_add_u32_e32 v67, 64, v18
	s_waitcnt vmcnt(1)
	v_lshl_add_u64 v[6:7], v[2:3], 0, 1
	s_waitcnt vmcnt(0)
	v_lshl_add_u64 v[8:9], v[4:5], 0, 1
	s_branch .LBB123_2
.LBB123_1:                              ;   in Loop: Header=BB123_2 Depth=1
	s_or_b64 exec, exec, s[12:13]
	v_cmp_le_i32_e64 s[14:15], 64, v13
	s_waitcnt lgkmcnt(0)
	v_cmp_lt_i64_e64 s[16:17], v[16:17], v[14:15]
	v_cmp_gt_i32_e64 s[12:13], s22, v12
	s_or_b64 s[14:15], s[14:15], s[16:17]
	s_and_b64 s[12:13], s[12:13], s[14:15]
	v_cndmask_b32_e64 v3, v5, v11, s[10:11]
	v_cndmask_b32_e64 v11, v13, v12, s[12:13]
	s_waitcnt lgkmcnt(0)
	; wave barrier
	ds_write2_b64 v19, v[6:7], v[8:9] offset1:1
	v_lshlrev_b32_e32 v2, 3, v2
	v_lshlrev_b32_e32 v8, 3, v11
	s_waitcnt lgkmcnt(0)
	; wave barrier
	s_waitcnt lgkmcnt(0)
	ds_read_b64 v[6:7], v2
	ds_read_b64 v[8:9], v8
	s_add_i32 s23, s23, 1
	v_cndmask_b32_e64 v5, v15, v17, s[12:13]
	v_cndmask_b32_e64 v2, v4, v10, s[10:11]
	s_cmp_eq_u32 s23, 10
	v_cndmask_b32_e64 v4, v14, v16, s[12:13]
	s_cbranch_scc1 .LBB123_50
.LBB123_2:                              ; =>This Loop Header: Depth=1
                                        ;     Child Loop BB123_4 Depth 2
                                        ;     Child Loop BB123_12 Depth 2
	;; [unrolled: 1-line block ×6, first 2 shown]
	v_cmp_lt_i64_e64 s[10:11], v[4:5], v[2:3]
	s_waitcnt lgkmcnt(0)
	; wave barrier
	s_nop 0
	v_cndmask_b32_e64 v11, v5, v3, s[10:11]
	v_cndmask_b32_e64 v10, v4, v2, s[10:11]
	;; [unrolled: 1-line block ×4, first 2 shown]
	ds_write2_b64 v19, v[2:3], v[10:11] offset1:1
	v_mov_b32_e32 v2, v62
	s_waitcnt lgkmcnt(0)
	; wave barrier
	s_waitcnt lgkmcnt(0)
	s_and_saveexec_b64 s[14:15], vcc
	s_cbranch_execz .LBB123_6
; %bb.3:                                ;   in Loop: Header=BB123_2 Depth=1
	s_mov_b64 s[16:17], 0
	v_mov_b32_e32 v2, v62
	v_mov_b32_e32 v3, v57
.LBB123_4:                              ;   Parent Loop BB123_2 Depth=1
                                        ; =>  This Inner Loop Header: Depth=2
	v_sub_u32_e32 v4, v3, v2
	v_lshrrev_b32_e32 v5, 31, v4
	v_add_u32_e32 v4, v4, v5
	v_ashrrev_i32_e32 v4, 1, v4
	v_add_u32_e32 v12, v4, v2
	v_xad_u32 v5, v12, -1, v21
	v_lshl_add_u32 v4, v12, 3, v34
	v_lshl_add_u32 v10, v5, 3, v47
	ds_read_b64 v[4:5], v4
	ds_read_b64 v[10:11], v10
	v_add_u32_e32 v13, 1, v12
	s_waitcnt lgkmcnt(0)
	v_cmp_lt_i64_e64 s[12:13], v[10:11], v[4:5]
	s_nop 1
	v_cndmask_b32_e64 v3, v3, v12, s[12:13]
	v_cndmask_b32_e64 v2, v13, v2, s[12:13]
	v_cmp_ge_i32_e64 s[12:13], v2, v3
	s_or_b64 s[16:17], s[12:13], s[16:17]
	s_andn2_b64 exec, exec, s[16:17]
	s_cbranch_execnz .LBB123_4
; %bb.5:                                ;   in Loop: Header=BB123_2 Depth=1
	s_or_b64 exec, exec, s[16:17]
.LBB123_6:                              ;   in Loop: Header=BB123_2 Depth=1
	s_or_b64 exec, exec, s[14:15]
	v_sub_u32_e32 v14, v48, v2
	v_lshl_add_u32 v12, v2, 3, v34
	v_lshlrev_b32_e32 v16, 3, v14
	ds_read_b64 v[4:5], v12
	ds_read_b64 v[10:11], v16
	v_add_u32_e32 v15, v2, v20
	v_cmp_le_i32_e64 s[14:15], v32, v15
	v_cmp_gt_i32_e64 s[12:13], v33, v14
                                        ; implicit-def: $vgpr2_vgpr3
	s_waitcnt lgkmcnt(0)
	v_cmp_lt_i64_e64 s[16:17], v[10:11], v[4:5]
	s_or_b64 s[14:15], s[14:15], s[16:17]
	s_and_b64 s[12:13], s[12:13], s[14:15]
	s_xor_b64 s[14:15], s[12:13], -1
	s_and_saveexec_b64 s[16:17], s[14:15]
	s_xor_b64 s[14:15], exec, s[16:17]
	s_cbranch_execz .LBB123_8
; %bb.7:                                ;   in Loop: Header=BB123_2 Depth=1
	ds_read_b64 v[2:3], v12 offset:8
                                        ; implicit-def: $vgpr16
.LBB123_8:                              ;   in Loop: Header=BB123_2 Depth=1
	s_or_saveexec_b64 s[14:15], s[14:15]
	v_mov_b64_e32 v[12:13], v[10:11]
	s_xor_b64 exec, exec, s[14:15]
	s_cbranch_execz .LBB123_10
; %bb.9:                                ;   in Loop: Header=BB123_2 Depth=1
	ds_read_b64 v[12:13], v16 offset:8
	s_waitcnt lgkmcnt(1)
	v_mov_b64_e32 v[2:3], v[4:5]
.LBB123_10:                             ;   in Loop: Header=BB123_2 Depth=1
	s_or_b64 exec, exec, s[14:15]
	v_cndmask_b32_e64 v11, v5, v11, s[12:13]
	v_add_u32_e32 v5, 1, v15
	v_cndmask_b32_e64 v10, v4, v10, s[12:13]
	v_add_u32_e32 v4, 1, v14
	v_cndmask_b32_e64 v17, v5, v15, s[12:13]
	v_cndmask_b32_e64 v16, v14, v4, s[12:13]
	;; [unrolled: 1-line block ×3, first 2 shown]
	v_cmp_ge_i32_e64 s[12:13], v17, v32
	s_waitcnt lgkmcnt(0)
	v_cmp_lt_i64_e64 s[14:15], v[12:13], v[2:3]
	v_cndmask_b32_e64 v5, v9, v7, s[10:11]
	v_cndmask_b32_e64 v4, v8, v6, s[10:11]
	;; [unrolled: 1-line block ×4, first 2 shown]
	v_cmp_lt_i32_e64 s[10:11], v16, v33
	s_or_b64 s[12:13], s[12:13], s[14:15]
	s_and_b64 s[10:11], s[10:11], s[12:13]
	v_cndmask_b32_e64 v8, v2, v12, s[10:11]
	v_cndmask_b32_e64 v2, v17, v16, s[10:11]
	;; [unrolled: 1-line block ×3, first 2 shown]
	s_waitcnt lgkmcnt(0)
	; wave barrier
	ds_write2_b64 v19, v[6:7], v[4:5] offset1:1
	v_lshlrev_b32_e32 v3, 3, v14
	v_lshlrev_b32_e32 v4, 3, v2
	s_waitcnt lgkmcnt(0)
	; wave barrier
	s_waitcnt lgkmcnt(0)
	ds_read_b64 v[2:3], v3
	ds_read_b64 v[4:5], v4
	s_waitcnt lgkmcnt(0)
	; wave barrier
	s_waitcnt lgkmcnt(0)
	ds_write2_b64 v19, v[10:11], v[8:9] offset1:1
	v_mov_b32_e32 v10, v63
	s_waitcnt lgkmcnt(0)
	; wave barrier
	s_waitcnt lgkmcnt(0)
	s_and_saveexec_b64 s[12:13], s[0:1]
	s_cbranch_execz .LBB123_14
; %bb.11:                               ;   in Loop: Header=BB123_2 Depth=1
	s_mov_b64 s[14:15], 0
	v_mov_b32_e32 v10, v63
	v_mov_b32_e32 v6, v58
.LBB123_12:                             ;   Parent Loop BB123_2 Depth=1
                                        ; =>  This Inner Loop Header: Depth=2
	v_sub_u32_e32 v7, v6, v10
	v_lshrrev_b32_e32 v8, 31, v7
	v_add_u32_e32 v7, v7, v8
	v_ashrrev_i32_e32 v7, 1, v7
	v_add_u32_e32 v7, v7, v10
	v_lshl_add_u32 v8, v7, 3, v37
	v_xad_u32 v9, v7, -1, v23
	v_lshl_add_u32 v11, v9, 3, v49
	ds_read_b64 v[8:9], v8
	ds_read_b64 v[12:13], v11
	v_add_u32_e32 v11, 1, v7
	s_waitcnt lgkmcnt(0)
	v_cmp_lt_i64_e64 s[10:11], v[12:13], v[8:9]
	s_nop 1
	v_cndmask_b32_e64 v6, v6, v7, s[10:11]
	v_cndmask_b32_e64 v10, v11, v10, s[10:11]
	v_cmp_ge_i32_e64 s[10:11], v10, v6
	s_or_b64 s[14:15], s[10:11], s[14:15]
	s_andn2_b64 exec, exec, s[14:15]
	s_cbranch_execnz .LBB123_12
; %bb.13:                               ;   in Loop: Header=BB123_2 Depth=1
	s_or_b64 exec, exec, s[14:15]
.LBB123_14:                             ;   in Loop: Header=BB123_2 Depth=1
	s_or_b64 exec, exec, s[12:13]
	v_sub_u32_e32 v14, v50, v10
	v_lshl_add_u32 v12, v10, 3, v37
	v_lshlrev_b32_e32 v16, 3, v14
	ds_read_b64 v[6:7], v12
	ds_read_b64 v[8:9], v16
	v_add_u32_e32 v15, v10, v22
	v_cmp_le_i32_e64 s[12:13], v35, v15
	v_cmp_gt_i32_e64 s[10:11], v36, v14
                                        ; implicit-def: $vgpr10_vgpr11
	s_waitcnt lgkmcnt(0)
	v_cmp_lt_i64_e64 s[14:15], v[8:9], v[6:7]
	s_or_b64 s[12:13], s[12:13], s[14:15]
	s_and_b64 s[10:11], s[10:11], s[12:13]
	s_xor_b64 s[12:13], s[10:11], -1
	s_and_saveexec_b64 s[14:15], s[12:13]
	s_xor_b64 s[12:13], exec, s[14:15]
	s_cbranch_execz .LBB123_16
; %bb.15:                               ;   in Loop: Header=BB123_2 Depth=1
	ds_read_b64 v[10:11], v12 offset:8
                                        ; implicit-def: $vgpr16
.LBB123_16:                             ;   in Loop: Header=BB123_2 Depth=1
	s_or_saveexec_b64 s[12:13], s[12:13]
	v_mov_b64_e32 v[12:13], v[8:9]
	s_xor_b64 exec, exec, s[12:13]
	s_cbranch_execz .LBB123_18
; %bb.17:                               ;   in Loop: Header=BB123_2 Depth=1
	ds_read_b64 v[12:13], v16 offset:8
	s_waitcnt lgkmcnt(1)
	v_mov_b64_e32 v[10:11], v[6:7]
.LBB123_18:                             ;   in Loop: Header=BB123_2 Depth=1
	s_or_b64 exec, exec, s[12:13]
	v_cndmask_b32_e64 v7, v7, v9, s[10:11]
	v_add_u32_e32 v9, 1, v15
	v_cndmask_b32_e64 v6, v6, v8, s[10:11]
	v_add_u32_e32 v8, 1, v14
	v_cndmask_b32_e64 v17, v9, v15, s[10:11]
	v_cndmask_b32_e64 v16, v14, v8, s[10:11]
	v_cmp_ge_i32_e64 s[12:13], v17, v35
	s_waitcnt lgkmcnt(0)
	v_cmp_lt_i64_e64 s[14:15], v[12:13], v[10:11]
	v_cndmask_b32_e64 v14, v15, v14, s[10:11]
	v_cmp_lt_i32_e64 s[10:11], v16, v36
	s_or_b64 s[12:13], s[12:13], s[14:15]
	s_and_b64 s[10:11], s[10:11], s[12:13]
	v_cndmask_b32_e64 v8, v10, v12, s[10:11]
	v_cndmask_b32_e64 v10, v17, v16, s[10:11]
	s_waitcnt lgkmcnt(0)
	; wave barrier
	ds_write2_b64 v19, v[2:3], v[4:5] offset1:1
	v_lshlrev_b32_e32 v2, 3, v14
	v_lshlrev_b32_e32 v4, 3, v10
	s_waitcnt lgkmcnt(0)
	; wave barrier
	s_waitcnt lgkmcnt(0)
	ds_read_b64 v[2:3], v2
	ds_read_b64 v[4:5], v4
	v_cndmask_b32_e64 v9, v11, v13, s[10:11]
	v_mov_b32_e32 v10, v64
	s_waitcnt lgkmcnt(0)
	; wave barrier
	s_waitcnt lgkmcnt(0)
	ds_write2_b64 v19, v[6:7], v[8:9] offset1:1
	s_waitcnt lgkmcnt(0)
	; wave barrier
	s_waitcnt lgkmcnt(0)
	s_and_saveexec_b64 s[12:13], s[2:3]
	s_cbranch_execz .LBB123_22
; %bb.19:                               ;   in Loop: Header=BB123_2 Depth=1
	s_mov_b64 s[14:15], 0
	v_mov_b32_e32 v10, v64
	v_mov_b32_e32 v6, v59
.LBB123_20:                             ;   Parent Loop BB123_2 Depth=1
                                        ; =>  This Inner Loop Header: Depth=2
	v_sub_u32_e32 v7, v6, v10
	v_lshrrev_b32_e32 v8, 31, v7
	v_add_u32_e32 v7, v7, v8
	v_ashrrev_i32_e32 v7, 1, v7
	v_add_u32_e32 v7, v7, v10
	v_lshl_add_u32 v8, v7, 3, v40
	v_xad_u32 v9, v7, -1, v25
	v_lshl_add_u32 v11, v9, 3, v51
	ds_read_b64 v[8:9], v8
	ds_read_b64 v[12:13], v11
	v_add_u32_e32 v11, 1, v7
	s_waitcnt lgkmcnt(0)
	v_cmp_lt_i64_e64 s[10:11], v[12:13], v[8:9]
	s_nop 1
	v_cndmask_b32_e64 v6, v6, v7, s[10:11]
	v_cndmask_b32_e64 v10, v11, v10, s[10:11]
	v_cmp_ge_i32_e64 s[10:11], v10, v6
	s_or_b64 s[14:15], s[10:11], s[14:15]
	s_andn2_b64 exec, exec, s[14:15]
	s_cbranch_execnz .LBB123_20
; %bb.21:                               ;   in Loop: Header=BB123_2 Depth=1
	s_or_b64 exec, exec, s[14:15]
.LBB123_22:                             ;   in Loop: Header=BB123_2 Depth=1
	s_or_b64 exec, exec, s[12:13]
	v_sub_u32_e32 v14, v52, v10
	v_lshl_add_u32 v12, v10, 3, v40
	v_lshlrev_b32_e32 v16, 3, v14
	ds_read_b64 v[6:7], v12
	ds_read_b64 v[8:9], v16
	v_add_u32_e32 v15, v10, v24
	v_cmp_le_i32_e64 s[12:13], v38, v15
	v_cmp_gt_i32_e64 s[10:11], v39, v14
                                        ; implicit-def: $vgpr10_vgpr11
	s_waitcnt lgkmcnt(0)
	v_cmp_lt_i64_e64 s[14:15], v[8:9], v[6:7]
	s_or_b64 s[12:13], s[12:13], s[14:15]
	s_and_b64 s[10:11], s[10:11], s[12:13]
	s_xor_b64 s[12:13], s[10:11], -1
	s_and_saveexec_b64 s[14:15], s[12:13]
	s_xor_b64 s[12:13], exec, s[14:15]
	s_cbranch_execz .LBB123_24
; %bb.23:                               ;   in Loop: Header=BB123_2 Depth=1
	ds_read_b64 v[10:11], v12 offset:8
                                        ; implicit-def: $vgpr16
.LBB123_24:                             ;   in Loop: Header=BB123_2 Depth=1
	s_or_saveexec_b64 s[12:13], s[12:13]
	v_mov_b64_e32 v[12:13], v[8:9]
	s_xor_b64 exec, exec, s[12:13]
	s_cbranch_execz .LBB123_26
; %bb.25:                               ;   in Loop: Header=BB123_2 Depth=1
	ds_read_b64 v[12:13], v16 offset:8
	s_waitcnt lgkmcnt(1)
	v_mov_b64_e32 v[10:11], v[6:7]
.LBB123_26:                             ;   in Loop: Header=BB123_2 Depth=1
	s_or_b64 exec, exec, s[12:13]
	v_cndmask_b32_e64 v7, v7, v9, s[10:11]
	v_add_u32_e32 v9, 1, v15
	v_cndmask_b32_e64 v6, v6, v8, s[10:11]
	v_add_u32_e32 v8, 1, v14
	v_cndmask_b32_e64 v17, v9, v15, s[10:11]
	v_cndmask_b32_e64 v16, v14, v8, s[10:11]
	v_cmp_ge_i32_e64 s[12:13], v17, v38
	s_waitcnt lgkmcnt(0)
	v_cmp_lt_i64_e64 s[14:15], v[12:13], v[10:11]
	v_cndmask_b32_e64 v14, v15, v14, s[10:11]
	v_cmp_lt_i32_e64 s[10:11], v16, v39
	s_or_b64 s[12:13], s[12:13], s[14:15]
	s_and_b64 s[10:11], s[10:11], s[12:13]
	v_cndmask_b32_e64 v8, v10, v12, s[10:11]
	v_cndmask_b32_e64 v10, v17, v16, s[10:11]
	s_waitcnt lgkmcnt(0)
	; wave barrier
	ds_write2_b64 v19, v[2:3], v[4:5] offset1:1
	v_lshlrev_b32_e32 v2, 3, v14
	v_lshlrev_b32_e32 v4, 3, v10
	s_waitcnt lgkmcnt(0)
	; wave barrier
	s_waitcnt lgkmcnt(0)
	ds_read_b64 v[2:3], v2
	ds_read_b64 v[4:5], v4
	v_cndmask_b32_e64 v9, v11, v13, s[10:11]
	v_mov_b32_e32 v10, v65
	s_waitcnt lgkmcnt(0)
	; wave barrier
	s_waitcnt lgkmcnt(0)
	ds_write2_b64 v19, v[6:7], v[8:9] offset1:1
	s_waitcnt lgkmcnt(0)
	; wave barrier
	s_waitcnt lgkmcnt(0)
	s_and_saveexec_b64 s[12:13], s[4:5]
	s_cbranch_execz .LBB123_30
; %bb.27:                               ;   in Loop: Header=BB123_2 Depth=1
	s_mov_b64 s[14:15], 0
	v_mov_b32_e32 v10, v65
	v_mov_b32_e32 v6, v60
.LBB123_28:                             ;   Parent Loop BB123_2 Depth=1
                                        ; =>  This Inner Loop Header: Depth=2
	v_sub_u32_e32 v7, v6, v10
	v_lshrrev_b32_e32 v8, 31, v7
	v_add_u32_e32 v7, v7, v8
	v_ashrrev_i32_e32 v7, 1, v7
	v_add_u32_e32 v7, v7, v10
	v_lshl_add_u32 v8, v7, 3, v43
	v_xad_u32 v9, v7, -1, v27
	v_lshl_add_u32 v11, v9, 3, v53
	ds_read_b64 v[8:9], v8
	ds_read_b64 v[12:13], v11
	v_add_u32_e32 v11, 1, v7
	s_waitcnt lgkmcnt(0)
	v_cmp_lt_i64_e64 s[10:11], v[12:13], v[8:9]
	s_nop 1
	v_cndmask_b32_e64 v6, v6, v7, s[10:11]
	v_cndmask_b32_e64 v10, v11, v10, s[10:11]
	v_cmp_ge_i32_e64 s[10:11], v10, v6
	s_or_b64 s[14:15], s[10:11], s[14:15]
	s_andn2_b64 exec, exec, s[14:15]
	s_cbranch_execnz .LBB123_28
; %bb.29:                               ;   in Loop: Header=BB123_2 Depth=1
	s_or_b64 exec, exec, s[14:15]
.LBB123_30:                             ;   in Loop: Header=BB123_2 Depth=1
	s_or_b64 exec, exec, s[12:13]
	v_sub_u32_e32 v14, v54, v10
	v_lshl_add_u32 v12, v10, 3, v43
	v_lshlrev_b32_e32 v16, 3, v14
	ds_read_b64 v[6:7], v12
	ds_read_b64 v[8:9], v16
	v_add_u32_e32 v15, v10, v26
	v_cmp_le_i32_e64 s[12:13], v41, v15
	v_cmp_gt_i32_e64 s[10:11], v42, v14
                                        ; implicit-def: $vgpr10_vgpr11
	s_waitcnt lgkmcnt(0)
	v_cmp_lt_i64_e64 s[14:15], v[8:9], v[6:7]
	s_or_b64 s[12:13], s[12:13], s[14:15]
	s_and_b64 s[10:11], s[10:11], s[12:13]
	s_xor_b64 s[12:13], s[10:11], -1
	s_and_saveexec_b64 s[14:15], s[12:13]
	s_xor_b64 s[12:13], exec, s[14:15]
	s_cbranch_execz .LBB123_32
; %bb.31:                               ;   in Loop: Header=BB123_2 Depth=1
	ds_read_b64 v[10:11], v12 offset:8
                                        ; implicit-def: $vgpr16
.LBB123_32:                             ;   in Loop: Header=BB123_2 Depth=1
	s_or_saveexec_b64 s[12:13], s[12:13]
	v_mov_b64_e32 v[12:13], v[8:9]
	s_xor_b64 exec, exec, s[12:13]
	s_cbranch_execz .LBB123_34
; %bb.33:                               ;   in Loop: Header=BB123_2 Depth=1
	ds_read_b64 v[12:13], v16 offset:8
	s_waitcnt lgkmcnt(1)
	v_mov_b64_e32 v[10:11], v[6:7]
.LBB123_34:                             ;   in Loop: Header=BB123_2 Depth=1
	s_or_b64 exec, exec, s[12:13]
	v_cndmask_b32_e64 v7, v7, v9, s[10:11]
	v_add_u32_e32 v9, 1, v15
	v_cndmask_b32_e64 v6, v6, v8, s[10:11]
	v_add_u32_e32 v8, 1, v14
	v_cndmask_b32_e64 v17, v9, v15, s[10:11]
	v_cndmask_b32_e64 v16, v14, v8, s[10:11]
	v_cmp_ge_i32_e64 s[12:13], v17, v41
	s_waitcnt lgkmcnt(0)
	v_cmp_lt_i64_e64 s[14:15], v[12:13], v[10:11]
	v_cndmask_b32_e64 v14, v15, v14, s[10:11]
	v_cmp_lt_i32_e64 s[10:11], v16, v42
	s_or_b64 s[12:13], s[12:13], s[14:15]
	s_and_b64 s[10:11], s[10:11], s[12:13]
	v_cndmask_b32_e64 v8, v10, v12, s[10:11]
	v_cndmask_b32_e64 v10, v17, v16, s[10:11]
	s_waitcnt lgkmcnt(0)
	; wave barrier
	ds_write2_b64 v19, v[2:3], v[4:5] offset1:1
	v_lshlrev_b32_e32 v2, 3, v14
	v_lshlrev_b32_e32 v4, 3, v10
	s_waitcnt lgkmcnt(0)
	; wave barrier
	s_waitcnt lgkmcnt(0)
	ds_read_b64 v[2:3], v2
	ds_read_b64 v[4:5], v4
	v_cndmask_b32_e64 v9, v11, v13, s[10:11]
	v_mov_b32_e32 v10, v66
	s_waitcnt lgkmcnt(0)
	; wave barrier
	s_waitcnt lgkmcnt(0)
	ds_write2_b64 v19, v[6:7], v[8:9] offset1:1
	s_waitcnt lgkmcnt(0)
	; wave barrier
	s_waitcnt lgkmcnt(0)
	s_and_saveexec_b64 s[12:13], s[6:7]
	s_cbranch_execz .LBB123_38
; %bb.35:                               ;   in Loop: Header=BB123_2 Depth=1
	s_mov_b64 s[14:15], 0
	v_mov_b32_e32 v10, v66
	v_mov_b32_e32 v6, v61
.LBB123_36:                             ;   Parent Loop BB123_2 Depth=1
                                        ; =>  This Inner Loop Header: Depth=2
	v_sub_u32_e32 v7, v6, v10
	v_lshrrev_b32_e32 v8, 31, v7
	v_add_u32_e32 v7, v7, v8
	v_ashrrev_i32_e32 v7, 1, v7
	v_add_u32_e32 v7, v7, v10
	v_lshl_add_u32 v8, v7, 3, v46
	v_xad_u32 v9, v7, -1, v29
	v_lshl_add_u32 v11, v9, 3, v55
	ds_read_b64 v[8:9], v8
	ds_read_b64 v[12:13], v11
	v_add_u32_e32 v11, 1, v7
	s_waitcnt lgkmcnt(0)
	v_cmp_lt_i64_e64 s[10:11], v[12:13], v[8:9]
	s_nop 1
	v_cndmask_b32_e64 v6, v6, v7, s[10:11]
	v_cndmask_b32_e64 v10, v11, v10, s[10:11]
	v_cmp_ge_i32_e64 s[10:11], v10, v6
	s_or_b64 s[14:15], s[10:11], s[14:15]
	s_andn2_b64 exec, exec, s[14:15]
	s_cbranch_execnz .LBB123_36
; %bb.37:                               ;   in Loop: Header=BB123_2 Depth=1
	s_or_b64 exec, exec, s[14:15]
.LBB123_38:                             ;   in Loop: Header=BB123_2 Depth=1
	s_or_b64 exec, exec, s[12:13]
	v_sub_u32_e32 v14, v56, v10
	v_lshl_add_u32 v12, v10, 3, v46
	v_lshlrev_b32_e32 v16, 3, v14
	ds_read_b64 v[6:7], v12
	ds_read_b64 v[8:9], v16
	v_add_u32_e32 v15, v10, v28
	v_cmp_le_i32_e64 s[12:13], v44, v15
	v_cmp_gt_i32_e64 s[10:11], v45, v14
                                        ; implicit-def: $vgpr10_vgpr11
	s_waitcnt lgkmcnt(0)
	v_cmp_lt_i64_e64 s[14:15], v[8:9], v[6:7]
	s_or_b64 s[12:13], s[12:13], s[14:15]
	s_and_b64 s[10:11], s[10:11], s[12:13]
	s_xor_b64 s[12:13], s[10:11], -1
	s_and_saveexec_b64 s[14:15], s[12:13]
	s_xor_b64 s[12:13], exec, s[14:15]
	s_cbranch_execz .LBB123_40
; %bb.39:                               ;   in Loop: Header=BB123_2 Depth=1
	ds_read_b64 v[10:11], v12 offset:8
                                        ; implicit-def: $vgpr16
.LBB123_40:                             ;   in Loop: Header=BB123_2 Depth=1
	s_or_saveexec_b64 s[12:13], s[12:13]
	v_mov_b64_e32 v[12:13], v[8:9]
	s_xor_b64 exec, exec, s[12:13]
	s_cbranch_execz .LBB123_42
; %bb.41:                               ;   in Loop: Header=BB123_2 Depth=1
	ds_read_b64 v[12:13], v16 offset:8
	s_waitcnt lgkmcnt(1)
	v_mov_b64_e32 v[10:11], v[6:7]
.LBB123_42:                             ;   in Loop: Header=BB123_2 Depth=1
	s_or_b64 exec, exec, s[12:13]
	v_cndmask_b32_e64 v17, v7, v9, s[10:11]
	v_add_u32_e32 v7, 1, v15
	v_cndmask_b32_e64 v16, v6, v8, s[10:11]
	v_add_u32_e32 v6, 1, v14
	v_cndmask_b32_e64 v7, v7, v15, s[10:11]
	v_cndmask_b32_e64 v6, v14, v6, s[10:11]
	v_cmp_ge_i32_e64 s[12:13], v7, v44
	s_waitcnt lgkmcnt(0)
	v_cmp_lt_i64_e64 s[14:15], v[12:13], v[10:11]
	v_cndmask_b32_e64 v8, v15, v14, s[10:11]
	v_cmp_lt_i32_e64 s[10:11], v6, v45
	s_or_b64 s[12:13], s[12:13], s[14:15]
	s_and_b64 s[10:11], s[10:11], s[12:13]
	v_cndmask_b32_e64 v6, v7, v6, s[10:11]
	s_waitcnt lgkmcnt(0)
	; wave barrier
	ds_write2_b64 v19, v[2:3], v[4:5] offset1:1
	v_lshlrev_b32_e32 v2, 3, v8
	s_waitcnt lgkmcnt(0)
	; wave barrier
	s_waitcnt lgkmcnt(0)
	v_lshlrev_b32_e32 v3, 3, v6
	ds_read_b64 v[6:7], v2
	ds_read_b64 v[8:9], v3
	v_cndmask_b32_e64 v11, v11, v13, s[10:11]
	v_cndmask_b32_e64 v10, v10, v12, s[10:11]
	v_mov_b32_e32 v2, v30
	s_waitcnt lgkmcnt(0)
	; wave barrier
	s_waitcnt lgkmcnt(0)
	ds_write2_b64 v19, v[16:17], v[10:11] offset1:1
	s_waitcnt lgkmcnt(0)
	; wave barrier
	s_waitcnt lgkmcnt(0)
	s_and_saveexec_b64 s[12:13], s[8:9]
	s_cbranch_execz .LBB123_46
; %bb.43:                               ;   in Loop: Header=BB123_2 Depth=1
	s_mov_b64 s[14:15], 0
	v_mov_b32_e32 v2, v30
	v_mov_b32_e32 v3, v31
.LBB123_44:                             ;   Parent Loop BB123_2 Depth=1
                                        ; =>  This Inner Loop Header: Depth=2
	v_sub_u32_e32 v4, v3, v2
	v_lshrrev_b32_e32 v5, 31, v4
	v_add_u32_e32 v4, v4, v5
	v_ashrrev_i32_e32 v4, 1, v4
	v_add_u32_e32 v12, v4, v2
	v_xad_u32 v5, v12, -1, v18
	v_lshlrev_b32_e32 v4, 3, v12
	v_lshl_add_u32 v10, v5, 3, v1
	ds_read_b64 v[4:5], v4
	ds_read_b64 v[10:11], v10
	v_add_u32_e32 v13, 1, v12
	s_waitcnt lgkmcnt(0)
	v_cmp_lt_i64_e64 s[10:11], v[10:11], v[4:5]
	s_nop 1
	v_cndmask_b32_e64 v3, v3, v12, s[10:11]
	v_cndmask_b32_e64 v2, v13, v2, s[10:11]
	v_cmp_ge_i32_e64 s[10:11], v2, v3
	s_or_b64 s[14:15], s[10:11], s[14:15]
	s_andn2_b64 exec, exec, s[14:15]
	s_cbranch_execnz .LBB123_44
; %bb.45:                               ;   in Loop: Header=BB123_2 Depth=1
	s_or_b64 exec, exec, s[14:15]
.LBB123_46:                             ;   in Loop: Header=BB123_2 Depth=1
	s_or_b64 exec, exec, s[12:13]
	v_sub_u32_e32 v12, v67, v2
	v_lshlrev_b32_e32 v16, 3, v2
	v_lshlrev_b32_e32 v3, 3, v12
	ds_read_b64 v[4:5], v16
	ds_read_b64 v[10:11], v3
	v_cmp_le_i32_e64 s[12:13], 64, v2
	v_cmp_gt_i32_e64 s[10:11], s22, v12
                                        ; implicit-def: $vgpr14_vgpr15
                                        ; implicit-def: $vgpr13
	s_waitcnt lgkmcnt(0)
	v_cmp_lt_i64_e64 s[14:15], v[10:11], v[4:5]
	s_or_b64 s[12:13], s[12:13], s[14:15]
	s_and_b64 s[10:11], s[10:11], s[12:13]
	s_xor_b64 s[12:13], s[10:11], -1
	s_and_saveexec_b64 s[14:15], s[12:13]
	s_xor_b64 s[12:13], exec, s[14:15]
	s_cbranch_execz .LBB123_48
; %bb.47:                               ;   in Loop: Header=BB123_2 Depth=1
	ds_read_b64 v[14:15], v16 offset:8
	v_add_u32_e32 v13, 1, v2
                                        ; implicit-def: $vgpr3
.LBB123_48:                             ;   in Loop: Header=BB123_2 Depth=1
	s_or_saveexec_b64 s[12:13], s[12:13]
	v_mov_b64_e32 v[16:17], v[10:11]
	s_xor_b64 exec, exec, s[12:13]
	s_cbranch_execz .LBB123_1
; %bb.49:                               ;   in Loop: Header=BB123_2 Depth=1
	ds_read_b64 v[16:17], v3 offset:8
	v_mov_b32_e32 v13, v2
	s_waitcnt lgkmcnt(1)
	v_add_u32_e32 v14, 1, v12
	v_mov_b64_e32 v[2:3], v[12:13]
	v_mov_b32_e32 v12, v14
	v_mov_b64_e32 v[14:15], v[4:5]
	s_branch .LBB123_1
.LBB123_50:
	s_add_u32 s0, s18, s20
	s_waitcnt lgkmcnt(1)
	v_lshl_add_u64 v[2:3], v[2:3], 0, v[6:7]
	s_addc_u32 s1, s19, s21
	v_lshlrev_b32_e32 v0, 3, v0
	s_waitcnt lgkmcnt(0)
	v_lshl_add_u64 v[4:5], v[4:5], 0, v[8:9]
	global_store_dwordx2 v0, v[2:3], s[0:1]
	global_store_dwordx2 v0, v[4:5], s[0:1] offset:512
	s_endpgm
	.section	.rodata,"a",@progbits
	.p2align	6, 0x0
	.amdhsa_kernel _Z17sort_pairs_kernelIxLj64ELj2EN10test_utils4lessELj10EEvPKT_PS2_T2_
		.amdhsa_group_segment_fixed_size 1032
		.amdhsa_private_segment_fixed_size 0
		.amdhsa_kernarg_size 20
		.amdhsa_user_sgpr_count 2
		.amdhsa_user_sgpr_dispatch_ptr 0
		.amdhsa_user_sgpr_queue_ptr 0
		.amdhsa_user_sgpr_kernarg_segment_ptr 1
		.amdhsa_user_sgpr_dispatch_id 0
		.amdhsa_user_sgpr_kernarg_preload_length 0
		.amdhsa_user_sgpr_kernarg_preload_offset 0
		.amdhsa_user_sgpr_private_segment_size 0
		.amdhsa_uses_dynamic_stack 0
		.amdhsa_enable_private_segment 0
		.amdhsa_system_sgpr_workgroup_id_x 1
		.amdhsa_system_sgpr_workgroup_id_y 0
		.amdhsa_system_sgpr_workgroup_id_z 0
		.amdhsa_system_sgpr_workgroup_info 0
		.amdhsa_system_vgpr_workitem_id 0
		.amdhsa_next_free_vgpr 68
		.amdhsa_next_free_sgpr 24
		.amdhsa_accum_offset 68
		.amdhsa_reserve_vcc 1
		.amdhsa_float_round_mode_32 0
		.amdhsa_float_round_mode_16_64 0
		.amdhsa_float_denorm_mode_32 3
		.amdhsa_float_denorm_mode_16_64 3
		.amdhsa_dx10_clamp 1
		.amdhsa_ieee_mode 1
		.amdhsa_fp16_overflow 0
		.amdhsa_tg_split 0
		.amdhsa_exception_fp_ieee_invalid_op 0
		.amdhsa_exception_fp_denorm_src 0
		.amdhsa_exception_fp_ieee_div_zero 0
		.amdhsa_exception_fp_ieee_overflow 0
		.amdhsa_exception_fp_ieee_underflow 0
		.amdhsa_exception_fp_ieee_inexact 0
		.amdhsa_exception_int_div_zero 0
	.end_amdhsa_kernel
	.section	.text._Z17sort_pairs_kernelIxLj64ELj2EN10test_utils4lessELj10EEvPKT_PS2_T2_,"axG",@progbits,_Z17sort_pairs_kernelIxLj64ELj2EN10test_utils4lessELj10EEvPKT_PS2_T2_,comdat
.Lfunc_end123:
	.size	_Z17sort_pairs_kernelIxLj64ELj2EN10test_utils4lessELj10EEvPKT_PS2_T2_, .Lfunc_end123-_Z17sort_pairs_kernelIxLj64ELj2EN10test_utils4lessELj10EEvPKT_PS2_T2_
                                        ; -- End function
	.section	.AMDGPU.csdata,"",@progbits
; Kernel info:
; codeLenInByte = 3292
; NumSgprs: 30
; NumVgprs: 68
; NumAgprs: 0
; TotalNumVgprs: 68
; ScratchSize: 0
; MemoryBound: 0
; FloatMode: 240
; IeeeMode: 1
; LDSByteSize: 1032 bytes/workgroup (compile time only)
; SGPRBlocks: 3
; VGPRBlocks: 8
; NumSGPRsForWavesPerEU: 30
; NumVGPRsForWavesPerEU: 68
; AccumOffset: 68
; Occupancy: 7
; WaveLimiterHint : 1
; COMPUTE_PGM_RSRC2:SCRATCH_EN: 0
; COMPUTE_PGM_RSRC2:USER_SGPR: 2
; COMPUTE_PGM_RSRC2:TRAP_HANDLER: 0
; COMPUTE_PGM_RSRC2:TGID_X_EN: 1
; COMPUTE_PGM_RSRC2:TGID_Y_EN: 0
; COMPUTE_PGM_RSRC2:TGID_Z_EN: 0
; COMPUTE_PGM_RSRC2:TIDIG_COMP_CNT: 0
; COMPUTE_PGM_RSRC3_GFX90A:ACCUM_OFFSET: 16
; COMPUTE_PGM_RSRC3_GFX90A:TG_SPLIT: 0
	.section	.text._Z16sort_keys_kernelIxLj64ELj3EN10test_utils4lessELj10EEvPKT_PS2_T2_,"axG",@progbits,_Z16sort_keys_kernelIxLj64ELj3EN10test_utils4lessELj10EEvPKT_PS2_T2_,comdat
	.protected	_Z16sort_keys_kernelIxLj64ELj3EN10test_utils4lessELj10EEvPKT_PS2_T2_ ; -- Begin function _Z16sort_keys_kernelIxLj64ELj3EN10test_utils4lessELj10EEvPKT_PS2_T2_
	.globl	_Z16sort_keys_kernelIxLj64ELj3EN10test_utils4lessELj10EEvPKT_PS2_T2_
	.p2align	8
	.type	_Z16sort_keys_kernelIxLj64ELj3EN10test_utils4lessELj10EEvPKT_PS2_T2_,@function
_Z16sort_keys_kernelIxLj64ELj3EN10test_utils4lessELj10EEvPKT_PS2_T2_: ; @_Z16sort_keys_kernelIxLj64ELj3EN10test_utils4lessELj10EEvPKT_PS2_T2_
; %bb.0:
	s_load_dwordx4 s[16:19], s[0:1], 0x0
	s_mul_i32 s20, s2, 0xc0
	s_mov_b32 s21, 0
	s_lshl_b64 s[22:23], s[20:21], 3
	v_lshlrev_b32_e32 v1, 3, v0
	s_waitcnt lgkmcnt(0)
	s_add_u32 s0, s16, s22
	s_addc_u32 s1, s17, s23
	global_load_dwordx2 v[2:3], v1, s[0:1]
	global_load_dwordx2 v[6:7], v1, s[0:1] offset:512
	global_load_dwordx2 v[4:5], v1, s[0:1] offset:1024
	v_and_b32_e32 v8, 62, v0
	v_mul_u32_u24_e32 v8, 3, v8
	v_and_b32_e32 v9, 1, v0
	v_cmp_eq_u32_e32 vcc, 1, v9
	v_min_u32_e32 v9, 0xbd, v8
	v_min_u32_e32 v16, 0xc0, v8
	v_add_u32_e32 v17, 3, v9
	v_min_u32_e32 v8, 0xba, v8
	v_cndmask_b32_e64 v15, 0, 3, vcc
	v_add_u32_e32 v18, 6, v8
	v_sub_u32_e32 v8, v17, v16
	v_sub_u32_e32 v10, v18, v17
	v_min_i32_e32 v21, v15, v8
	v_and_b32_e32 v8, 60, v0
	v_sub_u32_e32 v11, v15, v10
	v_cmp_ge_i32_e32 vcc, v15, v10
	v_mul_u32_u24_e32 v8, 3, v8
	v_and_b32_e32 v10, 3, v0
	v_cndmask_b32_e32 v20, 0, v11, vcc
	v_min_u32_e32 v11, 0xba, v8
	v_min_u32_e32 v24, 0xc0, v8
	v_add_u32_e32 v25, 6, v11
	v_min_u32_e32 v8, 0xb4, v8
	v_mul_u32_u24_e32 v23, 3, v10
	v_add_u32_e32 v26, 12, v8
	v_sub_u32_e32 v8, v25, v24
	v_min_i32_e32 v29, v23, v8
	v_and_b32_e32 v8, 56, v0
	v_sub_u32_e32 v12, v26, v25
	v_mul_u32_u24_e32 v8, 3, v8
	v_sub_u32_e32 v13, v23, v12
	v_cmp_ge_i32_e64 s[0:1], v23, v12
	v_min_u32_e32 v12, 0xb4, v8
	v_mad_u32_u24 v30, v10, 3, v25
	v_and_b32_e32 v10, 7, v0
	v_min_u32_e32 v32, 0xc0, v8
	v_add_u32_e32 v33, 12, v12
	v_min_u32_e32 v8, 0xa8, v8
	v_mul_u32_u24_e32 v31, 3, v10
	v_add_u32_e32 v34, 24, v8
	v_sub_u32_e32 v8, v33, v32
	v_min_i32_e32 v37, v31, v8
	v_and_b32_e32 v8, 48, v0
	v_cndmask_b32_e64 v28, 0, v13, s[0:1]
	v_sub_u32_e32 v13, v34, v33
	v_mul_u32_u24_e32 v8, 3, v8
	v_sub_u32_e32 v36, v31, v13
	v_cmp_ge_i32_e64 s[2:3], v31, v13
	v_min_u32_e32 v40, 0xc0, v8
	v_min_u32_e32 v13, 0xa8, v8
	;; [unrolled: 1-line block ×3, first 2 shown]
	v_mad_u32_u24 v38, v10, 3, v33
	v_and_b32_e32 v10, 15, v0
	v_add_u32_e32 v41, 24, v13
	v_add_u32_e32 v42, 48, v8
	v_mul_u32_u24_e32 v39, 3, v10
	v_sub_u32_e32 v44, v42, v41
	v_sub_u32_e32 v8, v41, v40
	;; [unrolled: 1-line block ×3, first 2 shown]
	v_cmp_ge_i32_e64 s[4:5], v39, v44
	v_mad_u32_u24 v46, v10, 3, v41
	v_and_b32_e32 v10, 31, v0
	v_cndmask_b32_e64 v44, 0, v45, s[4:5]
	v_min_i32_e32 v45, v39, v8
	v_and_b32_e32 v8, 32, v0
	v_mul_u32_u24_e32 v8, 3, v8
	v_min_u32_e32 v48, 0xc0, v8
	v_min_u32_e32 v63, 0x90, v8
	;; [unrolled: 1-line block ×3, first 2 shown]
	v_add_u32_e32 v49, 48, v63
	v_add_u32_e32 v51, 0x60, v8
	v_mul_u32_u24_e32 v47, 3, v10
	v_sub_u32_e32 v53, v51, v49
	v_sub_u32_e32 v8, v49, v48
	;; [unrolled: 1-line block ×3, first 2 shown]
	v_cmp_ge_i32_e64 s[6:7], v47, v53
	v_mul_u32_u24_e32 v1, 3, v0
	v_mov_b32_e32 v50, 0x60
	v_cndmask_b32_e64 v53, 0, v54, s[6:7]
	v_min_i32_e32 v54, v47, v8
	v_mov_b32_e32 v8, 0xc0
	v_cndmask_b32_e64 v36, 0, v36, s[2:3]
	v_sub_u32_e64 v56, v1, v50 clamp
	v_min_i32_e32 v57, 0x60, v1
	v_lshl_add_u32 v62, v13, 3, v8
	v_mov_b32_e32 v8, 0x180
	s_movk_i32 s24, 0xc0
	v_lshlrev_b32_e32 v14, 3, v1
	v_lshlrev_b32_e32 v19, 3, v16
	v_cmp_lt_i32_e32 vcc, v20, v21
	v_add_u32_e32 v22, v17, v15
	v_lshlrev_b32_e32 v27, 3, v24
	v_cmp_lt_i32_e64 s[0:1], v28, v29
	v_lshlrev_b32_e32 v35, 3, v32
	v_cmp_lt_i32_e64 s[2:3], v36, v37
	;; [unrolled: 2-line block ×4, first 2 shown]
	v_mad_u32_u24 v55, v10, 3, v49
	v_cmp_lt_i32_e64 s[8:9], v56, v57
	v_mad_u32_u24 v58, v0, 3, v50
	v_lshl_add_u32 v59, v9, 3, 24
	v_lshl_add_u32 v60, v11, 3, 48
	;; [unrolled: 1-line block ×4, first 2 shown]
	s_branch .LBB124_2
.LBB124_1:                              ;   in Loop: Header=BB124_2 Depth=1
	s_or_b64 exec, exec, s[14:15]
	v_cndmask_b32_e64 v7, v7, v9, s[12:13]
	v_cndmask_b32_e64 v6, v6, v8, s[12:13]
	v_cmp_ge_i32_e64 s[12:13], v65, v50
	s_waitcnt lgkmcnt(0)
	v_cmp_lt_i64_e64 s[14:15], v[12:13], v[10:11]
	v_cndmask_b32_e64 v3, v3, v5, s[10:11]
	v_cndmask_b32_e64 v2, v2, v4, s[10:11]
	v_cmp_gt_i32_e64 s[10:11], s24, v64
	s_or_b64 s[12:13], s[12:13], s[14:15]
	s_and_b64 s[10:11], s[10:11], s[12:13]
	s_add_i32 s21, s21, 1
	v_cndmask_b32_e64 v5, v11, v13, s[10:11]
	s_cmp_eq_u32 s21, 10
	v_cndmask_b32_e64 v4, v10, v12, s[10:11]
	s_cbranch_scc1 .LBB124_74
.LBB124_2:                              ; =>This Loop Header: Depth=1
                                        ;     Child Loop BB124_4 Depth 2
                                        ;     Child Loop BB124_16 Depth 2
                                        ;     Child Loop BB124_28 Depth 2
                                        ;     Child Loop BB124_40 Depth 2
                                        ;     Child Loop BB124_52 Depth 2
                                        ;     Child Loop BB124_64 Depth 2
	s_waitcnt vmcnt(1)
	v_cmp_lt_i64_e64 s[10:11], v[6:7], v[2:3]
	s_waitcnt lgkmcnt(0)
	; wave barrier
	s_nop 0
	v_cndmask_b32_e64 v9, v3, v7, s[10:11]
	v_cndmask_b32_e64 v8, v2, v6, s[10:11]
	;; [unrolled: 1-line block ×4, first 2 shown]
	v_cmp_gt_i64_e64 s[10:11], v[6:7], v[2:3]
	s_nop 1
	v_cndmask_b32_e64 v3, v3, v7, s[10:11]
	v_cndmask_b32_e64 v2, v2, v6, s[10:11]
	s_waitcnt vmcnt(0)
	v_cmp_lt_i64_e64 s[10:11], v[4:5], v[2:3]
	s_nop 1
	v_cndmask_b32_e64 v7, v5, v3, s[10:11]
	v_cndmask_b32_e64 v6, v4, v2, s[10:11]
	v_cndmask_b32_e64 v11, v11, v4, s[10:11]
	v_cndmask_b32_e64 v10, v10, v5, s[10:11]
	v_cndmask_b32_e64 v12, v2, v4, s[10:11]
	v_cndmask_b32_e64 v13, v3, v5, s[10:11]
	v_cmp_lt_i64_e64 s[10:11], v[4:5], v[8:9]
	s_nop 1
	v_cndmask_b32_e64 v3, v10, v9, s[10:11]
	v_cndmask_b32_e64 v2, v11, v8, s[10:11]
	;; [unrolled: 1-line block ×4, first 2 shown]
	ds_write2_b64 v14, v[4:5], v[2:3] offset1:1
	ds_write_b64 v14, v[6:7] offset:16
	v_mov_b32_e32 v6, v20
	s_waitcnt lgkmcnt(0)
	; wave barrier
	s_waitcnt lgkmcnt(0)
	s_and_saveexec_b64 s[12:13], vcc
	s_cbranch_execz .LBB124_6
; %bb.3:                                ;   in Loop: Header=BB124_2 Depth=1
	s_mov_b64 s[14:15], 0
	v_mov_b32_e32 v6, v20
	v_mov_b32_e32 v2, v21
.LBB124_4:                              ;   Parent Loop BB124_2 Depth=1
                                        ; =>  This Inner Loop Header: Depth=2
	v_sub_u32_e32 v3, v2, v6
	v_lshrrev_b32_e32 v4, 31, v3
	v_add_u32_e32 v3, v3, v4
	v_ashrrev_i32_e32 v3, 1, v3
	v_add_u32_e32 v3, v3, v6
	v_lshl_add_u32 v4, v3, 3, v19
	v_xad_u32 v5, v3, -1, v15
	v_lshl_add_u32 v7, v5, 3, v59
	ds_read_b64 v[4:5], v4
	ds_read_b64 v[8:9], v7
	v_add_u32_e32 v7, 1, v3
	s_waitcnt lgkmcnt(0)
	v_cmp_lt_i64_e64 s[10:11], v[8:9], v[4:5]
	s_nop 1
	v_cndmask_b32_e64 v2, v2, v3, s[10:11]
	v_cndmask_b32_e64 v6, v7, v6, s[10:11]
	v_cmp_ge_i32_e64 s[10:11], v6, v2
	s_or_b64 s[14:15], s[10:11], s[14:15]
	s_andn2_b64 exec, exec, s[14:15]
	s_cbranch_execnz .LBB124_4
; %bb.5:                                ;   in Loop: Header=BB124_2 Depth=1
	s_or_b64 exec, exec, s[14:15]
.LBB124_6:                              ;   in Loop: Header=BB124_2 Depth=1
	s_or_b64 exec, exec, s[12:13]
	v_sub_u32_e32 v10, v22, v6
	v_lshl_add_u32 v8, v6, 3, v19
	v_lshlrev_b32_e32 v12, 3, v10
	ds_read_b64 v[2:3], v8
	ds_read_b64 v[4:5], v12
	v_add_u32_e32 v11, v6, v16
	v_cmp_le_i32_e64 s[12:13], v17, v11
	v_cmp_gt_i32_e64 s[10:11], v18, v10
                                        ; implicit-def: $vgpr6_vgpr7
	s_waitcnt lgkmcnt(0)
	v_cmp_lt_i64_e64 s[14:15], v[4:5], v[2:3]
	s_or_b64 s[12:13], s[12:13], s[14:15]
	s_and_b64 s[10:11], s[10:11], s[12:13]
	s_xor_b64 s[12:13], s[10:11], -1
	s_and_saveexec_b64 s[14:15], s[12:13]
	s_xor_b64 s[12:13], exec, s[14:15]
	s_cbranch_execz .LBB124_8
; %bb.7:                                ;   in Loop: Header=BB124_2 Depth=1
	ds_read_b64 v[6:7], v8 offset:8
                                        ; implicit-def: $vgpr12
.LBB124_8:                              ;   in Loop: Header=BB124_2 Depth=1
	s_or_saveexec_b64 s[12:13], s[12:13]
	v_mov_b64_e32 v[8:9], v[4:5]
	s_xor_b64 exec, exec, s[12:13]
	s_cbranch_execz .LBB124_10
; %bb.9:                                ;   in Loop: Header=BB124_2 Depth=1
	ds_read_b64 v[8:9], v12 offset:8
	s_waitcnt lgkmcnt(1)
	v_mov_b64_e32 v[6:7], v[2:3]
.LBB124_10:                             ;   in Loop: Header=BB124_2 Depth=1
	s_or_b64 exec, exec, s[12:13]
	v_add_u32_e32 v13, 1, v11
	v_add_u32_e32 v12, 1, v10
	v_cndmask_b32_e64 v65, v13, v11, s[10:11]
	v_cndmask_b32_e64 v64, v10, v12, s[10:11]
	v_cmp_ge_i32_e64 s[14:15], v65, v17
	s_waitcnt lgkmcnt(0)
	v_cmp_lt_i64_e64 s[16:17], v[8:9], v[6:7]
	v_cmp_lt_i32_e64 s[12:13], v64, v18
	s_or_b64 s[14:15], s[14:15], s[16:17]
	s_and_b64 s[12:13], s[12:13], s[14:15]
	s_xor_b64 s[14:15], s[12:13], -1
                                        ; implicit-def: $vgpr10_vgpr11
	s_and_saveexec_b64 s[16:17], s[14:15]
	s_xor_b64 s[14:15], exec, s[16:17]
	s_cbranch_execz .LBB124_12
; %bb.11:                               ;   in Loop: Header=BB124_2 Depth=1
	v_lshlrev_b32_e32 v10, 3, v65
	ds_read_b64 v[10:11], v10 offset:8
.LBB124_12:                             ;   in Loop: Header=BB124_2 Depth=1
	s_or_saveexec_b64 s[14:15], s[14:15]
	v_mov_b64_e32 v[12:13], v[8:9]
	s_xor_b64 exec, exec, s[14:15]
	s_cbranch_execz .LBB124_14
; %bb.13:                               ;   in Loop: Header=BB124_2 Depth=1
	s_waitcnt lgkmcnt(0)
	v_lshlrev_b32_e32 v10, 3, v64
	ds_read_b64 v[12:13], v10 offset:8
	v_mov_b64_e32 v[10:11], v[6:7]
.LBB124_14:                             ;   in Loop: Header=BB124_2 Depth=1
	s_or_b64 exec, exec, s[14:15]
	v_cndmask_b32_e64 v7, v7, v9, s[12:13]
	v_add_u32_e32 v9, 1, v65
	v_cndmask_b32_e64 v6, v6, v8, s[12:13]
	v_add_u32_e32 v8, 1, v64
	v_cndmask_b32_e64 v9, v9, v65, s[12:13]
	v_cndmask_b32_e64 v8, v64, v8, s[12:13]
	v_cmp_ge_i32_e64 s[12:13], v9, v17
	s_waitcnt lgkmcnt(0)
	v_cmp_lt_i64_e64 s[14:15], v[12:13], v[10:11]
	v_cndmask_b32_e64 v3, v3, v5, s[10:11]
	v_cndmask_b32_e64 v2, v2, v4, s[10:11]
	v_cmp_lt_i32_e64 s[10:11], v8, v18
	s_or_b64 s[12:13], s[12:13], s[14:15]
	s_and_b64 s[10:11], s[10:11], s[12:13]
	v_cndmask_b32_e64 v5, v11, v13, s[10:11]
	v_cndmask_b32_e64 v4, v10, v12, s[10:11]
	s_waitcnt lgkmcnt(0)
	; wave barrier
	ds_write2_b64 v14, v[2:3], v[6:7] offset1:1
	ds_write_b64 v14, v[4:5] offset:16
	v_mov_b32_e32 v6, v28
	s_waitcnt lgkmcnt(0)
	; wave barrier
	s_waitcnt lgkmcnt(0)
	s_and_saveexec_b64 s[12:13], s[0:1]
	s_cbranch_execz .LBB124_18
; %bb.15:                               ;   in Loop: Header=BB124_2 Depth=1
	s_mov_b64 s[14:15], 0
	v_mov_b32_e32 v6, v28
	v_mov_b32_e32 v2, v29
.LBB124_16:                             ;   Parent Loop BB124_2 Depth=1
                                        ; =>  This Inner Loop Header: Depth=2
	v_sub_u32_e32 v3, v2, v6
	v_lshrrev_b32_e32 v4, 31, v3
	v_add_u32_e32 v3, v3, v4
	v_ashrrev_i32_e32 v3, 1, v3
	v_add_u32_e32 v3, v3, v6
	v_lshl_add_u32 v4, v3, 3, v27
	v_xad_u32 v5, v3, -1, v23
	v_lshl_add_u32 v7, v5, 3, v60
	ds_read_b64 v[4:5], v4
	ds_read_b64 v[8:9], v7
	v_add_u32_e32 v7, 1, v3
	s_waitcnt lgkmcnt(0)
	v_cmp_lt_i64_e64 s[10:11], v[8:9], v[4:5]
	s_nop 1
	v_cndmask_b32_e64 v2, v2, v3, s[10:11]
	v_cndmask_b32_e64 v6, v7, v6, s[10:11]
	v_cmp_ge_i32_e64 s[10:11], v6, v2
	s_or_b64 s[14:15], s[10:11], s[14:15]
	s_andn2_b64 exec, exec, s[14:15]
	s_cbranch_execnz .LBB124_16
; %bb.17:                               ;   in Loop: Header=BB124_2 Depth=1
	s_or_b64 exec, exec, s[14:15]
.LBB124_18:                             ;   in Loop: Header=BB124_2 Depth=1
	s_or_b64 exec, exec, s[12:13]
	v_sub_u32_e32 v10, v30, v6
	v_lshl_add_u32 v8, v6, 3, v27
	v_lshlrev_b32_e32 v12, 3, v10
	ds_read_b64 v[2:3], v8
	ds_read_b64 v[4:5], v12
	v_add_u32_e32 v11, v6, v24
	v_cmp_le_i32_e64 s[12:13], v25, v11
	v_cmp_gt_i32_e64 s[10:11], v26, v10
                                        ; implicit-def: $vgpr6_vgpr7
	s_waitcnt lgkmcnt(0)
	v_cmp_lt_i64_e64 s[14:15], v[4:5], v[2:3]
	s_or_b64 s[12:13], s[12:13], s[14:15]
	s_and_b64 s[10:11], s[10:11], s[12:13]
	s_xor_b64 s[12:13], s[10:11], -1
	s_and_saveexec_b64 s[14:15], s[12:13]
	s_xor_b64 s[12:13], exec, s[14:15]
	s_cbranch_execz .LBB124_20
; %bb.19:                               ;   in Loop: Header=BB124_2 Depth=1
	ds_read_b64 v[6:7], v8 offset:8
                                        ; implicit-def: $vgpr12
.LBB124_20:                             ;   in Loop: Header=BB124_2 Depth=1
	s_or_saveexec_b64 s[12:13], s[12:13]
	v_mov_b64_e32 v[8:9], v[4:5]
	s_xor_b64 exec, exec, s[12:13]
	s_cbranch_execz .LBB124_22
; %bb.21:                               ;   in Loop: Header=BB124_2 Depth=1
	ds_read_b64 v[8:9], v12 offset:8
	s_waitcnt lgkmcnt(1)
	v_mov_b64_e32 v[6:7], v[2:3]
.LBB124_22:                             ;   in Loop: Header=BB124_2 Depth=1
	s_or_b64 exec, exec, s[12:13]
	v_add_u32_e32 v13, 1, v11
	v_add_u32_e32 v12, 1, v10
	v_cndmask_b32_e64 v65, v13, v11, s[10:11]
	v_cndmask_b32_e64 v64, v10, v12, s[10:11]
	v_cmp_ge_i32_e64 s[14:15], v65, v25
	s_waitcnt lgkmcnt(0)
	v_cmp_lt_i64_e64 s[16:17], v[8:9], v[6:7]
	v_cmp_lt_i32_e64 s[12:13], v64, v26
	s_or_b64 s[14:15], s[14:15], s[16:17]
	s_and_b64 s[12:13], s[12:13], s[14:15]
	s_xor_b64 s[14:15], s[12:13], -1
                                        ; implicit-def: $vgpr10_vgpr11
	s_and_saveexec_b64 s[16:17], s[14:15]
	s_xor_b64 s[14:15], exec, s[16:17]
	s_cbranch_execz .LBB124_24
; %bb.23:                               ;   in Loop: Header=BB124_2 Depth=1
	v_lshlrev_b32_e32 v10, 3, v65
	ds_read_b64 v[10:11], v10 offset:8
.LBB124_24:                             ;   in Loop: Header=BB124_2 Depth=1
	s_or_saveexec_b64 s[14:15], s[14:15]
	v_mov_b64_e32 v[12:13], v[8:9]
	s_xor_b64 exec, exec, s[14:15]
	s_cbranch_execz .LBB124_26
; %bb.25:                               ;   in Loop: Header=BB124_2 Depth=1
	s_waitcnt lgkmcnt(0)
	v_lshlrev_b32_e32 v10, 3, v64
	ds_read_b64 v[12:13], v10 offset:8
	v_mov_b64_e32 v[10:11], v[6:7]
.LBB124_26:                             ;   in Loop: Header=BB124_2 Depth=1
	s_or_b64 exec, exec, s[14:15]
	v_cndmask_b32_e64 v7, v7, v9, s[12:13]
	v_add_u32_e32 v9, 1, v65
	v_cndmask_b32_e64 v6, v6, v8, s[12:13]
	v_add_u32_e32 v8, 1, v64
	v_cndmask_b32_e64 v9, v9, v65, s[12:13]
	v_cndmask_b32_e64 v8, v64, v8, s[12:13]
	v_cmp_ge_i32_e64 s[12:13], v9, v25
	s_waitcnt lgkmcnt(0)
	v_cmp_lt_i64_e64 s[14:15], v[12:13], v[10:11]
	v_cndmask_b32_e64 v3, v3, v5, s[10:11]
	v_cndmask_b32_e64 v2, v2, v4, s[10:11]
	v_cmp_lt_i32_e64 s[10:11], v8, v26
	s_or_b64 s[12:13], s[12:13], s[14:15]
	s_and_b64 s[10:11], s[10:11], s[12:13]
	v_cndmask_b32_e64 v5, v11, v13, s[10:11]
	v_cndmask_b32_e64 v4, v10, v12, s[10:11]
	s_waitcnt lgkmcnt(0)
	; wave barrier
	ds_write2_b64 v14, v[2:3], v[6:7] offset1:1
	ds_write_b64 v14, v[4:5] offset:16
	v_mov_b32_e32 v6, v36
	s_waitcnt lgkmcnt(0)
	; wave barrier
	s_waitcnt lgkmcnt(0)
	s_and_saveexec_b64 s[12:13], s[2:3]
	s_cbranch_execz .LBB124_30
; %bb.27:                               ;   in Loop: Header=BB124_2 Depth=1
	s_mov_b64 s[14:15], 0
	v_mov_b32_e32 v6, v36
	v_mov_b32_e32 v2, v37
.LBB124_28:                             ;   Parent Loop BB124_2 Depth=1
                                        ; =>  This Inner Loop Header: Depth=2
	v_sub_u32_e32 v3, v2, v6
	v_lshrrev_b32_e32 v4, 31, v3
	v_add_u32_e32 v3, v3, v4
	v_ashrrev_i32_e32 v3, 1, v3
	v_add_u32_e32 v3, v3, v6
	v_lshl_add_u32 v4, v3, 3, v35
	v_xad_u32 v5, v3, -1, v31
	v_lshl_add_u32 v7, v5, 3, v61
	ds_read_b64 v[4:5], v4
	ds_read_b64 v[8:9], v7
	v_add_u32_e32 v7, 1, v3
	s_waitcnt lgkmcnt(0)
	v_cmp_lt_i64_e64 s[10:11], v[8:9], v[4:5]
	s_nop 1
	v_cndmask_b32_e64 v2, v2, v3, s[10:11]
	v_cndmask_b32_e64 v6, v7, v6, s[10:11]
	v_cmp_ge_i32_e64 s[10:11], v6, v2
	s_or_b64 s[14:15], s[10:11], s[14:15]
	s_andn2_b64 exec, exec, s[14:15]
	s_cbranch_execnz .LBB124_28
; %bb.29:                               ;   in Loop: Header=BB124_2 Depth=1
	s_or_b64 exec, exec, s[14:15]
.LBB124_30:                             ;   in Loop: Header=BB124_2 Depth=1
	s_or_b64 exec, exec, s[12:13]
	v_sub_u32_e32 v10, v38, v6
	v_lshl_add_u32 v8, v6, 3, v35
	v_lshlrev_b32_e32 v12, 3, v10
	ds_read_b64 v[2:3], v8
	ds_read_b64 v[4:5], v12
	v_add_u32_e32 v11, v6, v32
	v_cmp_le_i32_e64 s[12:13], v33, v11
	v_cmp_gt_i32_e64 s[10:11], v34, v10
                                        ; implicit-def: $vgpr6_vgpr7
	s_waitcnt lgkmcnt(0)
	v_cmp_lt_i64_e64 s[14:15], v[4:5], v[2:3]
	s_or_b64 s[12:13], s[12:13], s[14:15]
	s_and_b64 s[10:11], s[10:11], s[12:13]
	s_xor_b64 s[12:13], s[10:11], -1
	s_and_saveexec_b64 s[14:15], s[12:13]
	s_xor_b64 s[12:13], exec, s[14:15]
	s_cbranch_execz .LBB124_32
; %bb.31:                               ;   in Loop: Header=BB124_2 Depth=1
	ds_read_b64 v[6:7], v8 offset:8
                                        ; implicit-def: $vgpr12
.LBB124_32:                             ;   in Loop: Header=BB124_2 Depth=1
	s_or_saveexec_b64 s[12:13], s[12:13]
	v_mov_b64_e32 v[8:9], v[4:5]
	s_xor_b64 exec, exec, s[12:13]
	s_cbranch_execz .LBB124_34
; %bb.33:                               ;   in Loop: Header=BB124_2 Depth=1
	ds_read_b64 v[8:9], v12 offset:8
	s_waitcnt lgkmcnt(1)
	v_mov_b64_e32 v[6:7], v[2:3]
.LBB124_34:                             ;   in Loop: Header=BB124_2 Depth=1
	s_or_b64 exec, exec, s[12:13]
	v_add_u32_e32 v13, 1, v11
	v_add_u32_e32 v12, 1, v10
	v_cndmask_b32_e64 v65, v13, v11, s[10:11]
	v_cndmask_b32_e64 v64, v10, v12, s[10:11]
	v_cmp_ge_i32_e64 s[14:15], v65, v33
	s_waitcnt lgkmcnt(0)
	v_cmp_lt_i64_e64 s[16:17], v[8:9], v[6:7]
	v_cmp_lt_i32_e64 s[12:13], v64, v34
	s_or_b64 s[14:15], s[14:15], s[16:17]
	s_and_b64 s[12:13], s[12:13], s[14:15]
	s_xor_b64 s[14:15], s[12:13], -1
                                        ; implicit-def: $vgpr10_vgpr11
	s_and_saveexec_b64 s[16:17], s[14:15]
	s_xor_b64 s[14:15], exec, s[16:17]
	s_cbranch_execz .LBB124_36
; %bb.35:                               ;   in Loop: Header=BB124_2 Depth=1
	v_lshlrev_b32_e32 v10, 3, v65
	ds_read_b64 v[10:11], v10 offset:8
.LBB124_36:                             ;   in Loop: Header=BB124_2 Depth=1
	s_or_saveexec_b64 s[14:15], s[14:15]
	v_mov_b64_e32 v[12:13], v[8:9]
	s_xor_b64 exec, exec, s[14:15]
	s_cbranch_execz .LBB124_38
; %bb.37:                               ;   in Loop: Header=BB124_2 Depth=1
	s_waitcnt lgkmcnt(0)
	v_lshlrev_b32_e32 v10, 3, v64
	ds_read_b64 v[12:13], v10 offset:8
	v_mov_b64_e32 v[10:11], v[6:7]
.LBB124_38:                             ;   in Loop: Header=BB124_2 Depth=1
	s_or_b64 exec, exec, s[14:15]
	v_cndmask_b32_e64 v7, v7, v9, s[12:13]
	v_add_u32_e32 v9, 1, v65
	v_cndmask_b32_e64 v6, v6, v8, s[12:13]
	v_add_u32_e32 v8, 1, v64
	v_cndmask_b32_e64 v9, v9, v65, s[12:13]
	v_cndmask_b32_e64 v8, v64, v8, s[12:13]
	v_cmp_ge_i32_e64 s[12:13], v9, v33
	s_waitcnt lgkmcnt(0)
	v_cmp_lt_i64_e64 s[14:15], v[12:13], v[10:11]
	v_cndmask_b32_e64 v3, v3, v5, s[10:11]
	v_cndmask_b32_e64 v2, v2, v4, s[10:11]
	v_cmp_lt_i32_e64 s[10:11], v8, v34
	s_or_b64 s[12:13], s[12:13], s[14:15]
	s_and_b64 s[10:11], s[10:11], s[12:13]
	v_cndmask_b32_e64 v5, v11, v13, s[10:11]
	v_cndmask_b32_e64 v4, v10, v12, s[10:11]
	s_waitcnt lgkmcnt(0)
	; wave barrier
	ds_write2_b64 v14, v[2:3], v[6:7] offset1:1
	ds_write_b64 v14, v[4:5] offset:16
	v_mov_b32_e32 v6, v44
	s_waitcnt lgkmcnt(0)
	; wave barrier
	s_waitcnt lgkmcnt(0)
	s_and_saveexec_b64 s[12:13], s[4:5]
	s_cbranch_execz .LBB124_42
; %bb.39:                               ;   in Loop: Header=BB124_2 Depth=1
	s_mov_b64 s[14:15], 0
	v_mov_b32_e32 v6, v44
	v_mov_b32_e32 v2, v45
.LBB124_40:                             ;   Parent Loop BB124_2 Depth=1
                                        ; =>  This Inner Loop Header: Depth=2
	v_sub_u32_e32 v3, v2, v6
	v_lshrrev_b32_e32 v4, 31, v3
	v_add_u32_e32 v3, v3, v4
	v_ashrrev_i32_e32 v3, 1, v3
	v_add_u32_e32 v3, v3, v6
	v_lshl_add_u32 v4, v3, 3, v43
	v_xad_u32 v5, v3, -1, v39
	v_lshl_add_u32 v7, v5, 3, v62
	ds_read_b64 v[4:5], v4
	ds_read_b64 v[8:9], v7
	v_add_u32_e32 v7, 1, v3
	s_waitcnt lgkmcnt(0)
	v_cmp_lt_i64_e64 s[10:11], v[8:9], v[4:5]
	s_nop 1
	v_cndmask_b32_e64 v2, v2, v3, s[10:11]
	v_cndmask_b32_e64 v6, v7, v6, s[10:11]
	v_cmp_ge_i32_e64 s[10:11], v6, v2
	s_or_b64 s[14:15], s[10:11], s[14:15]
	s_andn2_b64 exec, exec, s[14:15]
	s_cbranch_execnz .LBB124_40
; %bb.41:                               ;   in Loop: Header=BB124_2 Depth=1
	s_or_b64 exec, exec, s[14:15]
.LBB124_42:                             ;   in Loop: Header=BB124_2 Depth=1
	s_or_b64 exec, exec, s[12:13]
	v_sub_u32_e32 v10, v46, v6
	v_lshl_add_u32 v8, v6, 3, v43
	v_lshlrev_b32_e32 v12, 3, v10
	ds_read_b64 v[2:3], v8
	ds_read_b64 v[4:5], v12
	v_add_u32_e32 v11, v6, v40
	v_cmp_le_i32_e64 s[12:13], v41, v11
	v_cmp_gt_i32_e64 s[10:11], v42, v10
                                        ; implicit-def: $vgpr6_vgpr7
	s_waitcnt lgkmcnt(0)
	v_cmp_lt_i64_e64 s[14:15], v[4:5], v[2:3]
	s_or_b64 s[12:13], s[12:13], s[14:15]
	s_and_b64 s[10:11], s[10:11], s[12:13]
	s_xor_b64 s[12:13], s[10:11], -1
	s_and_saveexec_b64 s[14:15], s[12:13]
	s_xor_b64 s[12:13], exec, s[14:15]
	s_cbranch_execz .LBB124_44
; %bb.43:                               ;   in Loop: Header=BB124_2 Depth=1
	ds_read_b64 v[6:7], v8 offset:8
                                        ; implicit-def: $vgpr12
.LBB124_44:                             ;   in Loop: Header=BB124_2 Depth=1
	s_or_saveexec_b64 s[12:13], s[12:13]
	v_mov_b64_e32 v[8:9], v[4:5]
	s_xor_b64 exec, exec, s[12:13]
	s_cbranch_execz .LBB124_46
; %bb.45:                               ;   in Loop: Header=BB124_2 Depth=1
	ds_read_b64 v[8:9], v12 offset:8
	s_waitcnt lgkmcnt(1)
	v_mov_b64_e32 v[6:7], v[2:3]
.LBB124_46:                             ;   in Loop: Header=BB124_2 Depth=1
	s_or_b64 exec, exec, s[12:13]
	v_add_u32_e32 v13, 1, v11
	v_add_u32_e32 v12, 1, v10
	v_cndmask_b32_e64 v65, v13, v11, s[10:11]
	v_cndmask_b32_e64 v64, v10, v12, s[10:11]
	v_cmp_ge_i32_e64 s[14:15], v65, v41
	s_waitcnt lgkmcnt(0)
	v_cmp_lt_i64_e64 s[16:17], v[8:9], v[6:7]
	v_cmp_lt_i32_e64 s[12:13], v64, v42
	s_or_b64 s[14:15], s[14:15], s[16:17]
	s_and_b64 s[12:13], s[12:13], s[14:15]
	s_xor_b64 s[14:15], s[12:13], -1
                                        ; implicit-def: $vgpr10_vgpr11
	s_and_saveexec_b64 s[16:17], s[14:15]
	s_xor_b64 s[14:15], exec, s[16:17]
	s_cbranch_execz .LBB124_48
; %bb.47:                               ;   in Loop: Header=BB124_2 Depth=1
	v_lshlrev_b32_e32 v10, 3, v65
	ds_read_b64 v[10:11], v10 offset:8
.LBB124_48:                             ;   in Loop: Header=BB124_2 Depth=1
	s_or_saveexec_b64 s[14:15], s[14:15]
	v_mov_b64_e32 v[12:13], v[8:9]
	s_xor_b64 exec, exec, s[14:15]
	s_cbranch_execz .LBB124_50
; %bb.49:                               ;   in Loop: Header=BB124_2 Depth=1
	s_waitcnt lgkmcnt(0)
	v_lshlrev_b32_e32 v10, 3, v64
	ds_read_b64 v[12:13], v10 offset:8
	v_mov_b64_e32 v[10:11], v[6:7]
.LBB124_50:                             ;   in Loop: Header=BB124_2 Depth=1
	s_or_b64 exec, exec, s[14:15]
	v_cndmask_b32_e64 v7, v7, v9, s[12:13]
	v_add_u32_e32 v9, 1, v65
	v_cndmask_b32_e64 v6, v6, v8, s[12:13]
	v_add_u32_e32 v8, 1, v64
	v_cndmask_b32_e64 v9, v9, v65, s[12:13]
	v_cndmask_b32_e64 v8, v64, v8, s[12:13]
	v_cmp_ge_i32_e64 s[12:13], v9, v41
	s_waitcnt lgkmcnt(0)
	v_cmp_lt_i64_e64 s[14:15], v[12:13], v[10:11]
	v_cndmask_b32_e64 v3, v3, v5, s[10:11]
	v_cndmask_b32_e64 v2, v2, v4, s[10:11]
	v_cmp_lt_i32_e64 s[10:11], v8, v42
	s_or_b64 s[12:13], s[12:13], s[14:15]
	s_and_b64 s[10:11], s[10:11], s[12:13]
	v_cndmask_b32_e64 v5, v11, v13, s[10:11]
	v_cndmask_b32_e64 v4, v10, v12, s[10:11]
	s_waitcnt lgkmcnt(0)
	; wave barrier
	ds_write2_b64 v14, v[2:3], v[6:7] offset1:1
	ds_write_b64 v14, v[4:5] offset:16
	v_mov_b32_e32 v6, v53
	s_waitcnt lgkmcnt(0)
	; wave barrier
	s_waitcnt lgkmcnt(0)
	s_and_saveexec_b64 s[12:13], s[6:7]
	s_cbranch_execz .LBB124_54
; %bb.51:                               ;   in Loop: Header=BB124_2 Depth=1
	s_mov_b64 s[14:15], 0
	v_mov_b32_e32 v6, v53
	v_mov_b32_e32 v2, v54
.LBB124_52:                             ;   Parent Loop BB124_2 Depth=1
                                        ; =>  This Inner Loop Header: Depth=2
	v_sub_u32_e32 v3, v2, v6
	v_lshrrev_b32_e32 v4, 31, v3
	v_add_u32_e32 v3, v3, v4
	v_ashrrev_i32_e32 v3, 1, v3
	v_add_u32_e32 v3, v3, v6
	v_lshl_add_u32 v4, v3, 3, v52
	v_xad_u32 v5, v3, -1, v47
	v_lshl_add_u32 v7, v5, 3, v63
	ds_read_b64 v[4:5], v4
	ds_read_b64 v[8:9], v7
	v_add_u32_e32 v7, 1, v3
	s_waitcnt lgkmcnt(0)
	v_cmp_lt_i64_e64 s[10:11], v[8:9], v[4:5]
	s_nop 1
	v_cndmask_b32_e64 v2, v2, v3, s[10:11]
	v_cndmask_b32_e64 v6, v7, v6, s[10:11]
	v_cmp_ge_i32_e64 s[10:11], v6, v2
	s_or_b64 s[14:15], s[10:11], s[14:15]
	s_andn2_b64 exec, exec, s[14:15]
	s_cbranch_execnz .LBB124_52
; %bb.53:                               ;   in Loop: Header=BB124_2 Depth=1
	s_or_b64 exec, exec, s[14:15]
.LBB124_54:                             ;   in Loop: Header=BB124_2 Depth=1
	s_or_b64 exec, exec, s[12:13]
	v_sub_u32_e32 v10, v55, v6
	v_lshl_add_u32 v8, v6, 3, v52
	v_lshlrev_b32_e32 v12, 3, v10
	ds_read_b64 v[2:3], v8
	ds_read_b64 v[4:5], v12
	v_add_u32_e32 v11, v6, v48
	v_cmp_le_i32_e64 s[12:13], v49, v11
	v_cmp_gt_i32_e64 s[10:11], v51, v10
                                        ; implicit-def: $vgpr6_vgpr7
	s_waitcnt lgkmcnt(0)
	v_cmp_lt_i64_e64 s[14:15], v[4:5], v[2:3]
	s_or_b64 s[12:13], s[12:13], s[14:15]
	s_and_b64 s[10:11], s[10:11], s[12:13]
	s_xor_b64 s[12:13], s[10:11], -1
	s_and_saveexec_b64 s[14:15], s[12:13]
	s_xor_b64 s[12:13], exec, s[14:15]
	s_cbranch_execz .LBB124_56
; %bb.55:                               ;   in Loop: Header=BB124_2 Depth=1
	ds_read_b64 v[6:7], v8 offset:8
                                        ; implicit-def: $vgpr12
.LBB124_56:                             ;   in Loop: Header=BB124_2 Depth=1
	s_or_saveexec_b64 s[12:13], s[12:13]
	v_mov_b64_e32 v[8:9], v[4:5]
	s_xor_b64 exec, exec, s[12:13]
	s_cbranch_execz .LBB124_58
; %bb.57:                               ;   in Loop: Header=BB124_2 Depth=1
	ds_read_b64 v[8:9], v12 offset:8
	s_waitcnt lgkmcnt(1)
	v_mov_b64_e32 v[6:7], v[2:3]
.LBB124_58:                             ;   in Loop: Header=BB124_2 Depth=1
	s_or_b64 exec, exec, s[12:13]
	v_add_u32_e32 v13, 1, v11
	v_add_u32_e32 v12, 1, v10
	v_cndmask_b32_e64 v65, v13, v11, s[10:11]
	v_cndmask_b32_e64 v64, v10, v12, s[10:11]
	v_cmp_ge_i32_e64 s[14:15], v65, v49
	s_waitcnt lgkmcnt(0)
	v_cmp_lt_i64_e64 s[16:17], v[8:9], v[6:7]
	v_cmp_lt_i32_e64 s[12:13], v64, v51
	s_or_b64 s[14:15], s[14:15], s[16:17]
	s_and_b64 s[12:13], s[12:13], s[14:15]
	s_xor_b64 s[14:15], s[12:13], -1
                                        ; implicit-def: $vgpr10_vgpr11
	s_and_saveexec_b64 s[16:17], s[14:15]
	s_xor_b64 s[14:15], exec, s[16:17]
	s_cbranch_execz .LBB124_60
; %bb.59:                               ;   in Loop: Header=BB124_2 Depth=1
	v_lshlrev_b32_e32 v10, 3, v65
	ds_read_b64 v[10:11], v10 offset:8
.LBB124_60:                             ;   in Loop: Header=BB124_2 Depth=1
	s_or_saveexec_b64 s[14:15], s[14:15]
	v_mov_b64_e32 v[12:13], v[8:9]
	s_xor_b64 exec, exec, s[14:15]
	s_cbranch_execz .LBB124_62
; %bb.61:                               ;   in Loop: Header=BB124_2 Depth=1
	s_waitcnt lgkmcnt(0)
	v_lshlrev_b32_e32 v10, 3, v64
	ds_read_b64 v[12:13], v10 offset:8
	v_mov_b64_e32 v[10:11], v[6:7]
.LBB124_62:                             ;   in Loop: Header=BB124_2 Depth=1
	s_or_b64 exec, exec, s[14:15]
	v_cndmask_b32_e64 v7, v7, v9, s[12:13]
	v_add_u32_e32 v9, 1, v65
	v_cndmask_b32_e64 v6, v6, v8, s[12:13]
	v_add_u32_e32 v8, 1, v64
	v_cndmask_b32_e64 v9, v9, v65, s[12:13]
	v_cndmask_b32_e64 v8, v64, v8, s[12:13]
	v_cmp_ge_i32_e64 s[12:13], v9, v49
	s_waitcnt lgkmcnt(0)
	v_cmp_lt_i64_e64 s[14:15], v[12:13], v[10:11]
	v_cndmask_b32_e64 v3, v3, v5, s[10:11]
	v_cndmask_b32_e64 v2, v2, v4, s[10:11]
	v_cmp_lt_i32_e64 s[10:11], v8, v51
	s_or_b64 s[12:13], s[12:13], s[14:15]
	s_and_b64 s[10:11], s[10:11], s[12:13]
	v_cndmask_b32_e64 v4, v10, v12, s[10:11]
	v_mov_b32_e32 v10, v56
	v_cndmask_b32_e64 v5, v11, v13, s[10:11]
	s_waitcnt lgkmcnt(0)
	; wave barrier
	ds_write2_b64 v14, v[2:3], v[6:7] offset1:1
	ds_write_b64 v14, v[4:5] offset:16
	s_waitcnt lgkmcnt(0)
	; wave barrier
	s_waitcnt lgkmcnt(0)
	s_and_saveexec_b64 s[12:13], s[8:9]
	s_cbranch_execz .LBB124_66
; %bb.63:                               ;   in Loop: Header=BB124_2 Depth=1
	s_mov_b64 s[14:15], 0
	v_mov_b32_e32 v10, v56
	v_mov_b32_e32 v2, v57
.LBB124_64:                             ;   Parent Loop BB124_2 Depth=1
                                        ; =>  This Inner Loop Header: Depth=2
	v_sub_u32_e32 v3, v2, v10
	v_lshrrev_b32_e32 v4, 31, v3
	v_add_u32_e32 v3, v3, v4
	v_ashrrev_i32_e32 v3, 1, v3
	v_add_u32_e32 v3, v3, v10
	v_xad_u32 v5, v3, -1, v1
	v_mov_b32_e32 v6, 0x300
	v_lshlrev_b32_e32 v4, 3, v3
	v_lshl_add_u32 v6, v5, 3, v6
	ds_read_b64 v[4:5], v4
	ds_read_b64 v[6:7], v6
	v_add_u32_e32 v8, 1, v3
	s_waitcnt lgkmcnt(0)
	v_cmp_lt_i64_e64 s[10:11], v[6:7], v[4:5]
	s_nop 1
	v_cndmask_b32_e64 v2, v2, v3, s[10:11]
	v_cndmask_b32_e64 v10, v8, v10, s[10:11]
	v_cmp_ge_i32_e64 s[10:11], v10, v2
	s_or_b64 s[14:15], s[10:11], s[14:15]
	s_andn2_b64 exec, exec, s[14:15]
	s_cbranch_execnz .LBB124_64
; %bb.65:                               ;   in Loop: Header=BB124_2 Depth=1
	s_or_b64 exec, exec, s[14:15]
.LBB124_66:                             ;   in Loop: Header=BB124_2 Depth=1
	s_or_b64 exec, exec, s[12:13]
	v_sub_u32_e32 v11, v58, v10
	v_lshlrev_b32_e32 v8, 3, v10
	v_lshlrev_b32_e32 v12, 3, v11
	ds_read_b64 v[2:3], v8
	ds_read_b64 v[4:5], v12
	v_cmp_le_i32_e64 s[12:13], v50, v10
	v_cmp_gt_i32_e64 s[10:11], s24, v11
                                        ; implicit-def: $vgpr6_vgpr7
	s_waitcnt lgkmcnt(0)
	v_cmp_lt_i64_e64 s[14:15], v[4:5], v[2:3]
	s_or_b64 s[12:13], s[12:13], s[14:15]
	s_and_b64 s[10:11], s[10:11], s[12:13]
	s_xor_b64 s[12:13], s[10:11], -1
	s_and_saveexec_b64 s[14:15], s[12:13]
	s_xor_b64 s[12:13], exec, s[14:15]
	s_cbranch_execz .LBB124_68
; %bb.67:                               ;   in Loop: Header=BB124_2 Depth=1
	ds_read_b64 v[6:7], v8 offset:8
                                        ; implicit-def: $vgpr12
.LBB124_68:                             ;   in Loop: Header=BB124_2 Depth=1
	s_or_saveexec_b64 s[12:13], s[12:13]
	v_mov_b64_e32 v[8:9], v[4:5]
	s_xor_b64 exec, exec, s[12:13]
	s_cbranch_execz .LBB124_70
; %bb.69:                               ;   in Loop: Header=BB124_2 Depth=1
	ds_read_b64 v[8:9], v12 offset:8
	s_waitcnt lgkmcnt(1)
	v_mov_b64_e32 v[6:7], v[2:3]
.LBB124_70:                             ;   in Loop: Header=BB124_2 Depth=1
	s_or_b64 exec, exec, s[12:13]
	v_add_u32_e32 v13, 1, v10
	v_add_u32_e32 v12, 1, v11
	v_cndmask_b32_e64 v66, v13, v10, s[10:11]
	v_cndmask_b32_e64 v64, v11, v12, s[10:11]
	v_cmp_ge_i32_e64 s[14:15], v66, v50
	s_waitcnt lgkmcnt(0)
	v_cmp_lt_i64_e64 s[16:17], v[8:9], v[6:7]
	v_cmp_gt_i32_e64 s[12:13], s24, v64
	s_or_b64 s[14:15], s[14:15], s[16:17]
	s_and_b64 s[12:13], s[12:13], s[14:15]
	s_xor_b64 s[14:15], s[12:13], -1
                                        ; implicit-def: $vgpr10_vgpr11
                                        ; implicit-def: $vgpr65
	s_and_saveexec_b64 s[16:17], s[14:15]
	s_xor_b64 s[14:15], exec, s[16:17]
	s_cbranch_execz .LBB124_72
; %bb.71:                               ;   in Loop: Header=BB124_2 Depth=1
	v_lshlrev_b32_e32 v10, 3, v66
	ds_read_b64 v[10:11], v10 offset:8
	v_add_u32_e32 v65, 1, v66
                                        ; implicit-def: $vgpr66
.LBB124_72:                             ;   in Loop: Header=BB124_2 Depth=1
	s_or_saveexec_b64 s[14:15], s[14:15]
	v_mov_b64_e32 v[12:13], v[8:9]
	s_xor_b64 exec, exec, s[14:15]
	s_cbranch_execz .LBB124_1
; %bb.73:                               ;   in Loop: Header=BB124_2 Depth=1
	s_waitcnt lgkmcnt(0)
	v_lshlrev_b32_e32 v10, 3, v64
	ds_read_b64 v[12:13], v10 offset:8
	v_add_u32_e32 v64, 1, v64
	v_mov_b32_e32 v65, v66
	v_mov_b64_e32 v[10:11], v[6:7]
	s_branch .LBB124_1
.LBB124_74:
	s_add_u32 s0, s18, s22
	s_addc_u32 s1, s19, s23
	v_lshlrev_b32_e32 v0, 3, v0
	global_store_dwordx2 v0, v[2:3], s[0:1]
	global_store_dwordx2 v0, v[6:7], s[0:1] offset:512
	global_store_dwordx2 v0, v[4:5], s[0:1] offset:1024
	s_endpgm
	.section	.rodata,"a",@progbits
	.p2align	6, 0x0
	.amdhsa_kernel _Z16sort_keys_kernelIxLj64ELj3EN10test_utils4lessELj10EEvPKT_PS2_T2_
		.amdhsa_group_segment_fixed_size 1544
		.amdhsa_private_segment_fixed_size 0
		.amdhsa_kernarg_size 20
		.amdhsa_user_sgpr_count 2
		.amdhsa_user_sgpr_dispatch_ptr 0
		.amdhsa_user_sgpr_queue_ptr 0
		.amdhsa_user_sgpr_kernarg_segment_ptr 1
		.amdhsa_user_sgpr_dispatch_id 0
		.amdhsa_user_sgpr_kernarg_preload_length 0
		.amdhsa_user_sgpr_kernarg_preload_offset 0
		.amdhsa_user_sgpr_private_segment_size 0
		.amdhsa_uses_dynamic_stack 0
		.amdhsa_enable_private_segment 0
		.amdhsa_system_sgpr_workgroup_id_x 1
		.amdhsa_system_sgpr_workgroup_id_y 0
		.amdhsa_system_sgpr_workgroup_id_z 0
		.amdhsa_system_sgpr_workgroup_info 0
		.amdhsa_system_vgpr_workitem_id 0
		.amdhsa_next_free_vgpr 67
		.amdhsa_next_free_sgpr 25
		.amdhsa_accum_offset 68
		.amdhsa_reserve_vcc 1
		.amdhsa_float_round_mode_32 0
		.amdhsa_float_round_mode_16_64 0
		.amdhsa_float_denorm_mode_32 3
		.amdhsa_float_denorm_mode_16_64 3
		.amdhsa_dx10_clamp 1
		.amdhsa_ieee_mode 1
		.amdhsa_fp16_overflow 0
		.amdhsa_tg_split 0
		.amdhsa_exception_fp_ieee_invalid_op 0
		.amdhsa_exception_fp_denorm_src 0
		.amdhsa_exception_fp_ieee_div_zero 0
		.amdhsa_exception_fp_ieee_overflow 0
		.amdhsa_exception_fp_ieee_underflow 0
		.amdhsa_exception_fp_ieee_inexact 0
		.amdhsa_exception_int_div_zero 0
	.end_amdhsa_kernel
	.section	.text._Z16sort_keys_kernelIxLj64ELj3EN10test_utils4lessELj10EEvPKT_PS2_T2_,"axG",@progbits,_Z16sort_keys_kernelIxLj64ELj3EN10test_utils4lessELj10EEvPKT_PS2_T2_,comdat
.Lfunc_end124:
	.size	_Z16sort_keys_kernelIxLj64ELj3EN10test_utils4lessELj10EEvPKT_PS2_T2_, .Lfunc_end124-_Z16sort_keys_kernelIxLj64ELj3EN10test_utils4lessELj10EEvPKT_PS2_T2_
                                        ; -- End function
	.section	.AMDGPU.csdata,"",@progbits
; Kernel info:
; codeLenInByte = 4160
; NumSgprs: 31
; NumVgprs: 67
; NumAgprs: 0
; TotalNumVgprs: 67
; ScratchSize: 0
; MemoryBound: 0
; FloatMode: 240
; IeeeMode: 1
; LDSByteSize: 1544 bytes/workgroup (compile time only)
; SGPRBlocks: 3
; VGPRBlocks: 8
; NumSGPRsForWavesPerEU: 31
; NumVGPRsForWavesPerEU: 67
; AccumOffset: 68
; Occupancy: 7
; WaveLimiterHint : 1
; COMPUTE_PGM_RSRC2:SCRATCH_EN: 0
; COMPUTE_PGM_RSRC2:USER_SGPR: 2
; COMPUTE_PGM_RSRC2:TRAP_HANDLER: 0
; COMPUTE_PGM_RSRC2:TGID_X_EN: 1
; COMPUTE_PGM_RSRC2:TGID_Y_EN: 0
; COMPUTE_PGM_RSRC2:TGID_Z_EN: 0
; COMPUTE_PGM_RSRC2:TIDIG_COMP_CNT: 0
; COMPUTE_PGM_RSRC3_GFX90A:ACCUM_OFFSET: 16
; COMPUTE_PGM_RSRC3_GFX90A:TG_SPLIT: 0
	.section	.text._Z17sort_pairs_kernelIxLj64ELj3EN10test_utils4lessELj10EEvPKT_PS2_T2_,"axG",@progbits,_Z17sort_pairs_kernelIxLj64ELj3EN10test_utils4lessELj10EEvPKT_PS2_T2_,comdat
	.protected	_Z17sort_pairs_kernelIxLj64ELj3EN10test_utils4lessELj10EEvPKT_PS2_T2_ ; -- Begin function _Z17sort_pairs_kernelIxLj64ELj3EN10test_utils4lessELj10EEvPKT_PS2_T2_
	.globl	_Z17sort_pairs_kernelIxLj64ELj3EN10test_utils4lessELj10EEvPKT_PS2_T2_
	.p2align	8
	.type	_Z17sort_pairs_kernelIxLj64ELj3EN10test_utils4lessELj10EEvPKT_PS2_T2_,@function
_Z17sort_pairs_kernelIxLj64ELj3EN10test_utils4lessELj10EEvPKT_PS2_T2_: ; @_Z17sort_pairs_kernelIxLj64ELj3EN10test_utils4lessELj10EEvPKT_PS2_T2_
; %bb.0:
	s_load_dwordx4 s[24:27], s[0:1], 0x0
	s_mul_i32 s30, s2, 0xc0
	s_mov_b32 s31, 0
	s_lshl_b64 s[28:29], s[30:31], 3
	v_lshlrev_b32_e32 v1, 3, v0
	s_waitcnt lgkmcnt(0)
	s_add_u32 s0, s24, s28
	s_addc_u32 s1, s25, s29
	global_load_dwordx2 v[8:9], v1, s[0:1]
	global_load_dwordx2 v[10:11], v1, s[0:1] offset:512
	global_load_dwordx2 v[12:13], v1, s[0:1] offset:1024
	v_and_b32_e32 v2, 62, v0
	v_mul_u32_u24_e32 v2, 3, v2
	v_and_b32_e32 v3, 1, v0
	v_cmp_eq_u32_e32 vcc, 1, v3
	v_min_u32_e32 v3, 0xbd, v2
	v_min_u32_e32 v22, 0xc0, v2
	v_add_u32_e32 v23, 3, v3
	v_min_u32_e32 v2, 0xba, v2
	v_cndmask_b32_e64 v21, 0, 3, vcc
	v_add_u32_e32 v24, 6, v2
	v_sub_u32_e32 v2, v23, v22
	v_sub_u32_e32 v4, v24, v23
	v_min_i32_e32 v27, v21, v2
	v_and_b32_e32 v2, 60, v0
	v_sub_u32_e32 v5, v21, v4
	v_cmp_ge_i32_e32 vcc, v21, v4
	v_mul_u32_u24_e32 v2, 3, v2
	v_and_b32_e32 v4, 3, v0
	v_cndmask_b32_e32 v26, 0, v5, vcc
	v_min_u32_e32 v5, 0xba, v2
	v_min_u32_e32 v30, 0xc0, v2
	v_add_u32_e32 v31, 6, v5
	v_min_u32_e32 v2, 0xb4, v2
	v_mul_u32_u24_e32 v29, 3, v4
	v_add_u32_e32 v32, 12, v2
	v_sub_u32_e32 v2, v31, v30
	v_min_i32_e32 v35, v29, v2
	v_and_b32_e32 v2, 56, v0
	v_sub_u32_e32 v6, v32, v31
	v_mul_u32_u24_e32 v2, 3, v2
	v_sub_u32_e32 v7, v29, v6
	v_cmp_ge_i32_e64 s[0:1], v29, v6
	v_min_u32_e32 v6, 0xb4, v2
	v_mad_u32_u24 v36, v4, 3, v31
	v_and_b32_e32 v4, 7, v0
	v_min_u32_e32 v38, 0xc0, v2
	v_add_u32_e32 v39, 12, v6
	v_min_u32_e32 v2, 0xa8, v2
	v_mul_u32_u24_e32 v37, 3, v4
	v_add_u32_e32 v40, 24, v2
	v_sub_u32_e32 v2, v39, v38
	v_min_i32_e32 v43, v37, v2
	v_and_b32_e32 v2, 48, v0
	v_cndmask_b32_e64 v34, 0, v7, s[0:1]
	v_sub_u32_e32 v7, v40, v39
	v_mul_u32_u24_e32 v2, 3, v2
	v_sub_u32_e32 v14, v37, v7
	v_cmp_ge_i32_e64 s[2:3], v37, v7
	v_min_u32_e32 v7, 0xa8, v2
	v_mad_u32_u24 v44, v4, 3, v39
	v_and_b32_e32 v4, 15, v0
	v_min_u32_e32 v46, 0xc0, v2
	v_add_u32_e32 v47, 24, v7
	v_min_u32_e32 v2, 0x90, v2
	v_mul_u32_u24_e32 v45, 3, v4
	v_add_u32_e32 v48, 48, v2
	v_sub_u32_e32 v2, v47, v46
	v_min_i32_e32 v51, v45, v2
	v_and_b32_e32 v2, 32, v0
	v_cndmask_b32_e64 v42, 0, v14, s[2:3]
	v_sub_u32_e32 v14, v48, v47
	v_mul_u32_u24_e32 v2, 3, v2
	v_sub_u32_e32 v15, v45, v14
	v_cmp_ge_i32_e64 s[4:5], v45, v14
	v_min_u32_e32 v54, 0xc0, v2
	v_min_u32_e32 v14, 0x90, v2
	;; [unrolled: 1-line block ×3, first 2 shown]
	v_mad_u32_u24 v52, v4, 3, v47
	v_and_b32_e32 v4, 31, v0
	v_add_u32_e32 v55, 48, v14
	v_add_u32_e32 v57, 0x60, v2
	v_cndmask_b32_e64 v50, 0, v15, s[4:5]
	v_mul_u32_u24_e32 v53, 3, v4
	v_sub_u32_e32 v2, v55, v54
	v_sub_u32_e32 v15, v57, v55
	v_mul_u32_u24_e32 v1, 3, v0
	v_mov_b32_e32 v56, 0x60
	v_sub_u32_e32 v16, v53, v15
	v_cmp_ge_i32_e64 s[6:7], v53, v15
	v_min_i32_e32 v60, v53, v2
	v_mov_b32_e32 v2, 0xc0
	v_cndmask_b32_e64 v59, 0, v16, s[6:7]
	v_sub_u32_e64 v62, v1, v56 clamp
	v_min_i32_e32 v63, 0x60, v1
	v_lshl_add_u32 v68, v7, 3, v2
	v_mov_b32_e32 v2, 0x180
	s_movk_i32 s33, 0xc0
	v_lshlrev_b32_e32 v20, 3, v1
	v_lshlrev_b32_e32 v25, 3, v22
	v_cmp_lt_i32_e32 vcc, v26, v27
	v_add_u32_e32 v28, v23, v21
	v_lshlrev_b32_e32 v33, 3, v30
	v_cmp_lt_i32_e64 s[0:1], v34, v35
	v_lshlrev_b32_e32 v41, 3, v38
	v_cmp_lt_i32_e64 s[2:3], v42, v43
	v_lshlrev_b32_e32 v49, 3, v46
	v_cmp_lt_i32_e64 s[4:5], v50, v51
	v_lshlrev_b32_e32 v58, 3, v54
	v_cmp_lt_i32_e64 s[6:7], v59, v60
	v_mad_u32_u24 v61, v4, 3, v55
	v_cmp_lt_i32_e64 s[8:9], v62, v63
	v_mad_u32_u24 v64, v0, 3, v56
	v_lshl_add_u32 v65, v3, 3, 24
	v_lshl_add_u32 v66, v5, 3, 48
	;; [unrolled: 1-line block ×4, first 2 shown]
	s_waitcnt vmcnt(2)
	v_lshl_add_u64 v[4:5], v[8:9], 0, 1
	s_waitcnt vmcnt(1)
	v_lshl_add_u64 v[6:7], v[10:11], 0, 1
	;; [unrolled: 2-line block ×3, first 2 shown]
	s_branch .LBB125_2
.LBB125_1:                              ;   in Loop: Header=BB125_2 Depth=1
	s_or_b64 exec, exec, s[14:15]
	v_cmp_ge_i32_e64 s[14:15], v73, v56
	s_waitcnt lgkmcnt(0)
	v_cmp_lt_i64_e64 s[16:17], v[18:19], v[16:17]
	v_cndmask_b32_e64 v9, v9, v15, s[10:11]
	v_cndmask_b32_e64 v8, v8, v14, s[10:11]
	;; [unrolled: 1-line block ×3, first 2 shown]
	v_cmp_gt_i32_e64 s[10:11], s33, v72
	s_or_b64 s[14:15], s[14:15], s[16:17]
	s_and_b64 s[10:11], s[10:11], s[14:15]
	v_cndmask_b32_e64 v15, v73, v72, s[10:11]
	s_waitcnt lgkmcnt(0)
	; wave barrier
	ds_write2_b64 v20, v[2:3], v[6:7] offset1:1
	ds_write_b64 v20, v[4:5] offset:16
	v_lshlrev_b32_e32 v2, 3, v14
	v_lshlrev_b32_e32 v3, 3, v74
	s_waitcnt lgkmcnt(0)
	; wave barrier
	s_waitcnt lgkmcnt(0)
	v_lshlrev_b32_e32 v14, 3, v15
	ds_read_b64 v[4:5], v2
	ds_read_b64 v[6:7], v3
	;; [unrolled: 1-line block ×3, first 2 shown]
	s_add_i32 s31, s31, 1
	v_cndmask_b32_e64 v11, v11, v13, s[12:13]
	v_cndmask_b32_e64 v13, v17, v19, s[10:11]
	;; [unrolled: 1-line block ×3, first 2 shown]
	s_cmp_eq_u32 s31, 10
	v_cndmask_b32_e64 v12, v16, v18, s[10:11]
	s_cbranch_scc1 .LBB125_74
.LBB125_2:                              ; =>This Loop Header: Depth=1
                                        ;     Child Loop BB125_4 Depth 2
                                        ;     Child Loop BB125_16 Depth 2
	;; [unrolled: 1-line block ×6, first 2 shown]
	v_cmp_lt_i64_e64 s[10:11], v[10:11], v[8:9]
	v_cmp_gt_i64_e64 s[12:13], v[10:11], v[8:9]
	s_nop 0
	v_cndmask_b32_e64 v15, v9, v11, s[10:11]
	v_cndmask_b32_e64 v14, v8, v10, s[10:11]
	;; [unrolled: 1-line block ×6, first 2 shown]
	v_cmp_lt_i64_e64 s[12:13], v[12:13], v[8:9]
	; wave barrier
	s_nop 1
	v_cndmask_b32_e64 v11, v13, v9, s[12:13]
	v_cndmask_b32_e64 v10, v12, v8, s[12:13]
	v_cndmask_b32_e64 v9, v9, v13, s[12:13]
	v_cndmask_b32_e64 v8, v8, v12, s[12:13]
	v_cndmask_b32_e64 v17, v17, v12, s[12:13]
	v_cndmask_b32_e64 v16, v16, v13, s[12:13]
	v_cmp_lt_i64_e64 s[14:15], v[8:9], v[14:15]
	s_nop 1
	v_cndmask_b32_e64 v13, v16, v15, s[14:15]
	v_cndmask_b32_e64 v12, v17, v14, s[14:15]
	;; [unrolled: 1-line block ×4, first 2 shown]
	ds_write2_b64 v20, v[8:9], v[12:13] offset1:1
	ds_write_b64 v20, v[10:11] offset:16
	v_mov_b32_e32 v12, v26
	s_waitcnt lgkmcnt(0)
	; wave barrier
	s_waitcnt lgkmcnt(0)
	s_and_saveexec_b64 s[18:19], vcc
	s_cbranch_execz .LBB125_6
; %bb.3:                                ;   in Loop: Header=BB125_2 Depth=1
	s_mov_b64 s[20:21], 0
	v_mov_b32_e32 v12, v26
	v_mov_b32_e32 v8, v27
.LBB125_4:                              ;   Parent Loop BB125_2 Depth=1
                                        ; =>  This Inner Loop Header: Depth=2
	v_sub_u32_e32 v9, v8, v12
	v_lshrrev_b32_e32 v10, 31, v9
	v_add_u32_e32 v9, v9, v10
	v_ashrrev_i32_e32 v9, 1, v9
	v_add_u32_e32 v9, v9, v12
	v_lshl_add_u32 v10, v9, 3, v25
	v_xad_u32 v11, v9, -1, v21
	v_lshl_add_u32 v13, v11, 3, v65
	ds_read_b64 v[10:11], v10
	ds_read_b64 v[14:15], v13
	v_add_u32_e32 v13, 1, v9
	s_waitcnt lgkmcnt(0)
	v_cmp_lt_i64_e64 s[16:17], v[14:15], v[10:11]
	s_nop 1
	v_cndmask_b32_e64 v8, v8, v9, s[16:17]
	v_cndmask_b32_e64 v12, v13, v12, s[16:17]
	v_cmp_ge_i32_e64 s[16:17], v12, v8
	s_or_b64 s[20:21], s[16:17], s[20:21]
	s_andn2_b64 exec, exec, s[20:21]
	s_cbranch_execnz .LBB125_4
; %bb.5:                                ;   in Loop: Header=BB125_2 Depth=1
	s_or_b64 exec, exec, s[20:21]
.LBB125_6:                              ;   in Loop: Header=BB125_2 Depth=1
	s_or_b64 exec, exec, s[18:19]
	v_sub_u32_e32 v70, v28, v12
	v_lshl_add_u32 v15, v12, 3, v25
	v_lshlrev_b32_e32 v14, 3, v70
	ds_read_b64 v[8:9], v15
	ds_read_b64 v[10:11], v14
	v_add_u32_e32 v71, v12, v22
	v_cmp_le_i32_e64 s[18:19], v23, v71
	v_cmp_gt_i32_e64 s[16:17], v24, v70
                                        ; implicit-def: $vgpr12_vgpr13
	s_waitcnt lgkmcnt(0)
	v_cmp_lt_i64_e64 s[20:21], v[10:11], v[8:9]
	s_or_b64 s[18:19], s[18:19], s[20:21]
	s_and_b64 s[16:17], s[16:17], s[18:19]
	s_xor_b64 s[18:19], s[16:17], -1
	s_and_saveexec_b64 s[20:21], s[18:19]
	s_xor_b64 s[18:19], exec, s[20:21]
	s_cbranch_execz .LBB125_8
; %bb.7:                                ;   in Loop: Header=BB125_2 Depth=1
	ds_read_b64 v[12:13], v15 offset:8
                                        ; implicit-def: $vgpr14
.LBB125_8:                              ;   in Loop: Header=BB125_2 Depth=1
	s_or_saveexec_b64 s[18:19], s[18:19]
	v_mov_b64_e32 v[16:17], v[10:11]
	s_xor_b64 exec, exec, s[18:19]
	s_cbranch_execz .LBB125_10
; %bb.9:                                ;   in Loop: Header=BB125_2 Depth=1
	ds_read_b64 v[16:17], v14 offset:8
	s_waitcnt lgkmcnt(1)
	v_mov_b64_e32 v[12:13], v[8:9]
.LBB125_10:                             ;   in Loop: Header=BB125_2 Depth=1
	s_or_b64 exec, exec, s[18:19]
	v_add_u32_e32 v15, 1, v71
	v_add_u32_e32 v14, 1, v70
	v_cndmask_b32_e64 v73, v15, v71, s[16:17]
	v_cndmask_b32_e64 v72, v70, v14, s[16:17]
	v_cmp_ge_i32_e64 s[20:21], v73, v23
	s_waitcnt lgkmcnt(0)
	v_cmp_lt_i64_e64 s[22:23], v[16:17], v[12:13]
	v_cmp_lt_i32_e64 s[18:19], v72, v24
	s_or_b64 s[20:21], s[20:21], s[22:23]
	s_and_b64 s[18:19], s[18:19], s[20:21]
	s_xor_b64 s[20:21], s[18:19], -1
                                        ; implicit-def: $vgpr14_vgpr15
	s_and_saveexec_b64 s[22:23], s[20:21]
	s_xor_b64 s[20:21], exec, s[22:23]
	s_cbranch_execz .LBB125_12
; %bb.11:                               ;   in Loop: Header=BB125_2 Depth=1
	v_lshlrev_b32_e32 v14, 3, v73
	ds_read_b64 v[14:15], v14 offset:8
.LBB125_12:                             ;   in Loop: Header=BB125_2 Depth=1
	s_or_saveexec_b64 s[20:21], s[20:21]
	v_mov_b64_e32 v[18:19], v[16:17]
	s_xor_b64 exec, exec, s[20:21]
	s_cbranch_execz .LBB125_14
; %bb.13:                               ;   in Loop: Header=BB125_2 Depth=1
	s_waitcnt lgkmcnt(0)
	v_lshlrev_b32_e32 v14, 3, v72
	ds_read_b64 v[18:19], v14 offset:8
	v_mov_b64_e32 v[14:15], v[12:13]
.LBB125_14:                             ;   in Loop: Header=BB125_2 Depth=1
	s_or_b64 exec, exec, s[20:21]
	v_cndmask_b32_e64 v13, v13, v17, s[18:19]
	v_add_u32_e32 v17, 1, v73
	v_cndmask_b32_e64 v9, v9, v11, s[16:17]
	v_cndmask_b32_e64 v8, v8, v10, s[16:17]
	;; [unrolled: 1-line block ×7, first 2 shown]
	v_add_u32_e32 v16, 1, v72
	v_cndmask_b32_e64 v17, v17, v73, s[18:19]
	v_cndmask_b32_e64 v5, v3, v7, s[12:13]
	;; [unrolled: 1-line block ×10, first 2 shown]
	v_cmp_ge_i32_e64 s[12:13], v17, v23
	s_waitcnt lgkmcnt(0)
	v_cmp_lt_i64_e64 s[14:15], v[18:19], v[14:15]
	v_cmp_lt_i32_e64 s[10:11], v16, v24
	s_or_b64 s[12:13], s[12:13], s[14:15]
	s_and_b64 s[10:11], s[10:11], s[12:13]
	v_cndmask_b32_e64 v72, v73, v72, s[18:19]
	v_cndmask_b32_e64 v70, v71, v70, s[16:17]
	;; [unrolled: 1-line block ×4, first 2 shown]
	s_waitcnt lgkmcnt(0)
	; wave barrier
	ds_write2_b64 v20, v[6:7], v[2:3] offset1:1
	ds_write_b64 v20, v[4:5] offset:16
	v_lshlrev_b32_e32 v2, 3, v70
	v_lshlrev_b32_e32 v4, 3, v72
	;; [unrolled: 1-line block ×3, first 2 shown]
	s_waitcnt lgkmcnt(0)
	; wave barrier
	s_waitcnt lgkmcnt(0)
	ds_read_b64 v[2:3], v2
	ds_read_b64 v[6:7], v4
	;; [unrolled: 1-line block ×3, first 2 shown]
	v_cndmask_b32_e64 v11, v15, v19, s[10:11]
	s_waitcnt lgkmcnt(0)
	; wave barrier
	s_waitcnt lgkmcnt(0)
	ds_write2_b64 v20, v[8:9], v[12:13] offset1:1
	ds_write_b64 v20, v[10:11] offset:16
	v_mov_b32_e32 v12, v34
	s_waitcnt lgkmcnt(0)
	; wave barrier
	s_waitcnt lgkmcnt(0)
	s_and_saveexec_b64 s[12:13], s[0:1]
	s_cbranch_execz .LBB125_18
; %bb.15:                               ;   in Loop: Header=BB125_2 Depth=1
	s_mov_b64 s[14:15], 0
	v_mov_b32_e32 v12, v34
	v_mov_b32_e32 v8, v35
.LBB125_16:                             ;   Parent Loop BB125_2 Depth=1
                                        ; =>  This Inner Loop Header: Depth=2
	v_sub_u32_e32 v9, v8, v12
	v_lshrrev_b32_e32 v10, 31, v9
	v_add_u32_e32 v9, v9, v10
	v_ashrrev_i32_e32 v9, 1, v9
	v_add_u32_e32 v9, v9, v12
	v_lshl_add_u32 v10, v9, 3, v33
	v_xad_u32 v11, v9, -1, v29
	v_lshl_add_u32 v13, v11, 3, v66
	ds_read_b64 v[10:11], v10
	ds_read_b64 v[14:15], v13
	v_add_u32_e32 v13, 1, v9
	s_waitcnt lgkmcnt(0)
	v_cmp_lt_i64_e64 s[10:11], v[14:15], v[10:11]
	s_nop 1
	v_cndmask_b32_e64 v8, v8, v9, s[10:11]
	v_cndmask_b32_e64 v12, v13, v12, s[10:11]
	v_cmp_ge_i32_e64 s[10:11], v12, v8
	s_or_b64 s[14:15], s[10:11], s[14:15]
	s_andn2_b64 exec, exec, s[14:15]
	s_cbranch_execnz .LBB125_16
; %bb.17:                               ;   in Loop: Header=BB125_2 Depth=1
	s_or_b64 exec, exec, s[14:15]
.LBB125_18:                             ;   in Loop: Header=BB125_2 Depth=1
	s_or_b64 exec, exec, s[12:13]
	v_sub_u32_e32 v70, v36, v12
	v_lshl_add_u32 v14, v12, 3, v33
	v_lshlrev_b32_e32 v16, 3, v70
	ds_read_b64 v[8:9], v14
	ds_read_b64 v[10:11], v16
	v_add_u32_e32 v71, v12, v30
	v_cmp_le_i32_e64 s[12:13], v31, v71
	v_cmp_gt_i32_e64 s[10:11], v32, v70
                                        ; implicit-def: $vgpr12_vgpr13
	s_waitcnt lgkmcnt(0)
	v_cmp_lt_i64_e64 s[14:15], v[10:11], v[8:9]
	s_or_b64 s[12:13], s[12:13], s[14:15]
	s_and_b64 s[10:11], s[10:11], s[12:13]
	s_xor_b64 s[12:13], s[10:11], -1
	s_and_saveexec_b64 s[14:15], s[12:13]
	s_xor_b64 s[12:13], exec, s[14:15]
	s_cbranch_execz .LBB125_20
; %bb.19:                               ;   in Loop: Header=BB125_2 Depth=1
	ds_read_b64 v[12:13], v14 offset:8
                                        ; implicit-def: $vgpr16
.LBB125_20:                             ;   in Loop: Header=BB125_2 Depth=1
	s_or_saveexec_b64 s[12:13], s[12:13]
	v_mov_b64_e32 v[14:15], v[10:11]
	s_xor_b64 exec, exec, s[12:13]
	s_cbranch_execz .LBB125_22
; %bb.21:                               ;   in Loop: Header=BB125_2 Depth=1
	ds_read_b64 v[14:15], v16 offset:8
	s_waitcnt lgkmcnt(1)
	v_mov_b64_e32 v[12:13], v[8:9]
.LBB125_22:                             ;   in Loop: Header=BB125_2 Depth=1
	s_or_b64 exec, exec, s[12:13]
	v_add_u32_e32 v17, 1, v71
	v_add_u32_e32 v16, 1, v70
	v_cndmask_b32_e64 v73, v17, v71, s[10:11]
	v_cndmask_b32_e64 v72, v70, v16, s[10:11]
	v_cmp_ge_i32_e64 s[14:15], v73, v31
	s_waitcnt lgkmcnt(0)
	v_cmp_lt_i64_e64 s[16:17], v[14:15], v[12:13]
	v_cmp_lt_i32_e64 s[12:13], v72, v32
	s_or_b64 s[14:15], s[14:15], s[16:17]
	s_and_b64 s[12:13], s[12:13], s[14:15]
	s_xor_b64 s[14:15], s[12:13], -1
                                        ; implicit-def: $vgpr16_vgpr17
	s_and_saveexec_b64 s[16:17], s[14:15]
	s_xor_b64 s[14:15], exec, s[16:17]
	s_cbranch_execz .LBB125_24
; %bb.23:                               ;   in Loop: Header=BB125_2 Depth=1
	v_lshlrev_b32_e32 v16, 3, v73
	ds_read_b64 v[16:17], v16 offset:8
.LBB125_24:                             ;   in Loop: Header=BB125_2 Depth=1
	s_or_saveexec_b64 s[14:15], s[14:15]
	v_mov_b64_e32 v[18:19], v[14:15]
	s_xor_b64 exec, exec, s[14:15]
	s_cbranch_execz .LBB125_26
; %bb.25:                               ;   in Loop: Header=BB125_2 Depth=1
	s_waitcnt lgkmcnt(0)
	v_lshlrev_b32_e32 v16, 3, v72
	ds_read_b64 v[18:19], v16 offset:8
	v_mov_b64_e32 v[16:17], v[12:13]
.LBB125_26:                             ;   in Loop: Header=BB125_2 Depth=1
	s_or_b64 exec, exec, s[14:15]
	v_cndmask_b32_e64 v13, v13, v15, s[12:13]
	v_add_u32_e32 v15, 1, v73
	v_cndmask_b32_e64 v12, v12, v14, s[12:13]
	v_add_u32_e32 v14, 1, v72
	v_cndmask_b32_e64 v15, v15, v73, s[12:13]
	v_cndmask_b32_e64 v14, v72, v14, s[12:13]
	;; [unrolled: 1-line block ×3, first 2 shown]
	v_cmp_ge_i32_e64 s[12:13], v15, v31
	s_waitcnt lgkmcnt(0)
	v_cmp_lt_i64_e64 s[14:15], v[18:19], v[16:17]
	v_cndmask_b32_e64 v9, v9, v11, s[10:11]
	v_cndmask_b32_e64 v8, v8, v10, s[10:11]
	;; [unrolled: 1-line block ×3, first 2 shown]
	v_cmp_lt_i32_e64 s[10:11], v14, v32
	s_or_b64 s[12:13], s[12:13], s[14:15]
	s_and_b64 s[10:11], s[10:11], s[12:13]
	v_cndmask_b32_e64 v14, v15, v14, s[10:11]
	s_waitcnt lgkmcnt(0)
	; wave barrier
	ds_write2_b64 v20, v[2:3], v[6:7] offset1:1
	ds_write_b64 v20, v[4:5] offset:16
	v_lshlrev_b32_e32 v2, 3, v70
	v_lshlrev_b32_e32 v4, 3, v72
	v_lshlrev_b32_e32 v5, 3, v14
	s_waitcnt lgkmcnt(0)
	; wave barrier
	s_waitcnt lgkmcnt(0)
	ds_read_b64 v[2:3], v2
	ds_read_b64 v[6:7], v4
	ds_read_b64 v[4:5], v5
	v_cndmask_b32_e64 v11, v17, v19, s[10:11]
	v_cndmask_b32_e64 v10, v16, v18, s[10:11]
	s_waitcnt lgkmcnt(0)
	; wave barrier
	s_waitcnt lgkmcnt(0)
	ds_write2_b64 v20, v[8:9], v[12:13] offset1:1
	ds_write_b64 v20, v[10:11] offset:16
	v_mov_b32_e32 v12, v42
	s_waitcnt lgkmcnt(0)
	; wave barrier
	s_waitcnt lgkmcnt(0)
	s_and_saveexec_b64 s[12:13], s[2:3]
	s_cbranch_execz .LBB125_30
; %bb.27:                               ;   in Loop: Header=BB125_2 Depth=1
	s_mov_b64 s[14:15], 0
	v_mov_b32_e32 v12, v42
	v_mov_b32_e32 v8, v43
.LBB125_28:                             ;   Parent Loop BB125_2 Depth=1
                                        ; =>  This Inner Loop Header: Depth=2
	v_sub_u32_e32 v9, v8, v12
	v_lshrrev_b32_e32 v10, 31, v9
	v_add_u32_e32 v9, v9, v10
	v_ashrrev_i32_e32 v9, 1, v9
	v_add_u32_e32 v9, v9, v12
	v_lshl_add_u32 v10, v9, 3, v41
	v_xad_u32 v11, v9, -1, v37
	v_lshl_add_u32 v13, v11, 3, v67
	ds_read_b64 v[10:11], v10
	ds_read_b64 v[14:15], v13
	v_add_u32_e32 v13, 1, v9
	s_waitcnt lgkmcnt(0)
	v_cmp_lt_i64_e64 s[10:11], v[14:15], v[10:11]
	s_nop 1
	v_cndmask_b32_e64 v8, v8, v9, s[10:11]
	v_cndmask_b32_e64 v12, v13, v12, s[10:11]
	v_cmp_ge_i32_e64 s[10:11], v12, v8
	s_or_b64 s[14:15], s[10:11], s[14:15]
	s_andn2_b64 exec, exec, s[14:15]
	s_cbranch_execnz .LBB125_28
; %bb.29:                               ;   in Loop: Header=BB125_2 Depth=1
	s_or_b64 exec, exec, s[14:15]
.LBB125_30:                             ;   in Loop: Header=BB125_2 Depth=1
	s_or_b64 exec, exec, s[12:13]
	v_sub_u32_e32 v70, v44, v12
	v_lshl_add_u32 v14, v12, 3, v41
	v_lshlrev_b32_e32 v16, 3, v70
	ds_read_b64 v[8:9], v14
	ds_read_b64 v[10:11], v16
	v_add_u32_e32 v71, v12, v38
	v_cmp_le_i32_e64 s[12:13], v39, v71
	v_cmp_gt_i32_e64 s[10:11], v40, v70
                                        ; implicit-def: $vgpr12_vgpr13
	s_waitcnt lgkmcnt(0)
	v_cmp_lt_i64_e64 s[14:15], v[10:11], v[8:9]
	s_or_b64 s[12:13], s[12:13], s[14:15]
	s_and_b64 s[10:11], s[10:11], s[12:13]
	s_xor_b64 s[12:13], s[10:11], -1
	s_and_saveexec_b64 s[14:15], s[12:13]
	s_xor_b64 s[12:13], exec, s[14:15]
	s_cbranch_execz .LBB125_32
; %bb.31:                               ;   in Loop: Header=BB125_2 Depth=1
	ds_read_b64 v[12:13], v14 offset:8
                                        ; implicit-def: $vgpr16
.LBB125_32:                             ;   in Loop: Header=BB125_2 Depth=1
	s_or_saveexec_b64 s[12:13], s[12:13]
	v_mov_b64_e32 v[14:15], v[10:11]
	s_xor_b64 exec, exec, s[12:13]
	s_cbranch_execz .LBB125_34
; %bb.33:                               ;   in Loop: Header=BB125_2 Depth=1
	ds_read_b64 v[14:15], v16 offset:8
	s_waitcnt lgkmcnt(1)
	v_mov_b64_e32 v[12:13], v[8:9]
.LBB125_34:                             ;   in Loop: Header=BB125_2 Depth=1
	s_or_b64 exec, exec, s[12:13]
	v_add_u32_e32 v17, 1, v71
	v_add_u32_e32 v16, 1, v70
	v_cndmask_b32_e64 v73, v17, v71, s[10:11]
	v_cndmask_b32_e64 v72, v70, v16, s[10:11]
	v_cmp_ge_i32_e64 s[14:15], v73, v39
	s_waitcnt lgkmcnt(0)
	v_cmp_lt_i64_e64 s[16:17], v[14:15], v[12:13]
	v_cmp_lt_i32_e64 s[12:13], v72, v40
	s_or_b64 s[14:15], s[14:15], s[16:17]
	s_and_b64 s[12:13], s[12:13], s[14:15]
	s_xor_b64 s[14:15], s[12:13], -1
                                        ; implicit-def: $vgpr16_vgpr17
	s_and_saveexec_b64 s[16:17], s[14:15]
	s_xor_b64 s[14:15], exec, s[16:17]
	s_cbranch_execz .LBB125_36
; %bb.35:                               ;   in Loop: Header=BB125_2 Depth=1
	v_lshlrev_b32_e32 v16, 3, v73
	ds_read_b64 v[16:17], v16 offset:8
.LBB125_36:                             ;   in Loop: Header=BB125_2 Depth=1
	s_or_saveexec_b64 s[14:15], s[14:15]
	v_mov_b64_e32 v[18:19], v[14:15]
	s_xor_b64 exec, exec, s[14:15]
	s_cbranch_execz .LBB125_38
; %bb.37:                               ;   in Loop: Header=BB125_2 Depth=1
	s_waitcnt lgkmcnt(0)
	v_lshlrev_b32_e32 v16, 3, v72
	ds_read_b64 v[18:19], v16 offset:8
	v_mov_b64_e32 v[16:17], v[12:13]
.LBB125_38:                             ;   in Loop: Header=BB125_2 Depth=1
	s_or_b64 exec, exec, s[14:15]
	v_cndmask_b32_e64 v13, v13, v15, s[12:13]
	v_add_u32_e32 v15, 1, v73
	v_cndmask_b32_e64 v12, v12, v14, s[12:13]
	v_add_u32_e32 v14, 1, v72
	v_cndmask_b32_e64 v15, v15, v73, s[12:13]
	v_cndmask_b32_e64 v14, v72, v14, s[12:13]
	v_cndmask_b32_e64 v72, v73, v72, s[12:13]
	v_cmp_ge_i32_e64 s[12:13], v15, v39
	s_waitcnt lgkmcnt(0)
	v_cmp_lt_i64_e64 s[14:15], v[18:19], v[16:17]
	v_cndmask_b32_e64 v9, v9, v11, s[10:11]
	v_cndmask_b32_e64 v8, v8, v10, s[10:11]
	;; [unrolled: 1-line block ×3, first 2 shown]
	v_cmp_lt_i32_e64 s[10:11], v14, v40
	s_or_b64 s[12:13], s[12:13], s[14:15]
	s_and_b64 s[10:11], s[10:11], s[12:13]
	v_cndmask_b32_e64 v14, v15, v14, s[10:11]
	s_waitcnt lgkmcnt(0)
	; wave barrier
	ds_write2_b64 v20, v[2:3], v[6:7] offset1:1
	ds_write_b64 v20, v[4:5] offset:16
	v_lshlrev_b32_e32 v2, 3, v70
	v_lshlrev_b32_e32 v4, 3, v72
	;; [unrolled: 1-line block ×3, first 2 shown]
	s_waitcnt lgkmcnt(0)
	; wave barrier
	s_waitcnt lgkmcnt(0)
	ds_read_b64 v[2:3], v2
	ds_read_b64 v[6:7], v4
	;; [unrolled: 1-line block ×3, first 2 shown]
	v_cndmask_b32_e64 v11, v17, v19, s[10:11]
	v_cndmask_b32_e64 v10, v16, v18, s[10:11]
	s_waitcnt lgkmcnt(0)
	; wave barrier
	s_waitcnt lgkmcnt(0)
	ds_write2_b64 v20, v[8:9], v[12:13] offset1:1
	ds_write_b64 v20, v[10:11] offset:16
	v_mov_b32_e32 v12, v50
	s_waitcnt lgkmcnt(0)
	; wave barrier
	s_waitcnt lgkmcnt(0)
	s_and_saveexec_b64 s[12:13], s[4:5]
	s_cbranch_execz .LBB125_42
; %bb.39:                               ;   in Loop: Header=BB125_2 Depth=1
	s_mov_b64 s[14:15], 0
	v_mov_b32_e32 v12, v50
	v_mov_b32_e32 v8, v51
.LBB125_40:                             ;   Parent Loop BB125_2 Depth=1
                                        ; =>  This Inner Loop Header: Depth=2
	v_sub_u32_e32 v9, v8, v12
	v_lshrrev_b32_e32 v10, 31, v9
	v_add_u32_e32 v9, v9, v10
	v_ashrrev_i32_e32 v9, 1, v9
	v_add_u32_e32 v9, v9, v12
	v_lshl_add_u32 v10, v9, 3, v49
	v_xad_u32 v11, v9, -1, v45
	v_lshl_add_u32 v13, v11, 3, v68
	ds_read_b64 v[10:11], v10
	ds_read_b64 v[14:15], v13
	v_add_u32_e32 v13, 1, v9
	s_waitcnt lgkmcnt(0)
	v_cmp_lt_i64_e64 s[10:11], v[14:15], v[10:11]
	s_nop 1
	v_cndmask_b32_e64 v8, v8, v9, s[10:11]
	v_cndmask_b32_e64 v12, v13, v12, s[10:11]
	v_cmp_ge_i32_e64 s[10:11], v12, v8
	s_or_b64 s[14:15], s[10:11], s[14:15]
	s_andn2_b64 exec, exec, s[14:15]
	s_cbranch_execnz .LBB125_40
; %bb.41:                               ;   in Loop: Header=BB125_2 Depth=1
	s_or_b64 exec, exec, s[14:15]
.LBB125_42:                             ;   in Loop: Header=BB125_2 Depth=1
	s_or_b64 exec, exec, s[12:13]
	v_sub_u32_e32 v70, v52, v12
	v_lshl_add_u32 v14, v12, 3, v49
	v_lshlrev_b32_e32 v16, 3, v70
	ds_read_b64 v[8:9], v14
	ds_read_b64 v[10:11], v16
	v_add_u32_e32 v71, v12, v46
	v_cmp_le_i32_e64 s[12:13], v47, v71
	v_cmp_gt_i32_e64 s[10:11], v48, v70
                                        ; implicit-def: $vgpr12_vgpr13
	s_waitcnt lgkmcnt(0)
	v_cmp_lt_i64_e64 s[14:15], v[10:11], v[8:9]
	s_or_b64 s[12:13], s[12:13], s[14:15]
	s_and_b64 s[10:11], s[10:11], s[12:13]
	s_xor_b64 s[12:13], s[10:11], -1
	s_and_saveexec_b64 s[14:15], s[12:13]
	s_xor_b64 s[12:13], exec, s[14:15]
	s_cbranch_execz .LBB125_44
; %bb.43:                               ;   in Loop: Header=BB125_2 Depth=1
	ds_read_b64 v[12:13], v14 offset:8
                                        ; implicit-def: $vgpr16
.LBB125_44:                             ;   in Loop: Header=BB125_2 Depth=1
	s_or_saveexec_b64 s[12:13], s[12:13]
	v_mov_b64_e32 v[14:15], v[10:11]
	s_xor_b64 exec, exec, s[12:13]
	s_cbranch_execz .LBB125_46
; %bb.45:                               ;   in Loop: Header=BB125_2 Depth=1
	ds_read_b64 v[14:15], v16 offset:8
	s_waitcnt lgkmcnt(1)
	v_mov_b64_e32 v[12:13], v[8:9]
.LBB125_46:                             ;   in Loop: Header=BB125_2 Depth=1
	s_or_b64 exec, exec, s[12:13]
	v_add_u32_e32 v17, 1, v71
	v_add_u32_e32 v16, 1, v70
	v_cndmask_b32_e64 v73, v17, v71, s[10:11]
	v_cndmask_b32_e64 v72, v70, v16, s[10:11]
	v_cmp_ge_i32_e64 s[14:15], v73, v47
	s_waitcnt lgkmcnt(0)
	v_cmp_lt_i64_e64 s[16:17], v[14:15], v[12:13]
	v_cmp_lt_i32_e64 s[12:13], v72, v48
	s_or_b64 s[14:15], s[14:15], s[16:17]
	s_and_b64 s[12:13], s[12:13], s[14:15]
	s_xor_b64 s[14:15], s[12:13], -1
                                        ; implicit-def: $vgpr16_vgpr17
	s_and_saveexec_b64 s[16:17], s[14:15]
	s_xor_b64 s[14:15], exec, s[16:17]
	s_cbranch_execz .LBB125_48
; %bb.47:                               ;   in Loop: Header=BB125_2 Depth=1
	v_lshlrev_b32_e32 v16, 3, v73
	ds_read_b64 v[16:17], v16 offset:8
.LBB125_48:                             ;   in Loop: Header=BB125_2 Depth=1
	s_or_saveexec_b64 s[14:15], s[14:15]
	v_mov_b64_e32 v[18:19], v[14:15]
	s_xor_b64 exec, exec, s[14:15]
	s_cbranch_execz .LBB125_50
; %bb.49:                               ;   in Loop: Header=BB125_2 Depth=1
	s_waitcnt lgkmcnt(0)
	v_lshlrev_b32_e32 v16, 3, v72
	ds_read_b64 v[18:19], v16 offset:8
	v_mov_b64_e32 v[16:17], v[12:13]
.LBB125_50:                             ;   in Loop: Header=BB125_2 Depth=1
	s_or_b64 exec, exec, s[14:15]
	v_cndmask_b32_e64 v13, v13, v15, s[12:13]
	v_add_u32_e32 v15, 1, v73
	v_cndmask_b32_e64 v12, v12, v14, s[12:13]
	v_add_u32_e32 v14, 1, v72
	v_cndmask_b32_e64 v15, v15, v73, s[12:13]
	v_cndmask_b32_e64 v14, v72, v14, s[12:13]
	;; [unrolled: 1-line block ×3, first 2 shown]
	v_cmp_ge_i32_e64 s[12:13], v15, v47
	s_waitcnt lgkmcnt(0)
	v_cmp_lt_i64_e64 s[14:15], v[18:19], v[16:17]
	v_cndmask_b32_e64 v9, v9, v11, s[10:11]
	v_cndmask_b32_e64 v8, v8, v10, s[10:11]
	;; [unrolled: 1-line block ×3, first 2 shown]
	v_cmp_lt_i32_e64 s[10:11], v14, v48
	s_or_b64 s[12:13], s[12:13], s[14:15]
	s_and_b64 s[10:11], s[10:11], s[12:13]
	v_cndmask_b32_e64 v14, v15, v14, s[10:11]
	s_waitcnt lgkmcnt(0)
	; wave barrier
	ds_write2_b64 v20, v[2:3], v[6:7] offset1:1
	ds_write_b64 v20, v[4:5] offset:16
	v_lshlrev_b32_e32 v2, 3, v70
	v_lshlrev_b32_e32 v4, 3, v72
	;; [unrolled: 1-line block ×3, first 2 shown]
	s_waitcnt lgkmcnt(0)
	; wave barrier
	s_waitcnt lgkmcnt(0)
	ds_read_b64 v[2:3], v2
	ds_read_b64 v[6:7], v4
	;; [unrolled: 1-line block ×3, first 2 shown]
	v_cndmask_b32_e64 v11, v17, v19, s[10:11]
	v_cndmask_b32_e64 v10, v16, v18, s[10:11]
	s_waitcnt lgkmcnt(0)
	; wave barrier
	s_waitcnt lgkmcnt(0)
	ds_write2_b64 v20, v[8:9], v[12:13] offset1:1
	ds_write_b64 v20, v[10:11] offset:16
	v_mov_b32_e32 v12, v59
	s_waitcnt lgkmcnt(0)
	; wave barrier
	s_waitcnt lgkmcnt(0)
	s_and_saveexec_b64 s[12:13], s[6:7]
	s_cbranch_execz .LBB125_54
; %bb.51:                               ;   in Loop: Header=BB125_2 Depth=1
	s_mov_b64 s[14:15], 0
	v_mov_b32_e32 v12, v59
	v_mov_b32_e32 v8, v60
.LBB125_52:                             ;   Parent Loop BB125_2 Depth=1
                                        ; =>  This Inner Loop Header: Depth=2
	v_sub_u32_e32 v9, v8, v12
	v_lshrrev_b32_e32 v10, 31, v9
	v_add_u32_e32 v9, v9, v10
	v_ashrrev_i32_e32 v9, 1, v9
	v_add_u32_e32 v9, v9, v12
	v_lshl_add_u32 v10, v9, 3, v58
	v_xad_u32 v11, v9, -1, v53
	v_lshl_add_u32 v13, v11, 3, v69
	ds_read_b64 v[10:11], v10
	ds_read_b64 v[14:15], v13
	v_add_u32_e32 v13, 1, v9
	s_waitcnt lgkmcnt(0)
	v_cmp_lt_i64_e64 s[10:11], v[14:15], v[10:11]
	s_nop 1
	v_cndmask_b32_e64 v8, v8, v9, s[10:11]
	v_cndmask_b32_e64 v12, v13, v12, s[10:11]
	v_cmp_ge_i32_e64 s[10:11], v12, v8
	s_or_b64 s[14:15], s[10:11], s[14:15]
	s_andn2_b64 exec, exec, s[14:15]
	s_cbranch_execnz .LBB125_52
; %bb.53:                               ;   in Loop: Header=BB125_2 Depth=1
	s_or_b64 exec, exec, s[14:15]
.LBB125_54:                             ;   in Loop: Header=BB125_2 Depth=1
	s_or_b64 exec, exec, s[12:13]
	v_sub_u32_e32 v70, v61, v12
	v_lshl_add_u32 v14, v12, 3, v58
	v_lshlrev_b32_e32 v16, 3, v70
	ds_read_b64 v[8:9], v14
	ds_read_b64 v[10:11], v16
	v_add_u32_e32 v71, v12, v54
	v_cmp_le_i32_e64 s[12:13], v55, v71
	v_cmp_gt_i32_e64 s[10:11], v57, v70
                                        ; implicit-def: $vgpr12_vgpr13
	s_waitcnt lgkmcnt(0)
	v_cmp_lt_i64_e64 s[14:15], v[10:11], v[8:9]
	s_or_b64 s[12:13], s[12:13], s[14:15]
	s_and_b64 s[10:11], s[10:11], s[12:13]
	s_xor_b64 s[12:13], s[10:11], -1
	s_and_saveexec_b64 s[14:15], s[12:13]
	s_xor_b64 s[12:13], exec, s[14:15]
	s_cbranch_execz .LBB125_56
; %bb.55:                               ;   in Loop: Header=BB125_2 Depth=1
	ds_read_b64 v[12:13], v14 offset:8
                                        ; implicit-def: $vgpr16
.LBB125_56:                             ;   in Loop: Header=BB125_2 Depth=1
	s_or_saveexec_b64 s[12:13], s[12:13]
	v_mov_b64_e32 v[14:15], v[10:11]
	s_xor_b64 exec, exec, s[12:13]
	s_cbranch_execz .LBB125_58
; %bb.57:                               ;   in Loop: Header=BB125_2 Depth=1
	ds_read_b64 v[14:15], v16 offset:8
	s_waitcnt lgkmcnt(1)
	v_mov_b64_e32 v[12:13], v[8:9]
.LBB125_58:                             ;   in Loop: Header=BB125_2 Depth=1
	s_or_b64 exec, exec, s[12:13]
	v_add_u32_e32 v17, 1, v71
	v_add_u32_e32 v16, 1, v70
	v_cndmask_b32_e64 v73, v17, v71, s[10:11]
	v_cndmask_b32_e64 v72, v70, v16, s[10:11]
	v_cmp_ge_i32_e64 s[14:15], v73, v55
	s_waitcnt lgkmcnt(0)
	v_cmp_lt_i64_e64 s[16:17], v[14:15], v[12:13]
	v_cmp_lt_i32_e64 s[12:13], v72, v57
	s_or_b64 s[14:15], s[14:15], s[16:17]
	s_and_b64 s[12:13], s[12:13], s[14:15]
	s_xor_b64 s[14:15], s[12:13], -1
                                        ; implicit-def: $vgpr16_vgpr17
	s_and_saveexec_b64 s[16:17], s[14:15]
	s_xor_b64 s[14:15], exec, s[16:17]
	s_cbranch_execz .LBB125_60
; %bb.59:                               ;   in Loop: Header=BB125_2 Depth=1
	v_lshlrev_b32_e32 v16, 3, v73
	ds_read_b64 v[16:17], v16 offset:8
.LBB125_60:                             ;   in Loop: Header=BB125_2 Depth=1
	s_or_saveexec_b64 s[14:15], s[14:15]
	v_mov_b64_e32 v[18:19], v[14:15]
	s_xor_b64 exec, exec, s[14:15]
	s_cbranch_execz .LBB125_62
; %bb.61:                               ;   in Loop: Header=BB125_2 Depth=1
	s_waitcnt lgkmcnt(0)
	v_lshlrev_b32_e32 v16, 3, v72
	ds_read_b64 v[18:19], v16 offset:8
	v_mov_b64_e32 v[16:17], v[12:13]
.LBB125_62:                             ;   in Loop: Header=BB125_2 Depth=1
	s_or_b64 exec, exec, s[14:15]
	v_cndmask_b32_e64 v13, v13, v15, s[12:13]
	v_add_u32_e32 v15, 1, v73
	v_cndmask_b32_e64 v12, v12, v14, s[12:13]
	v_add_u32_e32 v14, 1, v72
	v_cndmask_b32_e64 v15, v15, v73, s[12:13]
	v_cndmask_b32_e64 v14, v72, v14, s[12:13]
	;; [unrolled: 1-line block ×3, first 2 shown]
	v_cmp_ge_i32_e64 s[12:13], v15, v55
	s_waitcnt lgkmcnt(0)
	v_cmp_lt_i64_e64 s[14:15], v[18:19], v[16:17]
	v_cndmask_b32_e64 v9, v9, v11, s[10:11]
	v_cndmask_b32_e64 v8, v8, v10, s[10:11]
	;; [unrolled: 1-line block ×3, first 2 shown]
	v_cmp_lt_i32_e64 s[10:11], v14, v57
	s_or_b64 s[12:13], s[12:13], s[14:15]
	s_and_b64 s[10:11], s[10:11], s[12:13]
	v_cndmask_b32_e64 v14, v15, v14, s[10:11]
	s_waitcnt lgkmcnt(0)
	; wave barrier
	ds_write2_b64 v20, v[2:3], v[6:7] offset1:1
	ds_write_b64 v20, v[4:5] offset:16
	v_lshlrev_b32_e32 v2, 3, v70
	v_lshlrev_b32_e32 v4, 3, v72
	;; [unrolled: 1-line block ×3, first 2 shown]
	s_waitcnt lgkmcnt(0)
	; wave barrier
	s_waitcnt lgkmcnt(0)
	ds_read_b64 v[2:3], v2
	ds_read_b64 v[6:7], v4
	;; [unrolled: 1-line block ×3, first 2 shown]
	v_mov_b32_e32 v70, v62
	v_cndmask_b32_e64 v11, v17, v19, s[10:11]
	v_cndmask_b32_e64 v10, v16, v18, s[10:11]
	s_waitcnt lgkmcnt(0)
	; wave barrier
	s_waitcnt lgkmcnt(0)
	ds_write2_b64 v20, v[8:9], v[12:13] offset1:1
	ds_write_b64 v20, v[10:11] offset:16
	s_waitcnt lgkmcnt(0)
	; wave barrier
	s_waitcnt lgkmcnt(0)
	s_and_saveexec_b64 s[12:13], s[8:9]
	s_cbranch_execz .LBB125_66
; %bb.63:                               ;   in Loop: Header=BB125_2 Depth=1
	s_mov_b64 s[14:15], 0
	v_mov_b32_e32 v70, v62
	v_mov_b32_e32 v8, v63
.LBB125_64:                             ;   Parent Loop BB125_2 Depth=1
                                        ; =>  This Inner Loop Header: Depth=2
	v_sub_u32_e32 v9, v8, v70
	v_lshrrev_b32_e32 v10, 31, v9
	v_add_u32_e32 v9, v9, v10
	v_ashrrev_i32_e32 v9, 1, v9
	v_add_u32_e32 v9, v9, v70
	v_xad_u32 v11, v9, -1, v1
	v_mov_b32_e32 v12, 0x300
	v_lshlrev_b32_e32 v10, 3, v9
	v_lshl_add_u32 v12, v11, 3, v12
	ds_read_b64 v[10:11], v10
	ds_read_b64 v[12:13], v12
	v_add_u32_e32 v14, 1, v9
	s_waitcnt lgkmcnt(0)
	v_cmp_lt_i64_e64 s[10:11], v[12:13], v[10:11]
	s_nop 1
	v_cndmask_b32_e64 v8, v8, v9, s[10:11]
	v_cndmask_b32_e64 v70, v14, v70, s[10:11]
	v_cmp_ge_i32_e64 s[10:11], v70, v8
	s_or_b64 s[14:15], s[10:11], s[14:15]
	s_andn2_b64 exec, exec, s[14:15]
	s_cbranch_execnz .LBB125_64
; %bb.65:                               ;   in Loop: Header=BB125_2 Depth=1
	s_or_b64 exec, exec, s[14:15]
.LBB125_66:                             ;   in Loop: Header=BB125_2 Depth=1
	s_or_b64 exec, exec, s[12:13]
	v_sub_u32_e32 v71, v64, v70
	v_lshlrev_b32_e32 v12, 3, v70
	v_lshlrev_b32_e32 v16, 3, v71
	ds_read_b64 v[8:9], v12
	ds_read_b64 v[14:15], v16
	v_cmp_le_i32_e64 s[12:13], v56, v70
	v_cmp_gt_i32_e64 s[10:11], s33, v71
                                        ; implicit-def: $vgpr10_vgpr11
	s_waitcnt lgkmcnt(0)
	v_cmp_lt_i64_e64 s[14:15], v[14:15], v[8:9]
	s_or_b64 s[12:13], s[12:13], s[14:15]
	s_and_b64 s[10:11], s[10:11], s[12:13]
	s_xor_b64 s[12:13], s[10:11], -1
	s_and_saveexec_b64 s[14:15], s[12:13]
	s_xor_b64 s[12:13], exec, s[14:15]
	s_cbranch_execz .LBB125_68
; %bb.67:                               ;   in Loop: Header=BB125_2 Depth=1
	ds_read_b64 v[10:11], v12 offset:8
                                        ; implicit-def: $vgpr16
.LBB125_68:                             ;   in Loop: Header=BB125_2 Depth=1
	s_or_saveexec_b64 s[12:13], s[12:13]
	v_mov_b64_e32 v[12:13], v[14:15]
	s_xor_b64 exec, exec, s[12:13]
	s_cbranch_execz .LBB125_70
; %bb.69:                               ;   in Loop: Header=BB125_2 Depth=1
	ds_read_b64 v[12:13], v16 offset:8
	s_waitcnt lgkmcnt(1)
	v_mov_b64_e32 v[10:11], v[8:9]
.LBB125_70:                             ;   in Loop: Header=BB125_2 Depth=1
	s_or_b64 exec, exec, s[12:13]
	v_add_u32_e32 v17, 1, v70
	v_add_u32_e32 v16, 1, v71
	v_cndmask_b32_e64 v75, v17, v70, s[10:11]
	v_cndmask_b32_e64 v72, v71, v16, s[10:11]
	v_cmp_ge_i32_e64 s[14:15], v75, v56
	s_waitcnt lgkmcnt(0)
	v_cmp_lt_i64_e64 s[16:17], v[12:13], v[10:11]
	v_cmp_gt_i32_e64 s[12:13], s33, v72
	s_or_b64 s[14:15], s[14:15], s[16:17]
	s_and_b64 s[12:13], s[12:13], s[14:15]
	s_xor_b64 s[14:15], s[12:13], -1
                                        ; implicit-def: $vgpr16_vgpr17
                                        ; implicit-def: $vgpr73
	s_and_saveexec_b64 s[16:17], s[14:15]
	s_xor_b64 s[14:15], exec, s[16:17]
	s_cbranch_execz .LBB125_72
; %bb.71:                               ;   in Loop: Header=BB125_2 Depth=1
	v_lshlrev_b32_e32 v16, 3, v75
	ds_read_b64 v[16:17], v16 offset:8
	v_add_u32_e32 v73, 1, v75
.LBB125_72:                             ;   in Loop: Header=BB125_2 Depth=1
	s_or_saveexec_b64 s[14:15], s[14:15]
	v_mov_b32_e32 v74, v75
	v_mov_b64_e32 v[18:19], v[12:13]
	s_xor_b64 exec, exec, s[14:15]
	s_cbranch_execz .LBB125_1
; %bb.73:                               ;   in Loop: Header=BB125_2 Depth=1
	s_waitcnt lgkmcnt(0)
	v_lshlrev_b32_e32 v17, 3, v72
	ds_read_b64 v[18:19], v17 offset:8
	v_add_u32_e32 v16, 1, v72
	v_mov_b32_e32 v74, v72
	v_mov_b32_e32 v73, v75
	;; [unrolled: 1-line block ×3, first 2 shown]
	v_mov_b64_e32 v[16:17], v[10:11]
	s_branch .LBB125_1
.LBB125_74:
	s_add_u32 s0, s26, s28
	s_waitcnt lgkmcnt(2)
	v_lshl_add_u64 v[4:5], v[8:9], 0, v[4:5]
	s_addc_u32 s1, s27, s29
	v_lshlrev_b32_e32 v0, 3, v0
	s_waitcnt lgkmcnt(1)
	v_lshl_add_u64 v[6:7], v[10:11], 0, v[6:7]
	s_waitcnt lgkmcnt(0)
	v_lshl_add_u64 v[2:3], v[12:13], 0, v[2:3]
	global_store_dwordx2 v0, v[4:5], s[0:1]
	global_store_dwordx2 v0, v[6:7], s[0:1] offset:512
	global_store_dwordx2 v0, v[2:3], s[0:1] offset:1024
	s_endpgm
	.section	.rodata,"a",@progbits
	.p2align	6, 0x0
	.amdhsa_kernel _Z17sort_pairs_kernelIxLj64ELj3EN10test_utils4lessELj10EEvPKT_PS2_T2_
		.amdhsa_group_segment_fixed_size 1544
		.amdhsa_private_segment_fixed_size 0
		.amdhsa_kernarg_size 20
		.amdhsa_user_sgpr_count 2
		.amdhsa_user_sgpr_dispatch_ptr 0
		.amdhsa_user_sgpr_queue_ptr 0
		.amdhsa_user_sgpr_kernarg_segment_ptr 1
		.amdhsa_user_sgpr_dispatch_id 0
		.amdhsa_user_sgpr_kernarg_preload_length 0
		.amdhsa_user_sgpr_kernarg_preload_offset 0
		.amdhsa_user_sgpr_private_segment_size 0
		.amdhsa_uses_dynamic_stack 0
		.amdhsa_enable_private_segment 0
		.amdhsa_system_sgpr_workgroup_id_x 1
		.amdhsa_system_sgpr_workgroup_id_y 0
		.amdhsa_system_sgpr_workgroup_id_z 0
		.amdhsa_system_sgpr_workgroup_info 0
		.amdhsa_system_vgpr_workitem_id 0
		.amdhsa_next_free_vgpr 76
		.amdhsa_next_free_sgpr 34
		.amdhsa_accum_offset 76
		.amdhsa_reserve_vcc 1
		.amdhsa_float_round_mode_32 0
		.amdhsa_float_round_mode_16_64 0
		.amdhsa_float_denorm_mode_32 3
		.amdhsa_float_denorm_mode_16_64 3
		.amdhsa_dx10_clamp 1
		.amdhsa_ieee_mode 1
		.amdhsa_fp16_overflow 0
		.amdhsa_tg_split 0
		.amdhsa_exception_fp_ieee_invalid_op 0
		.amdhsa_exception_fp_denorm_src 0
		.amdhsa_exception_fp_ieee_div_zero 0
		.amdhsa_exception_fp_ieee_overflow 0
		.amdhsa_exception_fp_ieee_underflow 0
		.amdhsa_exception_fp_ieee_inexact 0
		.amdhsa_exception_int_div_zero 0
	.end_amdhsa_kernel
	.section	.text._Z17sort_pairs_kernelIxLj64ELj3EN10test_utils4lessELj10EEvPKT_PS2_T2_,"axG",@progbits,_Z17sort_pairs_kernelIxLj64ELj3EN10test_utils4lessELj10EEvPKT_PS2_T2_,comdat
.Lfunc_end125:
	.size	_Z17sort_pairs_kernelIxLj64ELj3EN10test_utils4lessELj10EEvPKT_PS2_T2_, .Lfunc_end125-_Z17sort_pairs_kernelIxLj64ELj3EN10test_utils4lessELj10EEvPKT_PS2_T2_
                                        ; -- End function
	.section	.AMDGPU.csdata,"",@progbits
; Kernel info:
; codeLenInByte = 4864
; NumSgprs: 40
; NumVgprs: 76
; NumAgprs: 0
; TotalNumVgprs: 76
; ScratchSize: 0
; MemoryBound: 0
; FloatMode: 240
; IeeeMode: 1
; LDSByteSize: 1544 bytes/workgroup (compile time only)
; SGPRBlocks: 4
; VGPRBlocks: 9
; NumSGPRsForWavesPerEU: 40
; NumVGPRsForWavesPerEU: 76
; AccumOffset: 76
; Occupancy: 6
; WaveLimiterHint : 1
; COMPUTE_PGM_RSRC2:SCRATCH_EN: 0
; COMPUTE_PGM_RSRC2:USER_SGPR: 2
; COMPUTE_PGM_RSRC2:TRAP_HANDLER: 0
; COMPUTE_PGM_RSRC2:TGID_X_EN: 1
; COMPUTE_PGM_RSRC2:TGID_Y_EN: 0
; COMPUTE_PGM_RSRC2:TGID_Z_EN: 0
; COMPUTE_PGM_RSRC2:TIDIG_COMP_CNT: 0
; COMPUTE_PGM_RSRC3_GFX90A:ACCUM_OFFSET: 18
; COMPUTE_PGM_RSRC3_GFX90A:TG_SPLIT: 0
	.section	.text._Z16sort_keys_kernelIxLj64ELj4EN10test_utils4lessELj10EEvPKT_PS2_T2_,"axG",@progbits,_Z16sort_keys_kernelIxLj64ELj4EN10test_utils4lessELj10EEvPKT_PS2_T2_,comdat
	.protected	_Z16sort_keys_kernelIxLj64ELj4EN10test_utils4lessELj10EEvPKT_PS2_T2_ ; -- Begin function _Z16sort_keys_kernelIxLj64ELj4EN10test_utils4lessELj10EEvPKT_PS2_T2_
	.globl	_Z16sort_keys_kernelIxLj64ELj4EN10test_utils4lessELj10EEvPKT_PS2_T2_
	.p2align	8
	.type	_Z16sort_keys_kernelIxLj64ELj4EN10test_utils4lessELj10EEvPKT_PS2_T2_,@function
_Z16sort_keys_kernelIxLj64ELj4EN10test_utils4lessELj10EEvPKT_PS2_T2_: ; @_Z16sort_keys_kernelIxLj64ELj4EN10test_utils4lessELj10EEvPKT_PS2_T2_
; %bb.0:
	s_load_dwordx4 s[20:23], s[0:1], 0x0
	s_lshl_b32 s24, s2, 8
	s_mov_b32 s25, 0
	s_lshl_b64 s[26:27], s[24:25], 3
	v_lshlrev_b32_e32 v1, 3, v0
	s_waitcnt lgkmcnt(0)
	s_add_u32 s0, s20, s26
	s_addc_u32 s1, s21, s27
	global_load_dwordx2 v[4:5], v1, s[0:1]
	global_load_dwordx2 v[6:7], v1, s[0:1] offset:512
	global_load_dwordx2 v[2:3], v1, s[0:1] offset:1024
	;; [unrolled: 1-line block ×3, first 2 shown]
	v_lshlrev_b32_e32 v1, 2, v0
	v_and_b32_e32 v19, 0xf8, v1
	v_or_b32_e32 v21, 4, v19
	v_add_u32_e32 v22, 8, v19
	v_and_b32_e32 v28, 0xf0, v1
	v_and_b32_e32 v20, 4, v1
	v_sub_u32_e32 v11, v22, v21
	v_or_b32_e32 v30, 8, v28
	v_add_u32_e32 v31, 16, v28
	v_and_b32_e32 v37, 0xe0, v1
	v_sub_u32_e32 v10, v21, v19
	v_sub_u32_e32 v12, v20, v11
	v_cmp_ge_i32_e32 vcc, v20, v11
	v_and_b32_e32 v29, 12, v1
	v_sub_u32_e32 v11, v31, v30
	v_or_b32_e32 v39, 16, v37
	v_add_u32_e32 v40, 32, v37
	v_and_b32_e32 v46, 0xc0, v1
	v_cndmask_b32_e32 v25, 0, v12, vcc
	v_min_i32_e32 v26, v20, v10
	v_sub_u32_e32 v10, v30, v28
	v_sub_u32_e32 v12, v29, v11
	v_cmp_ge_i32_e64 s[0:1], v29, v11
	v_and_b32_e32 v38, 28, v1
	v_sub_u32_e32 v11, v40, v39
	v_or_b32_e32 v48, 32, v46
	v_add_u32_e32 v49, 64, v46
	v_and_b32_e32 v56, 0x80, v1
	v_cndmask_b32_e64 v34, 0, v12, s[0:1]
	v_min_i32_e32 v35, v29, v10
	v_sub_u32_e32 v10, v39, v37
	v_sub_u32_e32 v12, v38, v11
	v_cmp_ge_i32_e64 s[2:3], v38, v11
	v_and_b32_e32 v47, 60, v1
	v_sub_u32_e32 v11, v49, v48
	v_or_b32_e32 v58, 64, v56
	v_add_u32_e32 v59, 0x80, v56
	v_cndmask_b32_e64 v43, 0, v12, s[2:3]
	v_min_i32_e32 v44, v38, v10
	v_sub_u32_e32 v10, v48, v46
	v_sub_u32_e32 v12, v47, v11
	v_cmp_ge_i32_e64 s[4:5], v47, v11
	v_and_b32_e32 v57, 0x7c, v1
	v_sub_u32_e32 v11, v59, v58
	v_cndmask_b32_e64 v52, 0, v12, s[4:5]
	v_min_i32_e32 v53, v47, v10
	v_mov_b32_e32 v55, 0x80
	v_sub_u32_e32 v10, v58, v56
	v_sub_u32_e32 v12, v57, v11
	v_cmp_ge_i32_e64 s[6:7], v57, v11
	v_min_i32_e32 v63, v57, v10
	v_sub_u32_e64 v65, v1, v55 clamp
	v_cndmask_b32_e64 v62, 0, v12, s[6:7]
	v_min_i32_e32 v66, 0x80, v1
	v_lshlrev_b32_e32 v18, 5, v0
	v_lshlrev_b32_e32 v23, 3, v19
	;; [unrolled: 1-line block ×3, first 2 shown]
	v_cmp_lt_i32_e32 vcc, v25, v26
	v_add_u32_e32 v27, v21, v20
	v_lshlrev_b32_e32 v32, 3, v28
	v_lshlrev_b32_e32 v33, 3, v30
	v_cmp_lt_i32_e64 s[0:1], v34, v35
	v_add_u32_e32 v36, v30, v29
	v_lshlrev_b32_e32 v41, 3, v37
	v_lshlrev_b32_e32 v42, 3, v39
	v_cmp_lt_i32_e64 s[2:3], v43, v44
	v_add_u32_e32 v45, v39, v38
	v_lshlrev_b32_e32 v50, 3, v46
	v_lshlrev_b32_e32 v51, 3, v48
	v_cmp_lt_i32_e64 s[4:5], v52, v53
	v_add_u32_e32 v54, v48, v47
	v_lshlrev_b32_e32 v60, 3, v56
	v_lshlrev_b32_e32 v61, 3, v58
	v_cmp_lt_i32_e64 s[6:7], v62, v63
	v_add_u32_e32 v64, v58, v57
	v_cmp_lt_i32_e64 s[8:9], v65, v66
	s_movk_i32 s20, 0x100
	v_mov_b32_e32 v67, 0x400
	v_add_u32_e32 v68, 0x80, v1
	s_branch .LBB126_2
.LBB126_1:                              ;   in Loop: Header=BB126_2 Depth=1
	s_or_b64 exec, exec, s[16:17]
	v_cndmask_b32_e64 v5, v3, v5, s[10:11]
	v_cndmask_b32_e64 v4, v2, v4, s[10:11]
	;; [unrolled: 1-line block ×6, first 2 shown]
	v_cmp_ge_i32_e64 s[12:13], v70, v55
	s_waitcnt lgkmcnt(0)
	v_cmp_lt_i64_e64 s[14:15], v[16:17], v[14:15]
	v_cmp_gt_i32_e64 s[10:11], s20, v69
	s_or_b64 s[12:13], s[12:13], s[14:15]
	s_and_b64 s[10:11], s[10:11], s[12:13]
	s_add_i32 s25, s25, 1
	v_cndmask_b32_e64 v9, v15, v17, s[10:11]
	s_cmp_eq_u32 s25, 10
	v_cndmask_b32_e64 v8, v14, v16, s[10:11]
	s_cbranch_scc1 .LBB126_98
.LBB126_2:                              ; =>This Loop Header: Depth=1
                                        ;     Child Loop BB126_4 Depth 2
                                        ;     Child Loop BB126_20 Depth 2
	;; [unrolled: 1-line block ×6, first 2 shown]
	s_waitcnt vmcnt(2)
	v_cmp_lt_i64_e64 s[10:11], v[6:7], v[4:5]
	s_waitcnt lgkmcnt(0)
	; wave barrier
	s_nop 0
	v_cndmask_b32_e64 v11, v5, v7, s[10:11]
	v_cndmask_b32_e64 v10, v4, v6, s[10:11]
	;; [unrolled: 1-line block ×4, first 2 shown]
	v_cmp_gt_i64_e64 s[10:11], v[6:7], v[4:5]
	s_nop 1
	v_cndmask_b32_e64 v5, v5, v7, s[10:11]
	v_cndmask_b32_e64 v4, v4, v6, s[10:11]
	s_waitcnt vmcnt(0)
	v_cmp_lt_i64_e64 s[10:11], v[8:9], v[2:3]
	s_nop 1
	v_cndmask_b32_e64 v7, v3, v9, s[10:11]
	v_cndmask_b32_e64 v6, v2, v8, s[10:11]
	v_cndmask_b32_e64 v14, v8, v2, s[10:11]
	v_cndmask_b32_e64 v15, v9, v3, s[10:11]
	v_cmp_gt_i64_e64 s[10:11], v[8:9], v[2:3]
	v_cmp_gt_i64_e64 s[12:13], v[6:7], v[4:5]
	s_nop 0
	v_cndmask_b32_e64 v3, v3, v9, s[10:11]
	v_cndmask_b32_e64 v2, v2, v8, s[10:11]
	v_cmp_lt_i64_e64 s[10:11], v[6:7], v[4:5]
	s_nop 1
	v_cndmask_b32_e64 v16, v7, v5, s[10:11]
	v_cndmask_b32_e64 v17, v6, v4, s[10:11]
	;; [unrolled: 1-line block ×6, first 2 shown]
	v_cmp_lt_i64_e64 s[10:11], v[6:7], v[10:11]
	v_cndmask_b32_e64 v12, v4, v6, s[12:13]
	v_cndmask_b32_e64 v13, v5, v7, s[12:13]
	;; [unrolled: 1-line block ×8, first 2 shown]
	v_cmp_gt_i64_e64 s[10:11], v[4:5], v[2:3]
	s_nop 1
	v_cndmask_b32_e64 v10, v17, v2, s[10:11]
	v_cndmask_b32_e64 v11, v16, v3, s[10:11]
	;; [unrolled: 1-line block ×6, first 2 shown]
	v_cmp_lt_i64_e64 s[10:11], v[2:3], v[8:9]
	s_nop 1
	v_cndmask_b32_e64 v3, v72, v3, s[10:11]
	v_cndmask_b32_e64 v2, v71, v2, s[10:11]
	;; [unrolled: 1-line block ×4, first 2 shown]
	ds_write2_b64 v18, v[6:7], v[2:3] offset1:1
	ds_write2_b64 v18, v[8:9], v[4:5] offset0:2 offset1:3
	v_mov_b32_e32 v6, v25
	s_waitcnt lgkmcnt(0)
	; wave barrier
	s_waitcnt lgkmcnt(0)
	s_and_saveexec_b64 s[12:13], vcc
	s_cbranch_execz .LBB126_6
; %bb.3:                                ;   in Loop: Header=BB126_2 Depth=1
	s_mov_b64 s[14:15], 0
	v_mov_b32_e32 v6, v25
	v_mov_b32_e32 v2, v26
.LBB126_4:                              ;   Parent Loop BB126_2 Depth=1
                                        ; =>  This Inner Loop Header: Depth=2
	v_sub_u32_e32 v3, v2, v6
	v_lshrrev_b32_e32 v4, 31, v3
	v_add_u32_e32 v3, v3, v4
	v_ashrrev_i32_e32 v3, 1, v3
	v_add_u32_e32 v3, v3, v6
	v_lshl_add_u32 v4, v3, 3, v23
	v_xad_u32 v5, v3, -1, v20
	v_lshl_add_u32 v7, v5, 3, v24
	ds_read_b64 v[4:5], v4
	ds_read_b64 v[8:9], v7
	v_add_u32_e32 v7, 1, v3
	s_waitcnt lgkmcnt(0)
	v_cmp_lt_i64_e64 s[10:11], v[8:9], v[4:5]
	s_nop 1
	v_cndmask_b32_e64 v2, v2, v3, s[10:11]
	v_cndmask_b32_e64 v6, v7, v6, s[10:11]
	v_cmp_ge_i32_e64 s[10:11], v6, v2
	s_or_b64 s[14:15], s[10:11], s[14:15]
	s_andn2_b64 exec, exec, s[14:15]
	s_cbranch_execnz .LBB126_4
; %bb.5:                                ;   in Loop: Header=BB126_2 Depth=1
	s_or_b64 exec, exec, s[14:15]
.LBB126_6:                              ;   in Loop: Header=BB126_2 Depth=1
	s_or_b64 exec, exec, s[12:13]
	v_sub_u32_e32 v10, v27, v6
	v_lshl_add_u32 v8, v6, 3, v23
	v_lshlrev_b32_e32 v12, 3, v10
	ds_read_b64 v[2:3], v8
	ds_read_b64 v[4:5], v12
	v_add_u32_e32 v11, v6, v19
	v_cmp_le_i32_e64 s[12:13], v21, v11
	v_cmp_gt_i32_e64 s[10:11], v22, v10
                                        ; implicit-def: $vgpr6_vgpr7
	s_waitcnt lgkmcnt(0)
	v_cmp_lt_i64_e64 s[14:15], v[4:5], v[2:3]
	s_or_b64 s[12:13], s[12:13], s[14:15]
	s_and_b64 s[10:11], s[10:11], s[12:13]
	s_xor_b64 s[12:13], s[10:11], -1
	s_and_saveexec_b64 s[14:15], s[12:13]
	s_xor_b64 s[12:13], exec, s[14:15]
	s_cbranch_execz .LBB126_8
; %bb.7:                                ;   in Loop: Header=BB126_2 Depth=1
	ds_read_b64 v[6:7], v8 offset:8
                                        ; implicit-def: $vgpr12
.LBB126_8:                              ;   in Loop: Header=BB126_2 Depth=1
	s_or_saveexec_b64 s[12:13], s[12:13]
	v_mov_b64_e32 v[8:9], v[4:5]
	s_xor_b64 exec, exec, s[12:13]
	s_cbranch_execz .LBB126_10
; %bb.9:                                ;   in Loop: Header=BB126_2 Depth=1
	ds_read_b64 v[8:9], v12 offset:8
	s_waitcnt lgkmcnt(1)
	v_mov_b64_e32 v[6:7], v[2:3]
.LBB126_10:                             ;   in Loop: Header=BB126_2 Depth=1
	s_or_b64 exec, exec, s[12:13]
	v_add_u32_e32 v13, 1, v11
	v_add_u32_e32 v12, 1, v10
	v_cndmask_b32_e64 v15, v13, v11, s[10:11]
	v_cndmask_b32_e64 v14, v10, v12, s[10:11]
	v_cmp_ge_i32_e64 s[14:15], v15, v21
	s_waitcnt lgkmcnt(0)
	v_cmp_lt_i64_e64 s[16:17], v[8:9], v[6:7]
	v_cmp_lt_i32_e64 s[12:13], v14, v22
	s_or_b64 s[14:15], s[14:15], s[16:17]
	s_and_b64 s[12:13], s[12:13], s[14:15]
	s_xor_b64 s[14:15], s[12:13], -1
                                        ; implicit-def: $vgpr10_vgpr11
	s_and_saveexec_b64 s[16:17], s[14:15]
	s_xor_b64 s[14:15], exec, s[16:17]
	s_cbranch_execz .LBB126_12
; %bb.11:                               ;   in Loop: Header=BB126_2 Depth=1
	v_lshlrev_b32_e32 v10, 3, v15
	ds_read_b64 v[10:11], v10 offset:8
.LBB126_12:                             ;   in Loop: Header=BB126_2 Depth=1
	s_or_saveexec_b64 s[14:15], s[14:15]
	v_mov_b64_e32 v[12:13], v[8:9]
	s_xor_b64 exec, exec, s[14:15]
	s_cbranch_execz .LBB126_14
; %bb.13:                               ;   in Loop: Header=BB126_2 Depth=1
	s_waitcnt lgkmcnt(0)
	v_lshlrev_b32_e32 v10, 3, v14
	ds_read_b64 v[12:13], v10 offset:8
	v_mov_b64_e32 v[10:11], v[6:7]
.LBB126_14:                             ;   in Loop: Header=BB126_2 Depth=1
	s_or_b64 exec, exec, s[14:15]
	v_add_u32_e32 v17, 1, v15
	v_add_u32_e32 v16, 1, v14
	v_cndmask_b32_e64 v70, v17, v15, s[12:13]
	v_cndmask_b32_e64 v69, v14, v16, s[12:13]
	v_cmp_ge_i32_e64 s[16:17], v70, v21
	s_waitcnt lgkmcnt(0)
	v_cmp_lt_i64_e64 s[18:19], v[12:13], v[10:11]
	v_cmp_lt_i32_e64 s[14:15], v69, v22
	s_or_b64 s[16:17], s[16:17], s[18:19]
	s_and_b64 s[14:15], s[14:15], s[16:17]
	s_xor_b64 s[16:17], s[14:15], -1
                                        ; implicit-def: $vgpr14_vgpr15
	s_and_saveexec_b64 s[18:19], s[16:17]
	s_xor_b64 s[16:17], exec, s[18:19]
	s_cbranch_execz .LBB126_16
; %bb.15:                               ;   in Loop: Header=BB126_2 Depth=1
	v_lshlrev_b32_e32 v14, 3, v70
	ds_read_b64 v[14:15], v14 offset:8
.LBB126_16:                             ;   in Loop: Header=BB126_2 Depth=1
	s_or_saveexec_b64 s[16:17], s[16:17]
	v_mov_b64_e32 v[16:17], v[12:13]
	s_xor_b64 exec, exec, s[16:17]
	s_cbranch_execz .LBB126_18
; %bb.17:                               ;   in Loop: Header=BB126_2 Depth=1
	s_waitcnt lgkmcnt(0)
	v_lshlrev_b32_e32 v14, 3, v69
	ds_read_b64 v[16:17], v14 offset:8
	v_mov_b64_e32 v[14:15], v[10:11]
.LBB126_18:                             ;   in Loop: Header=BB126_2 Depth=1
	s_or_b64 exec, exec, s[16:17]
	v_cndmask_b32_e64 v11, v11, v13, s[14:15]
	v_add_u32_e32 v13, 1, v70
	v_cndmask_b32_e64 v10, v10, v12, s[14:15]
	v_add_u32_e32 v12, 1, v69
	v_cndmask_b32_e64 v13, v13, v70, s[14:15]
	v_cndmask_b32_e64 v12, v69, v12, s[14:15]
	v_cndmask_b32_e64 v7, v7, v9, s[12:13]
	v_cndmask_b32_e64 v6, v6, v8, s[12:13]
	v_cmp_ge_i32_e64 s[12:13], v13, v21
	s_waitcnt lgkmcnt(0)
	v_cmp_lt_i64_e64 s[14:15], v[16:17], v[14:15]
	v_cndmask_b32_e64 v3, v3, v5, s[10:11]
	v_cndmask_b32_e64 v2, v2, v4, s[10:11]
	v_cmp_lt_i32_e64 s[10:11], v12, v22
	s_or_b64 s[12:13], s[12:13], s[14:15]
	s_and_b64 s[10:11], s[10:11], s[12:13]
	v_cndmask_b32_e64 v5, v15, v17, s[10:11]
	v_cndmask_b32_e64 v4, v14, v16, s[10:11]
	s_waitcnt lgkmcnt(0)
	; wave barrier
	ds_write2_b64 v18, v[2:3], v[6:7] offset1:1
	ds_write2_b64 v18, v[10:11], v[4:5] offset0:2 offset1:3
	v_mov_b32_e32 v6, v34
	s_waitcnt lgkmcnt(0)
	; wave barrier
	s_waitcnt lgkmcnt(0)
	s_and_saveexec_b64 s[12:13], s[0:1]
	s_cbranch_execz .LBB126_22
; %bb.19:                               ;   in Loop: Header=BB126_2 Depth=1
	s_mov_b64 s[14:15], 0
	v_mov_b32_e32 v6, v34
	v_mov_b32_e32 v2, v35
.LBB126_20:                             ;   Parent Loop BB126_2 Depth=1
                                        ; =>  This Inner Loop Header: Depth=2
	v_sub_u32_e32 v3, v2, v6
	v_lshrrev_b32_e32 v4, 31, v3
	v_add_u32_e32 v3, v3, v4
	v_ashrrev_i32_e32 v3, 1, v3
	v_add_u32_e32 v3, v3, v6
	v_lshl_add_u32 v4, v3, 3, v32
	v_xad_u32 v5, v3, -1, v29
	v_lshl_add_u32 v7, v5, 3, v33
	ds_read_b64 v[4:5], v4
	ds_read_b64 v[8:9], v7
	v_add_u32_e32 v7, 1, v3
	s_waitcnt lgkmcnt(0)
	v_cmp_lt_i64_e64 s[10:11], v[8:9], v[4:5]
	s_nop 1
	v_cndmask_b32_e64 v2, v2, v3, s[10:11]
	v_cndmask_b32_e64 v6, v7, v6, s[10:11]
	v_cmp_ge_i32_e64 s[10:11], v6, v2
	s_or_b64 s[14:15], s[10:11], s[14:15]
	s_andn2_b64 exec, exec, s[14:15]
	s_cbranch_execnz .LBB126_20
; %bb.21:                               ;   in Loop: Header=BB126_2 Depth=1
	s_or_b64 exec, exec, s[14:15]
.LBB126_22:                             ;   in Loop: Header=BB126_2 Depth=1
	s_or_b64 exec, exec, s[12:13]
	v_sub_u32_e32 v10, v36, v6
	v_lshl_add_u32 v8, v6, 3, v32
	v_lshlrev_b32_e32 v12, 3, v10
	ds_read_b64 v[2:3], v8
	ds_read_b64 v[4:5], v12
	v_add_u32_e32 v11, v6, v28
	v_cmp_le_i32_e64 s[12:13], v30, v11
	v_cmp_gt_i32_e64 s[10:11], v31, v10
                                        ; implicit-def: $vgpr6_vgpr7
	s_waitcnt lgkmcnt(0)
	v_cmp_lt_i64_e64 s[14:15], v[4:5], v[2:3]
	s_or_b64 s[12:13], s[12:13], s[14:15]
	s_and_b64 s[10:11], s[10:11], s[12:13]
	s_xor_b64 s[12:13], s[10:11], -1
	s_and_saveexec_b64 s[14:15], s[12:13]
	s_xor_b64 s[12:13], exec, s[14:15]
	s_cbranch_execz .LBB126_24
; %bb.23:                               ;   in Loop: Header=BB126_2 Depth=1
	ds_read_b64 v[6:7], v8 offset:8
                                        ; implicit-def: $vgpr12
.LBB126_24:                             ;   in Loop: Header=BB126_2 Depth=1
	s_or_saveexec_b64 s[12:13], s[12:13]
	v_mov_b64_e32 v[8:9], v[4:5]
	s_xor_b64 exec, exec, s[12:13]
	s_cbranch_execz .LBB126_26
; %bb.25:                               ;   in Loop: Header=BB126_2 Depth=1
	ds_read_b64 v[8:9], v12 offset:8
	s_waitcnt lgkmcnt(1)
	v_mov_b64_e32 v[6:7], v[2:3]
.LBB126_26:                             ;   in Loop: Header=BB126_2 Depth=1
	s_or_b64 exec, exec, s[12:13]
	v_add_u32_e32 v13, 1, v11
	v_add_u32_e32 v12, 1, v10
	v_cndmask_b32_e64 v15, v13, v11, s[10:11]
	v_cndmask_b32_e64 v14, v10, v12, s[10:11]
	v_cmp_ge_i32_e64 s[14:15], v15, v30
	s_waitcnt lgkmcnt(0)
	v_cmp_lt_i64_e64 s[16:17], v[8:9], v[6:7]
	v_cmp_lt_i32_e64 s[12:13], v14, v31
	s_or_b64 s[14:15], s[14:15], s[16:17]
	s_and_b64 s[12:13], s[12:13], s[14:15]
	s_xor_b64 s[14:15], s[12:13], -1
                                        ; implicit-def: $vgpr10_vgpr11
	s_and_saveexec_b64 s[16:17], s[14:15]
	s_xor_b64 s[14:15], exec, s[16:17]
	s_cbranch_execz .LBB126_28
; %bb.27:                               ;   in Loop: Header=BB126_2 Depth=1
	v_lshlrev_b32_e32 v10, 3, v15
	ds_read_b64 v[10:11], v10 offset:8
.LBB126_28:                             ;   in Loop: Header=BB126_2 Depth=1
	s_or_saveexec_b64 s[14:15], s[14:15]
	v_mov_b64_e32 v[12:13], v[8:9]
	s_xor_b64 exec, exec, s[14:15]
	s_cbranch_execz .LBB126_30
; %bb.29:                               ;   in Loop: Header=BB126_2 Depth=1
	s_waitcnt lgkmcnt(0)
	v_lshlrev_b32_e32 v10, 3, v14
	ds_read_b64 v[12:13], v10 offset:8
	v_mov_b64_e32 v[10:11], v[6:7]
.LBB126_30:                             ;   in Loop: Header=BB126_2 Depth=1
	s_or_b64 exec, exec, s[14:15]
	v_add_u32_e32 v17, 1, v15
	v_add_u32_e32 v16, 1, v14
	v_cndmask_b32_e64 v70, v17, v15, s[12:13]
	v_cndmask_b32_e64 v69, v14, v16, s[12:13]
	v_cmp_ge_i32_e64 s[16:17], v70, v30
	s_waitcnt lgkmcnt(0)
	v_cmp_lt_i64_e64 s[18:19], v[12:13], v[10:11]
	v_cmp_lt_i32_e64 s[14:15], v69, v31
	s_or_b64 s[16:17], s[16:17], s[18:19]
	s_and_b64 s[14:15], s[14:15], s[16:17]
	s_xor_b64 s[16:17], s[14:15], -1
                                        ; implicit-def: $vgpr14_vgpr15
	s_and_saveexec_b64 s[18:19], s[16:17]
	s_xor_b64 s[16:17], exec, s[18:19]
	s_cbranch_execz .LBB126_32
; %bb.31:                               ;   in Loop: Header=BB126_2 Depth=1
	v_lshlrev_b32_e32 v14, 3, v70
	ds_read_b64 v[14:15], v14 offset:8
.LBB126_32:                             ;   in Loop: Header=BB126_2 Depth=1
	s_or_saveexec_b64 s[16:17], s[16:17]
	v_mov_b64_e32 v[16:17], v[12:13]
	s_xor_b64 exec, exec, s[16:17]
	s_cbranch_execz .LBB126_34
; %bb.33:                               ;   in Loop: Header=BB126_2 Depth=1
	s_waitcnt lgkmcnt(0)
	v_lshlrev_b32_e32 v14, 3, v69
	ds_read_b64 v[16:17], v14 offset:8
	v_mov_b64_e32 v[14:15], v[10:11]
.LBB126_34:                             ;   in Loop: Header=BB126_2 Depth=1
	s_or_b64 exec, exec, s[16:17]
	v_cndmask_b32_e64 v11, v11, v13, s[14:15]
	v_add_u32_e32 v13, 1, v70
	v_cndmask_b32_e64 v10, v10, v12, s[14:15]
	v_add_u32_e32 v12, 1, v69
	v_cndmask_b32_e64 v13, v13, v70, s[14:15]
	v_cndmask_b32_e64 v12, v69, v12, s[14:15]
	;; [unrolled: 1-line block ×4, first 2 shown]
	v_cmp_ge_i32_e64 s[12:13], v13, v30
	s_waitcnt lgkmcnt(0)
	v_cmp_lt_i64_e64 s[14:15], v[16:17], v[14:15]
	v_cndmask_b32_e64 v3, v3, v5, s[10:11]
	v_cndmask_b32_e64 v2, v2, v4, s[10:11]
	v_cmp_lt_i32_e64 s[10:11], v12, v31
	s_or_b64 s[12:13], s[12:13], s[14:15]
	s_and_b64 s[10:11], s[10:11], s[12:13]
	v_cndmask_b32_e64 v5, v15, v17, s[10:11]
	v_cndmask_b32_e64 v4, v14, v16, s[10:11]
	s_waitcnt lgkmcnt(0)
	; wave barrier
	ds_write2_b64 v18, v[2:3], v[6:7] offset1:1
	ds_write2_b64 v18, v[10:11], v[4:5] offset0:2 offset1:3
	v_mov_b32_e32 v6, v43
	s_waitcnt lgkmcnt(0)
	; wave barrier
	s_waitcnt lgkmcnt(0)
	s_and_saveexec_b64 s[12:13], s[2:3]
	s_cbranch_execz .LBB126_38
; %bb.35:                               ;   in Loop: Header=BB126_2 Depth=1
	s_mov_b64 s[14:15], 0
	v_mov_b32_e32 v6, v43
	v_mov_b32_e32 v2, v44
.LBB126_36:                             ;   Parent Loop BB126_2 Depth=1
                                        ; =>  This Inner Loop Header: Depth=2
	v_sub_u32_e32 v3, v2, v6
	v_lshrrev_b32_e32 v4, 31, v3
	v_add_u32_e32 v3, v3, v4
	v_ashrrev_i32_e32 v3, 1, v3
	v_add_u32_e32 v3, v3, v6
	v_lshl_add_u32 v4, v3, 3, v41
	v_xad_u32 v5, v3, -1, v38
	v_lshl_add_u32 v7, v5, 3, v42
	ds_read_b64 v[4:5], v4
	ds_read_b64 v[8:9], v7
	v_add_u32_e32 v7, 1, v3
	s_waitcnt lgkmcnt(0)
	v_cmp_lt_i64_e64 s[10:11], v[8:9], v[4:5]
	s_nop 1
	v_cndmask_b32_e64 v2, v2, v3, s[10:11]
	v_cndmask_b32_e64 v6, v7, v6, s[10:11]
	v_cmp_ge_i32_e64 s[10:11], v6, v2
	s_or_b64 s[14:15], s[10:11], s[14:15]
	s_andn2_b64 exec, exec, s[14:15]
	s_cbranch_execnz .LBB126_36
; %bb.37:                               ;   in Loop: Header=BB126_2 Depth=1
	s_or_b64 exec, exec, s[14:15]
.LBB126_38:                             ;   in Loop: Header=BB126_2 Depth=1
	s_or_b64 exec, exec, s[12:13]
	v_sub_u32_e32 v10, v45, v6
	v_lshl_add_u32 v8, v6, 3, v41
	v_lshlrev_b32_e32 v12, 3, v10
	ds_read_b64 v[2:3], v8
	ds_read_b64 v[4:5], v12
	v_add_u32_e32 v11, v6, v37
	v_cmp_le_i32_e64 s[12:13], v39, v11
	v_cmp_gt_i32_e64 s[10:11], v40, v10
                                        ; implicit-def: $vgpr6_vgpr7
	s_waitcnt lgkmcnt(0)
	v_cmp_lt_i64_e64 s[14:15], v[4:5], v[2:3]
	s_or_b64 s[12:13], s[12:13], s[14:15]
	s_and_b64 s[10:11], s[10:11], s[12:13]
	s_xor_b64 s[12:13], s[10:11], -1
	s_and_saveexec_b64 s[14:15], s[12:13]
	s_xor_b64 s[12:13], exec, s[14:15]
	s_cbranch_execz .LBB126_40
; %bb.39:                               ;   in Loop: Header=BB126_2 Depth=1
	ds_read_b64 v[6:7], v8 offset:8
                                        ; implicit-def: $vgpr12
.LBB126_40:                             ;   in Loop: Header=BB126_2 Depth=1
	s_or_saveexec_b64 s[12:13], s[12:13]
	v_mov_b64_e32 v[8:9], v[4:5]
	s_xor_b64 exec, exec, s[12:13]
	s_cbranch_execz .LBB126_42
; %bb.41:                               ;   in Loop: Header=BB126_2 Depth=1
	ds_read_b64 v[8:9], v12 offset:8
	s_waitcnt lgkmcnt(1)
	v_mov_b64_e32 v[6:7], v[2:3]
.LBB126_42:                             ;   in Loop: Header=BB126_2 Depth=1
	s_or_b64 exec, exec, s[12:13]
	v_add_u32_e32 v13, 1, v11
	v_add_u32_e32 v12, 1, v10
	v_cndmask_b32_e64 v15, v13, v11, s[10:11]
	v_cndmask_b32_e64 v14, v10, v12, s[10:11]
	v_cmp_ge_i32_e64 s[14:15], v15, v39
	s_waitcnt lgkmcnt(0)
	v_cmp_lt_i64_e64 s[16:17], v[8:9], v[6:7]
	v_cmp_lt_i32_e64 s[12:13], v14, v40
	s_or_b64 s[14:15], s[14:15], s[16:17]
	s_and_b64 s[12:13], s[12:13], s[14:15]
	s_xor_b64 s[14:15], s[12:13], -1
                                        ; implicit-def: $vgpr10_vgpr11
	s_and_saveexec_b64 s[16:17], s[14:15]
	s_xor_b64 s[14:15], exec, s[16:17]
	s_cbranch_execz .LBB126_44
; %bb.43:                               ;   in Loop: Header=BB126_2 Depth=1
	v_lshlrev_b32_e32 v10, 3, v15
	ds_read_b64 v[10:11], v10 offset:8
.LBB126_44:                             ;   in Loop: Header=BB126_2 Depth=1
	s_or_saveexec_b64 s[14:15], s[14:15]
	v_mov_b64_e32 v[12:13], v[8:9]
	s_xor_b64 exec, exec, s[14:15]
	s_cbranch_execz .LBB126_46
; %bb.45:                               ;   in Loop: Header=BB126_2 Depth=1
	s_waitcnt lgkmcnt(0)
	v_lshlrev_b32_e32 v10, 3, v14
	ds_read_b64 v[12:13], v10 offset:8
	v_mov_b64_e32 v[10:11], v[6:7]
.LBB126_46:                             ;   in Loop: Header=BB126_2 Depth=1
	s_or_b64 exec, exec, s[14:15]
	v_add_u32_e32 v17, 1, v15
	v_add_u32_e32 v16, 1, v14
	v_cndmask_b32_e64 v70, v17, v15, s[12:13]
	v_cndmask_b32_e64 v69, v14, v16, s[12:13]
	v_cmp_ge_i32_e64 s[16:17], v70, v39
	s_waitcnt lgkmcnt(0)
	v_cmp_lt_i64_e64 s[18:19], v[12:13], v[10:11]
	v_cmp_lt_i32_e64 s[14:15], v69, v40
	s_or_b64 s[16:17], s[16:17], s[18:19]
	s_and_b64 s[14:15], s[14:15], s[16:17]
	s_xor_b64 s[16:17], s[14:15], -1
                                        ; implicit-def: $vgpr14_vgpr15
	s_and_saveexec_b64 s[18:19], s[16:17]
	s_xor_b64 s[16:17], exec, s[18:19]
	s_cbranch_execz .LBB126_48
; %bb.47:                               ;   in Loop: Header=BB126_2 Depth=1
	v_lshlrev_b32_e32 v14, 3, v70
	ds_read_b64 v[14:15], v14 offset:8
.LBB126_48:                             ;   in Loop: Header=BB126_2 Depth=1
	s_or_saveexec_b64 s[16:17], s[16:17]
	v_mov_b64_e32 v[16:17], v[12:13]
	s_xor_b64 exec, exec, s[16:17]
	s_cbranch_execz .LBB126_50
; %bb.49:                               ;   in Loop: Header=BB126_2 Depth=1
	s_waitcnt lgkmcnt(0)
	v_lshlrev_b32_e32 v14, 3, v69
	ds_read_b64 v[16:17], v14 offset:8
	v_mov_b64_e32 v[14:15], v[10:11]
.LBB126_50:                             ;   in Loop: Header=BB126_2 Depth=1
	s_or_b64 exec, exec, s[16:17]
	v_cndmask_b32_e64 v11, v11, v13, s[14:15]
	v_add_u32_e32 v13, 1, v70
	v_cndmask_b32_e64 v10, v10, v12, s[14:15]
	v_add_u32_e32 v12, 1, v69
	v_cndmask_b32_e64 v13, v13, v70, s[14:15]
	v_cndmask_b32_e64 v12, v69, v12, s[14:15]
	;; [unrolled: 1-line block ×4, first 2 shown]
	v_cmp_ge_i32_e64 s[12:13], v13, v39
	s_waitcnt lgkmcnt(0)
	v_cmp_lt_i64_e64 s[14:15], v[16:17], v[14:15]
	v_cndmask_b32_e64 v3, v3, v5, s[10:11]
	v_cndmask_b32_e64 v2, v2, v4, s[10:11]
	v_cmp_lt_i32_e64 s[10:11], v12, v40
	s_or_b64 s[12:13], s[12:13], s[14:15]
	s_and_b64 s[10:11], s[10:11], s[12:13]
	v_cndmask_b32_e64 v5, v15, v17, s[10:11]
	v_cndmask_b32_e64 v4, v14, v16, s[10:11]
	s_waitcnt lgkmcnt(0)
	; wave barrier
	ds_write2_b64 v18, v[2:3], v[6:7] offset1:1
	ds_write2_b64 v18, v[10:11], v[4:5] offset0:2 offset1:3
	v_mov_b32_e32 v6, v52
	s_waitcnt lgkmcnt(0)
	; wave barrier
	s_waitcnt lgkmcnt(0)
	s_and_saveexec_b64 s[12:13], s[4:5]
	s_cbranch_execz .LBB126_54
; %bb.51:                               ;   in Loop: Header=BB126_2 Depth=1
	s_mov_b64 s[14:15], 0
	v_mov_b32_e32 v6, v52
	v_mov_b32_e32 v2, v53
.LBB126_52:                             ;   Parent Loop BB126_2 Depth=1
                                        ; =>  This Inner Loop Header: Depth=2
	v_sub_u32_e32 v3, v2, v6
	v_lshrrev_b32_e32 v4, 31, v3
	v_add_u32_e32 v3, v3, v4
	v_ashrrev_i32_e32 v3, 1, v3
	v_add_u32_e32 v3, v3, v6
	v_lshl_add_u32 v4, v3, 3, v50
	v_xad_u32 v5, v3, -1, v47
	v_lshl_add_u32 v7, v5, 3, v51
	ds_read_b64 v[4:5], v4
	ds_read_b64 v[8:9], v7
	v_add_u32_e32 v7, 1, v3
	s_waitcnt lgkmcnt(0)
	v_cmp_lt_i64_e64 s[10:11], v[8:9], v[4:5]
	s_nop 1
	v_cndmask_b32_e64 v2, v2, v3, s[10:11]
	v_cndmask_b32_e64 v6, v7, v6, s[10:11]
	v_cmp_ge_i32_e64 s[10:11], v6, v2
	s_or_b64 s[14:15], s[10:11], s[14:15]
	s_andn2_b64 exec, exec, s[14:15]
	s_cbranch_execnz .LBB126_52
; %bb.53:                               ;   in Loop: Header=BB126_2 Depth=1
	s_or_b64 exec, exec, s[14:15]
.LBB126_54:                             ;   in Loop: Header=BB126_2 Depth=1
	s_or_b64 exec, exec, s[12:13]
	v_sub_u32_e32 v10, v54, v6
	v_lshl_add_u32 v8, v6, 3, v50
	v_lshlrev_b32_e32 v12, 3, v10
	ds_read_b64 v[2:3], v8
	ds_read_b64 v[4:5], v12
	v_add_u32_e32 v11, v6, v46
	v_cmp_le_i32_e64 s[12:13], v48, v11
	v_cmp_gt_i32_e64 s[10:11], v49, v10
                                        ; implicit-def: $vgpr6_vgpr7
	s_waitcnt lgkmcnt(0)
	v_cmp_lt_i64_e64 s[14:15], v[4:5], v[2:3]
	s_or_b64 s[12:13], s[12:13], s[14:15]
	s_and_b64 s[10:11], s[10:11], s[12:13]
	s_xor_b64 s[12:13], s[10:11], -1
	s_and_saveexec_b64 s[14:15], s[12:13]
	s_xor_b64 s[12:13], exec, s[14:15]
	s_cbranch_execz .LBB126_56
; %bb.55:                               ;   in Loop: Header=BB126_2 Depth=1
	ds_read_b64 v[6:7], v8 offset:8
                                        ; implicit-def: $vgpr12
.LBB126_56:                             ;   in Loop: Header=BB126_2 Depth=1
	s_or_saveexec_b64 s[12:13], s[12:13]
	v_mov_b64_e32 v[8:9], v[4:5]
	s_xor_b64 exec, exec, s[12:13]
	s_cbranch_execz .LBB126_58
; %bb.57:                               ;   in Loop: Header=BB126_2 Depth=1
	ds_read_b64 v[8:9], v12 offset:8
	s_waitcnt lgkmcnt(1)
	v_mov_b64_e32 v[6:7], v[2:3]
.LBB126_58:                             ;   in Loop: Header=BB126_2 Depth=1
	s_or_b64 exec, exec, s[12:13]
	v_add_u32_e32 v13, 1, v11
	v_add_u32_e32 v12, 1, v10
	v_cndmask_b32_e64 v15, v13, v11, s[10:11]
	v_cndmask_b32_e64 v14, v10, v12, s[10:11]
	v_cmp_ge_i32_e64 s[14:15], v15, v48
	s_waitcnt lgkmcnt(0)
	v_cmp_lt_i64_e64 s[16:17], v[8:9], v[6:7]
	v_cmp_lt_i32_e64 s[12:13], v14, v49
	s_or_b64 s[14:15], s[14:15], s[16:17]
	s_and_b64 s[12:13], s[12:13], s[14:15]
	s_xor_b64 s[14:15], s[12:13], -1
                                        ; implicit-def: $vgpr10_vgpr11
	s_and_saveexec_b64 s[16:17], s[14:15]
	s_xor_b64 s[14:15], exec, s[16:17]
	s_cbranch_execz .LBB126_60
; %bb.59:                               ;   in Loop: Header=BB126_2 Depth=1
	v_lshlrev_b32_e32 v10, 3, v15
	ds_read_b64 v[10:11], v10 offset:8
.LBB126_60:                             ;   in Loop: Header=BB126_2 Depth=1
	s_or_saveexec_b64 s[14:15], s[14:15]
	v_mov_b64_e32 v[12:13], v[8:9]
	s_xor_b64 exec, exec, s[14:15]
	s_cbranch_execz .LBB126_62
; %bb.61:                               ;   in Loop: Header=BB126_2 Depth=1
	s_waitcnt lgkmcnt(0)
	v_lshlrev_b32_e32 v10, 3, v14
	ds_read_b64 v[12:13], v10 offset:8
	v_mov_b64_e32 v[10:11], v[6:7]
.LBB126_62:                             ;   in Loop: Header=BB126_2 Depth=1
	s_or_b64 exec, exec, s[14:15]
	v_add_u32_e32 v17, 1, v15
	v_add_u32_e32 v16, 1, v14
	v_cndmask_b32_e64 v70, v17, v15, s[12:13]
	v_cndmask_b32_e64 v69, v14, v16, s[12:13]
	v_cmp_ge_i32_e64 s[16:17], v70, v48
	s_waitcnt lgkmcnt(0)
	v_cmp_lt_i64_e64 s[18:19], v[12:13], v[10:11]
	v_cmp_lt_i32_e64 s[14:15], v69, v49
	s_or_b64 s[16:17], s[16:17], s[18:19]
	s_and_b64 s[14:15], s[14:15], s[16:17]
	s_xor_b64 s[16:17], s[14:15], -1
                                        ; implicit-def: $vgpr14_vgpr15
	s_and_saveexec_b64 s[18:19], s[16:17]
	s_xor_b64 s[16:17], exec, s[18:19]
	s_cbranch_execz .LBB126_64
; %bb.63:                               ;   in Loop: Header=BB126_2 Depth=1
	v_lshlrev_b32_e32 v14, 3, v70
	ds_read_b64 v[14:15], v14 offset:8
.LBB126_64:                             ;   in Loop: Header=BB126_2 Depth=1
	s_or_saveexec_b64 s[16:17], s[16:17]
	v_mov_b64_e32 v[16:17], v[12:13]
	s_xor_b64 exec, exec, s[16:17]
	s_cbranch_execz .LBB126_66
; %bb.65:                               ;   in Loop: Header=BB126_2 Depth=1
	s_waitcnt lgkmcnt(0)
	v_lshlrev_b32_e32 v14, 3, v69
	ds_read_b64 v[16:17], v14 offset:8
	v_mov_b64_e32 v[14:15], v[10:11]
.LBB126_66:                             ;   in Loop: Header=BB126_2 Depth=1
	s_or_b64 exec, exec, s[16:17]
	v_cndmask_b32_e64 v11, v11, v13, s[14:15]
	v_add_u32_e32 v13, 1, v70
	v_cndmask_b32_e64 v10, v10, v12, s[14:15]
	v_add_u32_e32 v12, 1, v69
	v_cndmask_b32_e64 v13, v13, v70, s[14:15]
	v_cndmask_b32_e64 v12, v69, v12, s[14:15]
	;; [unrolled: 1-line block ×4, first 2 shown]
	v_cmp_ge_i32_e64 s[12:13], v13, v48
	s_waitcnt lgkmcnt(0)
	v_cmp_lt_i64_e64 s[14:15], v[16:17], v[14:15]
	v_cndmask_b32_e64 v3, v3, v5, s[10:11]
	v_cndmask_b32_e64 v2, v2, v4, s[10:11]
	v_cmp_lt_i32_e64 s[10:11], v12, v49
	s_or_b64 s[12:13], s[12:13], s[14:15]
	s_and_b64 s[10:11], s[10:11], s[12:13]
	v_cndmask_b32_e64 v5, v15, v17, s[10:11]
	v_cndmask_b32_e64 v4, v14, v16, s[10:11]
	s_waitcnt lgkmcnt(0)
	; wave barrier
	ds_write2_b64 v18, v[2:3], v[6:7] offset1:1
	ds_write2_b64 v18, v[10:11], v[4:5] offset0:2 offset1:3
	v_mov_b32_e32 v6, v62
	s_waitcnt lgkmcnt(0)
	; wave barrier
	s_waitcnt lgkmcnt(0)
	s_and_saveexec_b64 s[12:13], s[6:7]
	s_cbranch_execz .LBB126_70
; %bb.67:                               ;   in Loop: Header=BB126_2 Depth=1
	s_mov_b64 s[14:15], 0
	v_mov_b32_e32 v6, v62
	v_mov_b32_e32 v2, v63
.LBB126_68:                             ;   Parent Loop BB126_2 Depth=1
                                        ; =>  This Inner Loop Header: Depth=2
	v_sub_u32_e32 v3, v2, v6
	v_lshrrev_b32_e32 v4, 31, v3
	v_add_u32_e32 v3, v3, v4
	v_ashrrev_i32_e32 v3, 1, v3
	v_add_u32_e32 v3, v3, v6
	v_lshl_add_u32 v4, v3, 3, v60
	v_xad_u32 v5, v3, -1, v57
	v_lshl_add_u32 v7, v5, 3, v61
	ds_read_b64 v[4:5], v4
	ds_read_b64 v[8:9], v7
	v_add_u32_e32 v7, 1, v3
	s_waitcnt lgkmcnt(0)
	v_cmp_lt_i64_e64 s[10:11], v[8:9], v[4:5]
	s_nop 1
	v_cndmask_b32_e64 v2, v2, v3, s[10:11]
	v_cndmask_b32_e64 v6, v7, v6, s[10:11]
	v_cmp_ge_i32_e64 s[10:11], v6, v2
	s_or_b64 s[14:15], s[10:11], s[14:15]
	s_andn2_b64 exec, exec, s[14:15]
	s_cbranch_execnz .LBB126_68
; %bb.69:                               ;   in Loop: Header=BB126_2 Depth=1
	s_or_b64 exec, exec, s[14:15]
.LBB126_70:                             ;   in Loop: Header=BB126_2 Depth=1
	s_or_b64 exec, exec, s[12:13]
	v_sub_u32_e32 v10, v64, v6
	v_lshl_add_u32 v8, v6, 3, v60
	v_lshlrev_b32_e32 v12, 3, v10
	ds_read_b64 v[2:3], v8
	ds_read_b64 v[4:5], v12
	v_add_u32_e32 v11, v6, v56
	v_cmp_le_i32_e64 s[12:13], v58, v11
	v_cmp_gt_i32_e64 s[10:11], v59, v10
                                        ; implicit-def: $vgpr6_vgpr7
	s_waitcnt lgkmcnt(0)
	v_cmp_lt_i64_e64 s[14:15], v[4:5], v[2:3]
	s_or_b64 s[12:13], s[12:13], s[14:15]
	s_and_b64 s[10:11], s[10:11], s[12:13]
	s_xor_b64 s[12:13], s[10:11], -1
	s_and_saveexec_b64 s[14:15], s[12:13]
	s_xor_b64 s[12:13], exec, s[14:15]
	s_cbranch_execz .LBB126_72
; %bb.71:                               ;   in Loop: Header=BB126_2 Depth=1
	ds_read_b64 v[6:7], v8 offset:8
                                        ; implicit-def: $vgpr12
.LBB126_72:                             ;   in Loop: Header=BB126_2 Depth=1
	s_or_saveexec_b64 s[12:13], s[12:13]
	v_mov_b64_e32 v[8:9], v[4:5]
	s_xor_b64 exec, exec, s[12:13]
	s_cbranch_execz .LBB126_74
; %bb.73:                               ;   in Loop: Header=BB126_2 Depth=1
	ds_read_b64 v[8:9], v12 offset:8
	s_waitcnt lgkmcnt(1)
	v_mov_b64_e32 v[6:7], v[2:3]
.LBB126_74:                             ;   in Loop: Header=BB126_2 Depth=1
	s_or_b64 exec, exec, s[12:13]
	v_add_u32_e32 v13, 1, v11
	v_add_u32_e32 v12, 1, v10
	v_cndmask_b32_e64 v15, v13, v11, s[10:11]
	v_cndmask_b32_e64 v14, v10, v12, s[10:11]
	v_cmp_ge_i32_e64 s[14:15], v15, v58
	s_waitcnt lgkmcnt(0)
	v_cmp_lt_i64_e64 s[16:17], v[8:9], v[6:7]
	v_cmp_lt_i32_e64 s[12:13], v14, v59
	s_or_b64 s[14:15], s[14:15], s[16:17]
	s_and_b64 s[12:13], s[12:13], s[14:15]
	s_xor_b64 s[14:15], s[12:13], -1
                                        ; implicit-def: $vgpr10_vgpr11
	s_and_saveexec_b64 s[16:17], s[14:15]
	s_xor_b64 s[14:15], exec, s[16:17]
	s_cbranch_execz .LBB126_76
; %bb.75:                               ;   in Loop: Header=BB126_2 Depth=1
	v_lshlrev_b32_e32 v10, 3, v15
	ds_read_b64 v[10:11], v10 offset:8
.LBB126_76:                             ;   in Loop: Header=BB126_2 Depth=1
	s_or_saveexec_b64 s[14:15], s[14:15]
	v_mov_b64_e32 v[12:13], v[8:9]
	s_xor_b64 exec, exec, s[14:15]
	s_cbranch_execz .LBB126_78
; %bb.77:                               ;   in Loop: Header=BB126_2 Depth=1
	s_waitcnt lgkmcnt(0)
	v_lshlrev_b32_e32 v10, 3, v14
	ds_read_b64 v[12:13], v10 offset:8
	v_mov_b64_e32 v[10:11], v[6:7]
.LBB126_78:                             ;   in Loop: Header=BB126_2 Depth=1
	s_or_b64 exec, exec, s[14:15]
	v_add_u32_e32 v17, 1, v15
	v_add_u32_e32 v16, 1, v14
	v_cndmask_b32_e64 v70, v17, v15, s[12:13]
	v_cndmask_b32_e64 v69, v14, v16, s[12:13]
	v_cmp_ge_i32_e64 s[16:17], v70, v58
	s_waitcnt lgkmcnt(0)
	v_cmp_lt_i64_e64 s[18:19], v[12:13], v[10:11]
	v_cmp_lt_i32_e64 s[14:15], v69, v59
	s_or_b64 s[16:17], s[16:17], s[18:19]
	s_and_b64 s[14:15], s[14:15], s[16:17]
	s_xor_b64 s[16:17], s[14:15], -1
                                        ; implicit-def: $vgpr14_vgpr15
	s_and_saveexec_b64 s[18:19], s[16:17]
	s_xor_b64 s[16:17], exec, s[18:19]
	s_cbranch_execz .LBB126_80
; %bb.79:                               ;   in Loop: Header=BB126_2 Depth=1
	v_lshlrev_b32_e32 v14, 3, v70
	ds_read_b64 v[14:15], v14 offset:8
.LBB126_80:                             ;   in Loop: Header=BB126_2 Depth=1
	s_or_saveexec_b64 s[16:17], s[16:17]
	v_mov_b64_e32 v[16:17], v[12:13]
	s_xor_b64 exec, exec, s[16:17]
	s_cbranch_execz .LBB126_82
; %bb.81:                               ;   in Loop: Header=BB126_2 Depth=1
	s_waitcnt lgkmcnt(0)
	v_lshlrev_b32_e32 v14, 3, v69
	ds_read_b64 v[16:17], v14 offset:8
	v_mov_b64_e32 v[14:15], v[10:11]
.LBB126_82:                             ;   in Loop: Header=BB126_2 Depth=1
	s_or_b64 exec, exec, s[16:17]
	v_cndmask_b32_e64 v11, v11, v13, s[14:15]
	v_add_u32_e32 v13, 1, v70
	v_cndmask_b32_e64 v10, v10, v12, s[14:15]
	v_add_u32_e32 v12, 1, v69
	v_cndmask_b32_e64 v13, v13, v70, s[14:15]
	v_cndmask_b32_e64 v12, v69, v12, s[14:15]
	;; [unrolled: 1-line block ×4, first 2 shown]
	v_cmp_ge_i32_e64 s[12:13], v13, v58
	s_waitcnt lgkmcnt(0)
	v_cmp_lt_i64_e64 s[14:15], v[16:17], v[14:15]
	v_cndmask_b32_e64 v3, v3, v5, s[10:11]
	v_cndmask_b32_e64 v2, v2, v4, s[10:11]
	v_cmp_lt_i32_e64 s[10:11], v12, v59
	s_or_b64 s[12:13], s[12:13], s[14:15]
	s_and_b64 s[10:11], s[10:11], s[12:13]
	v_cndmask_b32_e64 v5, v15, v17, s[10:11]
	v_cndmask_b32_e64 v4, v14, v16, s[10:11]
	s_waitcnt lgkmcnt(0)
	; wave barrier
	ds_write2_b64 v18, v[2:3], v[6:7] offset1:1
	ds_write2_b64 v18, v[10:11], v[4:5] offset0:2 offset1:3
	v_mov_b32_e32 v10, v65
	s_waitcnt lgkmcnt(0)
	; wave barrier
	s_waitcnt lgkmcnt(0)
	s_and_saveexec_b64 s[12:13], s[8:9]
	s_cbranch_execz .LBB126_86
; %bb.83:                               ;   in Loop: Header=BB126_2 Depth=1
	s_mov_b64 s[14:15], 0
	v_mov_b32_e32 v10, v65
	v_mov_b32_e32 v2, v66
.LBB126_84:                             ;   Parent Loop BB126_2 Depth=1
                                        ; =>  This Inner Loop Header: Depth=2
	v_sub_u32_e32 v3, v2, v10
	v_lshrrev_b32_e32 v4, 31, v3
	v_add_u32_e32 v3, v3, v4
	v_ashrrev_i32_e32 v3, 1, v3
	v_add_u32_e32 v3, v3, v10
	v_xad_u32 v5, v3, -1, v1
	v_lshlrev_b32_e32 v4, 3, v3
	v_lshl_add_u32 v6, v5, 3, v67
	ds_read_b64 v[4:5], v4
	ds_read_b64 v[6:7], v6
	v_add_u32_e32 v8, 1, v3
	s_waitcnt lgkmcnt(0)
	v_cmp_lt_i64_e64 s[10:11], v[6:7], v[4:5]
	s_nop 1
	v_cndmask_b32_e64 v2, v2, v3, s[10:11]
	v_cndmask_b32_e64 v10, v8, v10, s[10:11]
	v_cmp_ge_i32_e64 s[10:11], v10, v2
	s_or_b64 s[14:15], s[10:11], s[14:15]
	s_andn2_b64 exec, exec, s[14:15]
	s_cbranch_execnz .LBB126_84
; %bb.85:                               ;   in Loop: Header=BB126_2 Depth=1
	s_or_b64 exec, exec, s[14:15]
.LBB126_86:                             ;   in Loop: Header=BB126_2 Depth=1
	s_or_b64 exec, exec, s[12:13]
	v_sub_u32_e32 v11, v68, v10
	v_lshlrev_b32_e32 v8, 3, v10
	v_lshlrev_b32_e32 v12, 3, v11
	ds_read_b64 v[2:3], v8
	ds_read_b64 v[4:5], v12
	v_cmp_le_i32_e64 s[12:13], v55, v10
	v_cmp_gt_i32_e64 s[10:11], s20, v11
                                        ; implicit-def: $vgpr6_vgpr7
	s_waitcnt lgkmcnt(0)
	v_cmp_lt_i64_e64 s[14:15], v[4:5], v[2:3]
	s_or_b64 s[12:13], s[12:13], s[14:15]
	s_and_b64 s[10:11], s[10:11], s[12:13]
	s_xor_b64 s[12:13], s[10:11], -1
	s_and_saveexec_b64 s[14:15], s[12:13]
	s_xor_b64 s[12:13], exec, s[14:15]
	s_cbranch_execz .LBB126_88
; %bb.87:                               ;   in Loop: Header=BB126_2 Depth=1
	ds_read_b64 v[6:7], v8 offset:8
                                        ; implicit-def: $vgpr12
.LBB126_88:                             ;   in Loop: Header=BB126_2 Depth=1
	s_or_saveexec_b64 s[12:13], s[12:13]
	v_mov_b64_e32 v[8:9], v[4:5]
	s_xor_b64 exec, exec, s[12:13]
	s_cbranch_execz .LBB126_90
; %bb.89:                               ;   in Loop: Header=BB126_2 Depth=1
	ds_read_b64 v[8:9], v12 offset:8
	s_waitcnt lgkmcnt(1)
	v_mov_b64_e32 v[6:7], v[2:3]
.LBB126_90:                             ;   in Loop: Header=BB126_2 Depth=1
	s_or_b64 exec, exec, s[12:13]
	v_add_u32_e32 v13, 1, v10
	v_add_u32_e32 v12, 1, v11
	v_cndmask_b32_e64 v15, v13, v10, s[10:11]
	v_cndmask_b32_e64 v14, v11, v12, s[10:11]
	v_cmp_ge_i32_e64 s[14:15], v15, v55
	s_waitcnt lgkmcnt(0)
	v_cmp_lt_i64_e64 s[16:17], v[8:9], v[6:7]
	v_cmp_gt_i32_e64 s[12:13], s20, v14
	s_or_b64 s[14:15], s[14:15], s[16:17]
	s_and_b64 s[12:13], s[12:13], s[14:15]
	s_xor_b64 s[14:15], s[12:13], -1
                                        ; implicit-def: $vgpr10_vgpr11
	s_and_saveexec_b64 s[16:17], s[14:15]
	s_xor_b64 s[14:15], exec, s[16:17]
	s_cbranch_execz .LBB126_92
; %bb.91:                               ;   in Loop: Header=BB126_2 Depth=1
	v_lshlrev_b32_e32 v10, 3, v15
	ds_read_b64 v[10:11], v10 offset:8
.LBB126_92:                             ;   in Loop: Header=BB126_2 Depth=1
	s_or_saveexec_b64 s[14:15], s[14:15]
	v_mov_b64_e32 v[12:13], v[8:9]
	s_xor_b64 exec, exec, s[14:15]
	s_cbranch_execz .LBB126_94
; %bb.93:                               ;   in Loop: Header=BB126_2 Depth=1
	s_waitcnt lgkmcnt(0)
	v_lshlrev_b32_e32 v10, 3, v14
	ds_read_b64 v[12:13], v10 offset:8
	v_mov_b64_e32 v[10:11], v[6:7]
.LBB126_94:                             ;   in Loop: Header=BB126_2 Depth=1
	s_or_b64 exec, exec, s[14:15]
	v_add_u32_e32 v17, 1, v15
	v_add_u32_e32 v16, 1, v14
	v_cndmask_b32_e64 v71, v17, v15, s[12:13]
	v_cndmask_b32_e64 v69, v14, v16, s[12:13]
	v_cmp_ge_i32_e64 s[16:17], v71, v55
	s_waitcnt lgkmcnt(0)
	v_cmp_lt_i64_e64 s[18:19], v[12:13], v[10:11]
	v_cmp_gt_i32_e64 s[14:15], s20, v69
	s_or_b64 s[16:17], s[16:17], s[18:19]
	s_and_b64 s[14:15], s[14:15], s[16:17]
	s_xor_b64 s[16:17], s[14:15], -1
                                        ; implicit-def: $vgpr14_vgpr15
                                        ; implicit-def: $vgpr70
	s_and_saveexec_b64 s[18:19], s[16:17]
	s_xor_b64 s[16:17], exec, s[18:19]
	s_cbranch_execz .LBB126_96
; %bb.95:                               ;   in Loop: Header=BB126_2 Depth=1
	v_lshlrev_b32_e32 v14, 3, v71
	ds_read_b64 v[14:15], v14 offset:8
	v_add_u32_e32 v70, 1, v71
                                        ; implicit-def: $vgpr71
.LBB126_96:                             ;   in Loop: Header=BB126_2 Depth=1
	s_or_saveexec_b64 s[16:17], s[16:17]
	v_mov_b64_e32 v[16:17], v[12:13]
	s_xor_b64 exec, exec, s[16:17]
	s_cbranch_execz .LBB126_1
; %bb.97:                               ;   in Loop: Header=BB126_2 Depth=1
	s_waitcnt lgkmcnt(0)
	v_lshlrev_b32_e32 v14, 3, v69
	ds_read_b64 v[16:17], v14 offset:8
	v_add_u32_e32 v69, 1, v69
	v_mov_b32_e32 v70, v71
	v_mov_b64_e32 v[14:15], v[10:11]
	s_branch .LBB126_1
.LBB126_98:
	s_add_u32 s0, s22, s26
	s_addc_u32 s1, s23, s27
	v_lshlrev_b32_e32 v0, 3, v0
	global_store_dwordx2 v0, v[4:5], s[0:1]
	global_store_dwordx2 v0, v[6:7], s[0:1] offset:512
	global_store_dwordx2 v0, v[2:3], s[0:1] offset:1024
	;; [unrolled: 1-line block ×3, first 2 shown]
	s_endpgm
	.section	.rodata,"a",@progbits
	.p2align	6, 0x0
	.amdhsa_kernel _Z16sort_keys_kernelIxLj64ELj4EN10test_utils4lessELj10EEvPKT_PS2_T2_
		.amdhsa_group_segment_fixed_size 2056
		.amdhsa_private_segment_fixed_size 0
		.amdhsa_kernarg_size 20
		.amdhsa_user_sgpr_count 2
		.amdhsa_user_sgpr_dispatch_ptr 0
		.amdhsa_user_sgpr_queue_ptr 0
		.amdhsa_user_sgpr_kernarg_segment_ptr 1
		.amdhsa_user_sgpr_dispatch_id 0
		.amdhsa_user_sgpr_kernarg_preload_length 0
		.amdhsa_user_sgpr_kernarg_preload_offset 0
		.amdhsa_user_sgpr_private_segment_size 0
		.amdhsa_uses_dynamic_stack 0
		.amdhsa_enable_private_segment 0
		.amdhsa_system_sgpr_workgroup_id_x 1
		.amdhsa_system_sgpr_workgroup_id_y 0
		.amdhsa_system_sgpr_workgroup_id_z 0
		.amdhsa_system_sgpr_workgroup_info 0
		.amdhsa_system_vgpr_workitem_id 0
		.amdhsa_next_free_vgpr 73
		.amdhsa_next_free_sgpr 28
		.amdhsa_accum_offset 76
		.amdhsa_reserve_vcc 1
		.amdhsa_float_round_mode_32 0
		.amdhsa_float_round_mode_16_64 0
		.amdhsa_float_denorm_mode_32 3
		.amdhsa_float_denorm_mode_16_64 3
		.amdhsa_dx10_clamp 1
		.amdhsa_ieee_mode 1
		.amdhsa_fp16_overflow 0
		.amdhsa_tg_split 0
		.amdhsa_exception_fp_ieee_invalid_op 0
		.amdhsa_exception_fp_denorm_src 0
		.amdhsa_exception_fp_ieee_div_zero 0
		.amdhsa_exception_fp_ieee_overflow 0
		.amdhsa_exception_fp_ieee_underflow 0
		.amdhsa_exception_fp_ieee_inexact 0
		.amdhsa_exception_int_div_zero 0
	.end_amdhsa_kernel
	.section	.text._Z16sort_keys_kernelIxLj64ELj4EN10test_utils4lessELj10EEvPKT_PS2_T2_,"axG",@progbits,_Z16sort_keys_kernelIxLj64ELj4EN10test_utils4lessELj10EEvPKT_PS2_T2_,comdat
.Lfunc_end126:
	.size	_Z16sort_keys_kernelIxLj64ELj4EN10test_utils4lessELj10EEvPKT_PS2_T2_, .Lfunc_end126-_Z16sort_keys_kernelIxLj64ELj4EN10test_utils4lessELj10EEvPKT_PS2_T2_
                                        ; -- End function
	.section	.AMDGPU.csdata,"",@progbits
; Kernel info:
; codeLenInByte = 5052
; NumSgprs: 34
; NumVgprs: 73
; NumAgprs: 0
; TotalNumVgprs: 73
; ScratchSize: 0
; MemoryBound: 0
; FloatMode: 240
; IeeeMode: 1
; LDSByteSize: 2056 bytes/workgroup (compile time only)
; SGPRBlocks: 4
; VGPRBlocks: 9
; NumSGPRsForWavesPerEU: 34
; NumVGPRsForWavesPerEU: 73
; AccumOffset: 76
; Occupancy: 6
; WaveLimiterHint : 1
; COMPUTE_PGM_RSRC2:SCRATCH_EN: 0
; COMPUTE_PGM_RSRC2:USER_SGPR: 2
; COMPUTE_PGM_RSRC2:TRAP_HANDLER: 0
; COMPUTE_PGM_RSRC2:TGID_X_EN: 1
; COMPUTE_PGM_RSRC2:TGID_Y_EN: 0
; COMPUTE_PGM_RSRC2:TGID_Z_EN: 0
; COMPUTE_PGM_RSRC2:TIDIG_COMP_CNT: 0
; COMPUTE_PGM_RSRC3_GFX90A:ACCUM_OFFSET: 18
; COMPUTE_PGM_RSRC3_GFX90A:TG_SPLIT: 0
	.section	.text._Z17sort_pairs_kernelIxLj64ELj4EN10test_utils4lessELj10EEvPKT_PS2_T2_,"axG",@progbits,_Z17sort_pairs_kernelIxLj64ELj4EN10test_utils4lessELj10EEvPKT_PS2_T2_,comdat
	.protected	_Z17sort_pairs_kernelIxLj64ELj4EN10test_utils4lessELj10EEvPKT_PS2_T2_ ; -- Begin function _Z17sort_pairs_kernelIxLj64ELj4EN10test_utils4lessELj10EEvPKT_PS2_T2_
	.globl	_Z17sort_pairs_kernelIxLj64ELj4EN10test_utils4lessELj10EEvPKT_PS2_T2_
	.p2align	8
	.type	_Z17sort_pairs_kernelIxLj64ELj4EN10test_utils4lessELj10EEvPKT_PS2_T2_,@function
_Z17sort_pairs_kernelIxLj64ELj4EN10test_utils4lessELj10EEvPKT_PS2_T2_: ; @_Z17sort_pairs_kernelIxLj64ELj4EN10test_utils4lessELj10EEvPKT_PS2_T2_
; %bb.0:
	s_load_dwordx4 s[36:39], s[0:1], 0x0
	s_lshl_b32 s40, s2, 8
	s_mov_b32 s41, 0
	s_lshl_b64 s[34:35], s[40:41], 3
	v_lshlrev_b32_e32 v1, 3, v0
	s_waitcnt lgkmcnt(0)
	s_add_u32 s0, s36, s34
	s_addc_u32 s1, s37, s35
	global_load_dwordx2 v[10:11], v1, s[0:1]
	global_load_dwordx2 v[14:15], v1, s[0:1] offset:512
	global_load_dwordx2 v[12:13], v1, s[0:1] offset:1024
	;; [unrolled: 1-line block ×3, first 2 shown]
	v_lshlrev_b32_e32 v1, 2, v0
	v_and_b32_e32 v27, 0xf8, v1
	v_or_b32_e32 v29, 4, v27
	v_add_u32_e32 v30, 8, v27
	v_and_b32_e32 v36, 0xf0, v1
	v_and_b32_e32 v28, 4, v1
	v_sub_u32_e32 v3, v30, v29
	v_or_b32_e32 v38, 8, v36
	v_add_u32_e32 v39, 16, v36
	v_and_b32_e32 v45, 0xe0, v1
	v_sub_u32_e32 v2, v29, v27
	v_sub_u32_e32 v4, v28, v3
	v_cmp_ge_i32_e32 vcc, v28, v3
	v_and_b32_e32 v37, 12, v1
	v_sub_u32_e32 v3, v39, v38
	v_or_b32_e32 v47, 16, v45
	v_add_u32_e32 v48, 32, v45
	v_and_b32_e32 v54, 0xc0, v1
	v_cndmask_b32_e32 v33, 0, v4, vcc
	v_min_i32_e32 v34, v28, v2
	v_sub_u32_e32 v2, v38, v36
	v_sub_u32_e32 v4, v37, v3
	v_cmp_ge_i32_e64 s[0:1], v37, v3
	v_and_b32_e32 v46, 28, v1
	v_sub_u32_e32 v3, v48, v47
	v_or_b32_e32 v56, 32, v54
	v_add_u32_e32 v57, 64, v54
	v_and_b32_e32 v64, 0x80, v1
	v_cndmask_b32_e64 v42, 0, v4, s[0:1]
	v_min_i32_e32 v43, v37, v2
	v_sub_u32_e32 v2, v47, v45
	v_sub_u32_e32 v4, v46, v3
	v_cmp_ge_i32_e64 s[2:3], v46, v3
	v_and_b32_e32 v55, 60, v1
	v_sub_u32_e32 v3, v57, v56
	v_or_b32_e32 v66, 64, v64
	v_add_u32_e32 v67, 0x80, v64
	v_cndmask_b32_e64 v51, 0, v4, s[2:3]
	v_min_i32_e32 v52, v46, v2
	v_sub_u32_e32 v2, v56, v54
	v_sub_u32_e32 v4, v55, v3
	v_cmp_ge_i32_e64 s[4:5], v55, v3
	v_and_b32_e32 v65, 0x7c, v1
	v_sub_u32_e32 v3, v67, v66
	v_cndmask_b32_e64 v60, 0, v4, s[4:5]
	v_min_i32_e32 v61, v55, v2
	v_mov_b32_e32 v63, 0x80
	v_sub_u32_e32 v2, v66, v64
	v_sub_u32_e32 v4, v65, v3
	v_cmp_ge_i32_e64 s[6:7], v65, v3
	v_min_i32_e32 v71, v65, v2
	v_sub_u32_e64 v73, v1, v63 clamp
	v_cndmask_b32_e64 v70, 0, v4, s[6:7]
	v_min_i32_e32 v74, 0x80, v1
	v_lshlrev_b32_e32 v26, 5, v0
	v_lshlrev_b32_e32 v31, 3, v27
	;; [unrolled: 1-line block ×3, first 2 shown]
	v_cmp_lt_i32_e32 vcc, v33, v34
	v_add_u32_e32 v35, v29, v28
	v_lshlrev_b32_e32 v40, 3, v36
	v_lshlrev_b32_e32 v41, 3, v38
	v_cmp_lt_i32_e64 s[0:1], v42, v43
	v_add_u32_e32 v44, v38, v37
	v_lshlrev_b32_e32 v49, 3, v45
	v_lshlrev_b32_e32 v50, 3, v47
	v_cmp_lt_i32_e64 s[2:3], v51, v52
	;; [unrolled: 4-line block ×4, first 2 shown]
	v_add_u32_e32 v72, v66, v65
	v_cmp_lt_i32_e64 s[8:9], v73, v74
	s_movk_i32 s33, 0x100
	v_add_u32_e32 v75, 0x80, v1
	s_waitcnt vmcnt(3)
	v_lshl_add_u64 v[6:7], v[10:11], 0, 1
	s_waitcnt vmcnt(2)
	v_lshl_add_u64 v[8:9], v[14:15], 0, 1
	;; [unrolled: 2-line block ×4, first 2 shown]
	s_branch .LBB127_2
.LBB127_1:                              ;   in Loop: Header=BB127_2 Depth=1
	s_or_b64 exec, exec, s[16:17]
	v_cndmask_b32_e64 v11, v11, v15, s[10:11]
	v_cndmask_b32_e64 v10, v10, v14, s[10:11]
	v_cndmask_b32_e64 v15, v17, v21, s[14:15]
	v_cndmask_b32_e64 v14, v16, v20, s[14:15]
	v_cndmask_b32_e64 v16, v79, v78, s[14:15]
	v_cmp_ge_i32_e64 s[14:15], v82, v63
	s_waitcnt lgkmcnt(0)
	v_cmp_lt_i64_e64 s[16:17], v[24:25], v[22:23]
	v_cndmask_b32_e64 v13, v13, v19, s[12:13]
	v_cndmask_b32_e64 v19, v76, v77, s[10:11]
	v_cmp_gt_i32_e64 s[10:11], s33, v80
	s_or_b64 s[14:15], s[14:15], s[16:17]
	s_and_b64 s[10:11], s[10:11], s[14:15]
	v_cndmask_b32_e64 v20, v82, v80, s[10:11]
	s_waitcnt lgkmcnt(0)
	; wave barrier
	ds_write2_b64 v26, v[6:7], v[8:9] offset1:1
	ds_write2_b64 v26, v[2:3], v[4:5] offset0:2 offset1:3
	v_lshlrev_b32_e32 v2, 3, v19
	v_lshlrev_b32_e32 v3, 3, v16
	;; [unrolled: 1-line block ×4, first 2 shown]
	s_waitcnt lgkmcnt(0)
	; wave barrier
	s_waitcnt lgkmcnt(0)
	ds_read_b64 v[6:7], v2
	ds_read_b64 v[8:9], v3
	ds_read_b64 v[2:3], v4
	ds_read_b64 v[4:5], v5
	s_add_i32 s41, s41, 1
	v_cndmask_b32_e64 v17, v23, v25, s[10:11]
	v_cndmask_b32_e64 v12, v12, v18, s[12:13]
	s_cmp_eq_u32 s41, 10
	v_cndmask_b32_e64 v16, v22, v24, s[10:11]
	s_cbranch_scc1 .LBB127_98
.LBB127_2:                              ; =>This Loop Header: Depth=1
                                        ;     Child Loop BB127_4 Depth 2
                                        ;     Child Loop BB127_20 Depth 2
	;; [unrolled: 1-line block ×6, first 2 shown]
	v_cmp_lt_i64_e64 s[10:11], v[14:15], v[10:11]
	v_cmp_lt_i64_e64 s[12:13], v[16:17], v[12:13]
	s_nop 0
	v_cndmask_b32_e64 v19, v11, v15, s[10:11]
	v_cndmask_b32_e64 v18, v10, v14, s[10:11]
	;; [unrolled: 1-line block ×8, first 2 shown]
	v_cmp_lt_i64_e64 s[14:15], v[12:13], v[10:11]
	; wave barrier
	s_nop 1
	v_cndmask_b32_e64 v17, v13, v11, s[14:15]
	v_cndmask_b32_e64 v16, v12, v10, s[14:15]
	;; [unrolled: 1-line block ×4, first 2 shown]
	v_cmp_lt_i64_e64 s[16:17], v[10:11], v[18:19]
	v_cmp_lt_i64_e64 s[18:19], v[14:15], v[16:17]
	s_nop 0
	v_cndmask_b32_e64 v13, v11, v19, s[16:17]
	v_cndmask_b32_e64 v12, v10, v18, s[16:17]
	;; [unrolled: 1-line block ×8, first 2 shown]
	v_cmp_lt_i64_e64 s[20:21], v[14:15], v[12:13]
	s_nop 1
	v_cndmask_b32_e64 v17, v15, v13, s[20:21]
	v_cndmask_b32_e64 v16, v14, v12, s[20:21]
	;; [unrolled: 1-line block ×4, first 2 shown]
	v_mov_b32_e32 v14, v33
	ds_write2_b64 v26, v[10:11], v[12:13] offset1:1
	ds_write2_b64 v26, v[16:17], v[18:19] offset0:2 offset1:3
	s_waitcnt lgkmcnt(0)
	; wave barrier
	s_waitcnt lgkmcnt(0)
	s_and_saveexec_b64 s[24:25], vcc
	s_cbranch_execz .LBB127_6
; %bb.3:                                ;   in Loop: Header=BB127_2 Depth=1
	s_mov_b64 s[26:27], 0
	v_mov_b32_e32 v14, v33
	v_mov_b32_e32 v10, v34
.LBB127_4:                              ;   Parent Loop BB127_2 Depth=1
                                        ; =>  This Inner Loop Header: Depth=2
	v_sub_u32_e32 v11, v10, v14
	v_lshrrev_b32_e32 v12, 31, v11
	v_add_u32_e32 v11, v11, v12
	v_ashrrev_i32_e32 v11, 1, v11
	v_add_u32_e32 v11, v11, v14
	v_lshl_add_u32 v12, v11, 3, v31
	v_xad_u32 v13, v11, -1, v28
	v_lshl_add_u32 v15, v13, 3, v32
	ds_read_b64 v[12:13], v12
	ds_read_b64 v[16:17], v15
	v_add_u32_e32 v15, 1, v11
	s_waitcnt lgkmcnt(0)
	v_cmp_lt_i64_e64 s[22:23], v[16:17], v[12:13]
	s_nop 1
	v_cndmask_b32_e64 v10, v10, v11, s[22:23]
	v_cndmask_b32_e64 v14, v15, v14, s[22:23]
	v_cmp_ge_i32_e64 s[22:23], v14, v10
	s_or_b64 s[26:27], s[22:23], s[26:27]
	s_andn2_b64 exec, exec, s[26:27]
	s_cbranch_execnz .LBB127_4
; %bb.5:                                ;   in Loop: Header=BB127_2 Depth=1
	s_or_b64 exec, exec, s[26:27]
.LBB127_6:                              ;   in Loop: Header=BB127_2 Depth=1
	s_or_b64 exec, exec, s[24:25]
	v_sub_u32_e32 v76, v35, v14
	v_lshl_add_u32 v16, v14, 3, v31
	v_lshlrev_b32_e32 v18, 3, v76
	ds_read_b64 v[10:11], v16
	ds_read_b64 v[12:13], v18
	v_add_u32_e32 v77, v14, v27
	v_cmp_le_i32_e64 s[24:25], v29, v77
	v_cmp_gt_i32_e64 s[22:23], v30, v76
                                        ; implicit-def: $vgpr14_vgpr15
	s_waitcnt lgkmcnt(0)
	v_cmp_lt_i64_e64 s[26:27], v[12:13], v[10:11]
	s_or_b64 s[24:25], s[24:25], s[26:27]
	s_and_b64 s[22:23], s[22:23], s[24:25]
	s_xor_b64 s[24:25], s[22:23], -1
	s_and_saveexec_b64 s[26:27], s[24:25]
	s_xor_b64 s[24:25], exec, s[26:27]
	s_cbranch_execz .LBB127_8
; %bb.7:                                ;   in Loop: Header=BB127_2 Depth=1
	ds_read_b64 v[14:15], v16 offset:8
                                        ; implicit-def: $vgpr18
.LBB127_8:                              ;   in Loop: Header=BB127_2 Depth=1
	s_or_saveexec_b64 s[24:25], s[24:25]
	v_mov_b64_e32 v[16:17], v[12:13]
	s_xor_b64 exec, exec, s[24:25]
	s_cbranch_execz .LBB127_10
; %bb.9:                                ;   in Loop: Header=BB127_2 Depth=1
	ds_read_b64 v[16:17], v18 offset:8
	s_waitcnt lgkmcnt(1)
	v_mov_b64_e32 v[14:15], v[10:11]
.LBB127_10:                             ;   in Loop: Header=BB127_2 Depth=1
	s_or_b64 exec, exec, s[24:25]
	v_add_u32_e32 v19, 1, v77
	v_add_u32_e32 v18, 1, v76
	v_cndmask_b32_e64 v79, v19, v77, s[22:23]
	v_cndmask_b32_e64 v78, v76, v18, s[22:23]
	v_cmp_ge_i32_e64 s[26:27], v79, v29
	s_waitcnt lgkmcnt(0)
	v_cmp_lt_i64_e64 s[28:29], v[16:17], v[14:15]
	v_cmp_lt_i32_e64 s[24:25], v78, v30
	s_or_b64 s[26:27], s[26:27], s[28:29]
	s_and_b64 s[24:25], s[24:25], s[26:27]
	s_xor_b64 s[26:27], s[24:25], -1
                                        ; implicit-def: $vgpr18_vgpr19
	s_and_saveexec_b64 s[28:29], s[26:27]
	s_xor_b64 s[26:27], exec, s[28:29]
	s_cbranch_execz .LBB127_12
; %bb.11:                               ;   in Loop: Header=BB127_2 Depth=1
	v_lshlrev_b32_e32 v18, 3, v79
	ds_read_b64 v[18:19], v18 offset:8
.LBB127_12:                             ;   in Loop: Header=BB127_2 Depth=1
	s_or_saveexec_b64 s[26:27], s[26:27]
	v_mov_b64_e32 v[22:23], v[16:17]
	s_xor_b64 exec, exec, s[26:27]
	s_cbranch_execz .LBB127_14
; %bb.13:                               ;   in Loop: Header=BB127_2 Depth=1
	s_waitcnt lgkmcnt(0)
	v_lshlrev_b32_e32 v18, 3, v78
	ds_read_b64 v[22:23], v18 offset:8
	v_mov_b64_e32 v[18:19], v[14:15]
.LBB127_14:                             ;   in Loop: Header=BB127_2 Depth=1
	s_or_b64 exec, exec, s[26:27]
	v_add_u32_e32 v21, 1, v79
	v_add_u32_e32 v20, 1, v78
	v_cndmask_b32_e64 v81, v21, v79, s[24:25]
	v_cndmask_b32_e64 v80, v78, v20, s[24:25]
	v_cmp_ge_i32_e64 s[28:29], v81, v29
	s_waitcnt lgkmcnt(0)
	v_cmp_lt_i64_e64 s[30:31], v[22:23], v[18:19]
	v_cmp_lt_i32_e64 s[26:27], v80, v30
	s_or_b64 s[28:29], s[28:29], s[30:31]
	s_and_b64 s[26:27], s[26:27], s[28:29]
	s_xor_b64 s[28:29], s[26:27], -1
                                        ; implicit-def: $vgpr20_vgpr21
	s_and_saveexec_b64 s[30:31], s[28:29]
	s_xor_b64 s[28:29], exec, s[30:31]
	s_cbranch_execz .LBB127_16
; %bb.15:                               ;   in Loop: Header=BB127_2 Depth=1
	v_lshlrev_b32_e32 v20, 3, v81
	ds_read_b64 v[20:21], v20 offset:8
.LBB127_16:                             ;   in Loop: Header=BB127_2 Depth=1
	s_or_saveexec_b64 s[28:29], s[28:29]
	v_mov_b64_e32 v[24:25], v[22:23]
	s_xor_b64 exec, exec, s[28:29]
	s_cbranch_execz .LBB127_18
; %bb.17:                               ;   in Loop: Header=BB127_2 Depth=1
	s_waitcnt lgkmcnt(0)
	v_lshlrev_b32_e32 v20, 3, v80
	ds_read_b64 v[24:25], v20 offset:8
	v_mov_b64_e32 v[20:21], v[18:19]
.LBB127_18:                             ;   in Loop: Header=BB127_2 Depth=1
	s_or_b64 exec, exec, s[28:29]
	v_cndmask_b32_e64 v19, v19, v23, s[26:27]
	v_add_u32_e32 v23, 1, v81
	v_cndmask_b32_e64 v18, v18, v22, s[26:27]
	v_add_u32_e32 v22, 1, v80
	v_cndmask_b32_e64 v23, v23, v81, s[26:27]
	v_cndmask_b32_e64 v11, v11, v13, s[22:23]
	;; [unrolled: 1-line block ×18, first 2 shown]
	v_cmp_ge_i32_e64 s[12:13], v23, v29
	s_waitcnt lgkmcnt(0)
	v_cmp_lt_i64_e64 s[14:15], v[24:25], v[20:21]
	v_cmp_lt_i32_e64 s[10:11], v22, v30
	s_or_b64 s[12:13], s[12:13], s[14:15]
	v_cndmask_b32_e64 v3, v13, v5, s[16:17]
	v_cndmask_b32_e64 v2, v12, v4, s[16:17]
	;; [unrolled: 1-line block ×8, first 2 shown]
	s_and_b64 s[10:11], s[10:11], s[12:13]
	v_cndmask_b32_e64 v80, v81, v80, s[26:27]
	v_cndmask_b32_e64 v14, v14, v16, s[24:25]
	;; [unrolled: 1-line block ×9, first 2 shown]
	s_waitcnt lgkmcnt(0)
	; wave barrier
	ds_write2_b64 v26, v[2:3], v[8:9] offset1:1
	ds_write2_b64 v26, v[6:7], v[4:5] offset0:2 offset1:3
	v_lshlrev_b32_e32 v2, 3, v17
	v_lshlrev_b32_e32 v3, 3, v16
	;; [unrolled: 1-line block ×4, first 2 shown]
	s_waitcnt lgkmcnt(0)
	; wave barrier
	s_waitcnt lgkmcnt(0)
	ds_read_b64 v[6:7], v2
	ds_read_b64 v[8:9], v3
	;; [unrolled: 1-line block ×4, first 2 shown]
	v_cndmask_b32_e64 v13, v21, v25, s[10:11]
	s_waitcnt lgkmcnt(0)
	; wave barrier
	s_waitcnt lgkmcnt(0)
	ds_write2_b64 v26, v[10:11], v[14:15] offset1:1
	ds_write2_b64 v26, v[18:19], v[12:13] offset0:2 offset1:3
	v_mov_b32_e32 v14, v42
	s_waitcnt lgkmcnt(0)
	; wave barrier
	s_waitcnt lgkmcnt(0)
	s_and_saveexec_b64 s[12:13], s[0:1]
	s_cbranch_execz .LBB127_22
; %bb.19:                               ;   in Loop: Header=BB127_2 Depth=1
	s_mov_b64 s[14:15], 0
	v_mov_b32_e32 v14, v42
	v_mov_b32_e32 v10, v43
.LBB127_20:                             ;   Parent Loop BB127_2 Depth=1
                                        ; =>  This Inner Loop Header: Depth=2
	v_sub_u32_e32 v11, v10, v14
	v_lshrrev_b32_e32 v12, 31, v11
	v_add_u32_e32 v11, v11, v12
	v_ashrrev_i32_e32 v11, 1, v11
	v_add_u32_e32 v11, v11, v14
	v_lshl_add_u32 v12, v11, 3, v40
	v_xad_u32 v13, v11, -1, v37
	v_lshl_add_u32 v15, v13, 3, v41
	ds_read_b64 v[12:13], v12
	ds_read_b64 v[16:17], v15
	v_add_u32_e32 v15, 1, v11
	s_waitcnt lgkmcnt(0)
	v_cmp_lt_i64_e64 s[10:11], v[16:17], v[12:13]
	s_nop 1
	v_cndmask_b32_e64 v10, v10, v11, s[10:11]
	v_cndmask_b32_e64 v14, v15, v14, s[10:11]
	v_cmp_ge_i32_e64 s[10:11], v14, v10
	s_or_b64 s[14:15], s[10:11], s[14:15]
	s_andn2_b64 exec, exec, s[14:15]
	s_cbranch_execnz .LBB127_20
; %bb.21:                               ;   in Loop: Header=BB127_2 Depth=1
	s_or_b64 exec, exec, s[14:15]
.LBB127_22:                             ;   in Loop: Header=BB127_2 Depth=1
	s_or_b64 exec, exec, s[12:13]
	v_sub_u32_e32 v76, v44, v14
	v_lshl_add_u32 v16, v14, 3, v40
	v_lshlrev_b32_e32 v18, 3, v76
	ds_read_b64 v[10:11], v16
	ds_read_b64 v[12:13], v18
	v_add_u32_e32 v77, v14, v36
	v_cmp_le_i32_e64 s[12:13], v38, v77
	v_cmp_gt_i32_e64 s[10:11], v39, v76
                                        ; implicit-def: $vgpr14_vgpr15
	s_waitcnt lgkmcnt(0)
	v_cmp_lt_i64_e64 s[14:15], v[12:13], v[10:11]
	s_or_b64 s[12:13], s[12:13], s[14:15]
	s_and_b64 s[10:11], s[10:11], s[12:13]
	s_xor_b64 s[12:13], s[10:11], -1
	s_and_saveexec_b64 s[14:15], s[12:13]
	s_xor_b64 s[12:13], exec, s[14:15]
	s_cbranch_execz .LBB127_24
; %bb.23:                               ;   in Loop: Header=BB127_2 Depth=1
	ds_read_b64 v[14:15], v16 offset:8
                                        ; implicit-def: $vgpr18
.LBB127_24:                             ;   in Loop: Header=BB127_2 Depth=1
	s_or_saveexec_b64 s[12:13], s[12:13]
	v_mov_b64_e32 v[16:17], v[12:13]
	s_xor_b64 exec, exec, s[12:13]
	s_cbranch_execz .LBB127_26
; %bb.25:                               ;   in Loop: Header=BB127_2 Depth=1
	ds_read_b64 v[16:17], v18 offset:8
	s_waitcnt lgkmcnt(1)
	v_mov_b64_e32 v[14:15], v[10:11]
.LBB127_26:                             ;   in Loop: Header=BB127_2 Depth=1
	s_or_b64 exec, exec, s[12:13]
	v_add_u32_e32 v19, 1, v77
	v_add_u32_e32 v18, 1, v76
	v_cndmask_b32_e64 v79, v19, v77, s[10:11]
	v_cndmask_b32_e64 v78, v76, v18, s[10:11]
	v_cmp_ge_i32_e64 s[14:15], v79, v38
	s_waitcnt lgkmcnt(0)
	v_cmp_lt_i64_e64 s[16:17], v[16:17], v[14:15]
	v_cmp_lt_i32_e64 s[12:13], v78, v39
	s_or_b64 s[14:15], s[14:15], s[16:17]
	s_and_b64 s[12:13], s[12:13], s[14:15]
	s_xor_b64 s[14:15], s[12:13], -1
                                        ; implicit-def: $vgpr18_vgpr19
	s_and_saveexec_b64 s[16:17], s[14:15]
	s_xor_b64 s[14:15], exec, s[16:17]
	s_cbranch_execz .LBB127_28
; %bb.27:                               ;   in Loop: Header=BB127_2 Depth=1
	v_lshlrev_b32_e32 v18, 3, v79
	ds_read_b64 v[18:19], v18 offset:8
.LBB127_28:                             ;   in Loop: Header=BB127_2 Depth=1
	s_or_saveexec_b64 s[14:15], s[14:15]
	v_mov_b64_e32 v[20:21], v[16:17]
	s_xor_b64 exec, exec, s[14:15]
	s_cbranch_execz .LBB127_30
; %bb.29:                               ;   in Loop: Header=BB127_2 Depth=1
	s_waitcnt lgkmcnt(0)
	v_lshlrev_b32_e32 v18, 3, v78
	ds_read_b64 v[20:21], v18 offset:8
	v_mov_b64_e32 v[18:19], v[14:15]
.LBB127_30:                             ;   in Loop: Header=BB127_2 Depth=1
	s_or_b64 exec, exec, s[14:15]
	v_add_u32_e32 v23, 1, v79
	v_add_u32_e32 v22, 1, v78
	v_cndmask_b32_e64 v81, v23, v79, s[12:13]
	v_cndmask_b32_e64 v80, v78, v22, s[12:13]
	v_cmp_ge_i32_e64 s[16:17], v81, v38
	s_waitcnt lgkmcnt(0)
	v_cmp_lt_i64_e64 s[18:19], v[20:21], v[18:19]
	v_cmp_lt_i32_e64 s[14:15], v80, v39
	s_or_b64 s[16:17], s[16:17], s[18:19]
	s_and_b64 s[14:15], s[14:15], s[16:17]
	s_xor_b64 s[16:17], s[14:15], -1
                                        ; implicit-def: $vgpr22_vgpr23
	s_and_saveexec_b64 s[18:19], s[16:17]
	s_xor_b64 s[16:17], exec, s[18:19]
	s_cbranch_execz .LBB127_32
; %bb.31:                               ;   in Loop: Header=BB127_2 Depth=1
	v_lshlrev_b32_e32 v22, 3, v81
	ds_read_b64 v[22:23], v22 offset:8
.LBB127_32:                             ;   in Loop: Header=BB127_2 Depth=1
	s_or_saveexec_b64 s[16:17], s[16:17]
	v_mov_b64_e32 v[24:25], v[20:21]
	s_xor_b64 exec, exec, s[16:17]
	s_cbranch_execz .LBB127_34
; %bb.33:                               ;   in Loop: Header=BB127_2 Depth=1
	s_waitcnt lgkmcnt(0)
	v_lshlrev_b32_e32 v22, 3, v80
	ds_read_b64 v[24:25], v22 offset:8
	v_mov_b64_e32 v[22:23], v[18:19]
.LBB127_34:                             ;   in Loop: Header=BB127_2 Depth=1
	s_or_b64 exec, exec, s[16:17]
	v_cndmask_b32_e64 v19, v19, v21, s[14:15]
	v_add_u32_e32 v21, 1, v81
	v_cndmask_b32_e64 v18, v18, v20, s[14:15]
	v_add_u32_e32 v20, 1, v80
	v_cndmask_b32_e64 v21, v21, v81, s[14:15]
	v_cndmask_b32_e64 v20, v80, v20, s[14:15]
	v_cndmask_b32_e64 v80, v81, v80, s[14:15]
	v_cndmask_b32_e64 v15, v15, v17, s[12:13]
	v_cndmask_b32_e64 v14, v14, v16, s[12:13]
	v_cndmask_b32_e64 v16, v79, v78, s[12:13]
	v_cmp_ge_i32_e64 s[12:13], v21, v38
	s_waitcnt lgkmcnt(0)
	v_cmp_lt_i64_e64 s[14:15], v[24:25], v[22:23]
	v_cndmask_b32_e64 v11, v11, v13, s[10:11]
	v_cndmask_b32_e64 v10, v10, v12, s[10:11]
	v_cndmask_b32_e64 v17, v77, v76, s[10:11]
	v_cmp_lt_i32_e64 s[10:11], v20, v39
	s_or_b64 s[12:13], s[12:13], s[14:15]
	s_and_b64 s[10:11], s[10:11], s[12:13]
	v_cndmask_b32_e64 v20, v21, v20, s[10:11]
	s_waitcnt lgkmcnt(0)
	; wave barrier
	ds_write2_b64 v26, v[6:7], v[8:9] offset1:1
	ds_write2_b64 v26, v[2:3], v[4:5] offset0:2 offset1:3
	v_lshlrev_b32_e32 v2, 3, v17
	v_lshlrev_b32_e32 v3, 3, v16
	;; [unrolled: 1-line block ×4, first 2 shown]
	s_waitcnt lgkmcnt(0)
	; wave barrier
	s_waitcnt lgkmcnt(0)
	ds_read_b64 v[6:7], v2
	ds_read_b64 v[8:9], v3
	;; [unrolled: 1-line block ×4, first 2 shown]
	v_cndmask_b32_e64 v13, v23, v25, s[10:11]
	v_cndmask_b32_e64 v12, v22, v24, s[10:11]
	s_waitcnt lgkmcnt(0)
	; wave barrier
	s_waitcnt lgkmcnt(0)
	ds_write2_b64 v26, v[10:11], v[14:15] offset1:1
	ds_write2_b64 v26, v[18:19], v[12:13] offset0:2 offset1:3
	v_mov_b32_e32 v14, v51
	s_waitcnt lgkmcnt(0)
	; wave barrier
	s_waitcnt lgkmcnt(0)
	s_and_saveexec_b64 s[12:13], s[2:3]
	s_cbranch_execz .LBB127_38
; %bb.35:                               ;   in Loop: Header=BB127_2 Depth=1
	s_mov_b64 s[14:15], 0
	v_mov_b32_e32 v14, v51
	v_mov_b32_e32 v10, v52
.LBB127_36:                             ;   Parent Loop BB127_2 Depth=1
                                        ; =>  This Inner Loop Header: Depth=2
	v_sub_u32_e32 v11, v10, v14
	v_lshrrev_b32_e32 v12, 31, v11
	v_add_u32_e32 v11, v11, v12
	v_ashrrev_i32_e32 v11, 1, v11
	v_add_u32_e32 v11, v11, v14
	v_lshl_add_u32 v12, v11, 3, v49
	v_xad_u32 v13, v11, -1, v46
	v_lshl_add_u32 v15, v13, 3, v50
	ds_read_b64 v[12:13], v12
	ds_read_b64 v[16:17], v15
	v_add_u32_e32 v15, 1, v11
	s_waitcnt lgkmcnt(0)
	v_cmp_lt_i64_e64 s[10:11], v[16:17], v[12:13]
	s_nop 1
	v_cndmask_b32_e64 v10, v10, v11, s[10:11]
	v_cndmask_b32_e64 v14, v15, v14, s[10:11]
	v_cmp_ge_i32_e64 s[10:11], v14, v10
	s_or_b64 s[14:15], s[10:11], s[14:15]
	s_andn2_b64 exec, exec, s[14:15]
	s_cbranch_execnz .LBB127_36
; %bb.37:                               ;   in Loop: Header=BB127_2 Depth=1
	s_or_b64 exec, exec, s[14:15]
.LBB127_38:                             ;   in Loop: Header=BB127_2 Depth=1
	s_or_b64 exec, exec, s[12:13]
	v_sub_u32_e32 v76, v53, v14
	v_lshl_add_u32 v16, v14, 3, v49
	v_lshlrev_b32_e32 v18, 3, v76
	ds_read_b64 v[10:11], v16
	ds_read_b64 v[12:13], v18
	v_add_u32_e32 v77, v14, v45
	v_cmp_le_i32_e64 s[12:13], v47, v77
	v_cmp_gt_i32_e64 s[10:11], v48, v76
                                        ; implicit-def: $vgpr14_vgpr15
	s_waitcnt lgkmcnt(0)
	v_cmp_lt_i64_e64 s[14:15], v[12:13], v[10:11]
	s_or_b64 s[12:13], s[12:13], s[14:15]
	s_and_b64 s[10:11], s[10:11], s[12:13]
	s_xor_b64 s[12:13], s[10:11], -1
	s_and_saveexec_b64 s[14:15], s[12:13]
	s_xor_b64 s[12:13], exec, s[14:15]
	s_cbranch_execz .LBB127_40
; %bb.39:                               ;   in Loop: Header=BB127_2 Depth=1
	ds_read_b64 v[14:15], v16 offset:8
                                        ; implicit-def: $vgpr18
.LBB127_40:                             ;   in Loop: Header=BB127_2 Depth=1
	s_or_saveexec_b64 s[12:13], s[12:13]
	v_mov_b64_e32 v[16:17], v[12:13]
	s_xor_b64 exec, exec, s[12:13]
	s_cbranch_execz .LBB127_42
; %bb.41:                               ;   in Loop: Header=BB127_2 Depth=1
	ds_read_b64 v[16:17], v18 offset:8
	s_waitcnt lgkmcnt(1)
	v_mov_b64_e32 v[14:15], v[10:11]
.LBB127_42:                             ;   in Loop: Header=BB127_2 Depth=1
	s_or_b64 exec, exec, s[12:13]
	v_add_u32_e32 v19, 1, v77
	v_add_u32_e32 v18, 1, v76
	v_cndmask_b32_e64 v79, v19, v77, s[10:11]
	v_cndmask_b32_e64 v78, v76, v18, s[10:11]
	v_cmp_ge_i32_e64 s[14:15], v79, v47
	s_waitcnt lgkmcnt(0)
	v_cmp_lt_i64_e64 s[16:17], v[16:17], v[14:15]
	v_cmp_lt_i32_e64 s[12:13], v78, v48
	s_or_b64 s[14:15], s[14:15], s[16:17]
	s_and_b64 s[12:13], s[12:13], s[14:15]
	s_xor_b64 s[14:15], s[12:13], -1
                                        ; implicit-def: $vgpr18_vgpr19
	s_and_saveexec_b64 s[16:17], s[14:15]
	s_xor_b64 s[14:15], exec, s[16:17]
	s_cbranch_execz .LBB127_44
; %bb.43:                               ;   in Loop: Header=BB127_2 Depth=1
	v_lshlrev_b32_e32 v18, 3, v79
	ds_read_b64 v[18:19], v18 offset:8
.LBB127_44:                             ;   in Loop: Header=BB127_2 Depth=1
	s_or_saveexec_b64 s[14:15], s[14:15]
	v_mov_b64_e32 v[20:21], v[16:17]
	s_xor_b64 exec, exec, s[14:15]
	s_cbranch_execz .LBB127_46
; %bb.45:                               ;   in Loop: Header=BB127_2 Depth=1
	s_waitcnt lgkmcnt(0)
	v_lshlrev_b32_e32 v18, 3, v78
	ds_read_b64 v[20:21], v18 offset:8
	v_mov_b64_e32 v[18:19], v[14:15]
.LBB127_46:                             ;   in Loop: Header=BB127_2 Depth=1
	s_or_b64 exec, exec, s[14:15]
	v_add_u32_e32 v23, 1, v79
	v_add_u32_e32 v22, 1, v78
	v_cndmask_b32_e64 v81, v23, v79, s[12:13]
	v_cndmask_b32_e64 v80, v78, v22, s[12:13]
	v_cmp_ge_i32_e64 s[16:17], v81, v47
	s_waitcnt lgkmcnt(0)
	v_cmp_lt_i64_e64 s[18:19], v[20:21], v[18:19]
	v_cmp_lt_i32_e64 s[14:15], v80, v48
	s_or_b64 s[16:17], s[16:17], s[18:19]
	s_and_b64 s[14:15], s[14:15], s[16:17]
	s_xor_b64 s[16:17], s[14:15], -1
                                        ; implicit-def: $vgpr22_vgpr23
	s_and_saveexec_b64 s[18:19], s[16:17]
	s_xor_b64 s[16:17], exec, s[18:19]
	s_cbranch_execz .LBB127_48
; %bb.47:                               ;   in Loop: Header=BB127_2 Depth=1
	v_lshlrev_b32_e32 v22, 3, v81
	ds_read_b64 v[22:23], v22 offset:8
.LBB127_48:                             ;   in Loop: Header=BB127_2 Depth=1
	s_or_saveexec_b64 s[16:17], s[16:17]
	v_mov_b64_e32 v[24:25], v[20:21]
	s_xor_b64 exec, exec, s[16:17]
	s_cbranch_execz .LBB127_50
; %bb.49:                               ;   in Loop: Header=BB127_2 Depth=1
	s_waitcnt lgkmcnt(0)
	v_lshlrev_b32_e32 v22, 3, v80
	ds_read_b64 v[24:25], v22 offset:8
	v_mov_b64_e32 v[22:23], v[18:19]
.LBB127_50:                             ;   in Loop: Header=BB127_2 Depth=1
	s_or_b64 exec, exec, s[16:17]
	v_cndmask_b32_e64 v19, v19, v21, s[14:15]
	v_add_u32_e32 v21, 1, v81
	v_cndmask_b32_e64 v18, v18, v20, s[14:15]
	v_add_u32_e32 v20, 1, v80
	v_cndmask_b32_e64 v21, v21, v81, s[14:15]
	v_cndmask_b32_e64 v20, v80, v20, s[14:15]
	;; [unrolled: 1-line block ×6, first 2 shown]
	v_cmp_ge_i32_e64 s[12:13], v21, v47
	s_waitcnt lgkmcnt(0)
	v_cmp_lt_i64_e64 s[14:15], v[24:25], v[22:23]
	v_cndmask_b32_e64 v11, v11, v13, s[10:11]
	v_cndmask_b32_e64 v10, v10, v12, s[10:11]
	;; [unrolled: 1-line block ×3, first 2 shown]
	v_cmp_lt_i32_e64 s[10:11], v20, v48
	s_or_b64 s[12:13], s[12:13], s[14:15]
	s_and_b64 s[10:11], s[10:11], s[12:13]
	v_cndmask_b32_e64 v20, v21, v20, s[10:11]
	s_waitcnt lgkmcnt(0)
	; wave barrier
	ds_write2_b64 v26, v[6:7], v[8:9] offset1:1
	ds_write2_b64 v26, v[2:3], v[4:5] offset0:2 offset1:3
	v_lshlrev_b32_e32 v2, 3, v17
	v_lshlrev_b32_e32 v3, 3, v16
	;; [unrolled: 1-line block ×4, first 2 shown]
	s_waitcnt lgkmcnt(0)
	; wave barrier
	s_waitcnt lgkmcnt(0)
	ds_read_b64 v[6:7], v2
	ds_read_b64 v[8:9], v3
	;; [unrolled: 1-line block ×4, first 2 shown]
	v_cndmask_b32_e64 v13, v23, v25, s[10:11]
	v_cndmask_b32_e64 v12, v22, v24, s[10:11]
	s_waitcnt lgkmcnt(0)
	; wave barrier
	s_waitcnt lgkmcnt(0)
	ds_write2_b64 v26, v[10:11], v[14:15] offset1:1
	ds_write2_b64 v26, v[18:19], v[12:13] offset0:2 offset1:3
	v_mov_b32_e32 v14, v60
	s_waitcnt lgkmcnt(0)
	; wave barrier
	s_waitcnt lgkmcnt(0)
	s_and_saveexec_b64 s[12:13], s[4:5]
	s_cbranch_execz .LBB127_54
; %bb.51:                               ;   in Loop: Header=BB127_2 Depth=1
	s_mov_b64 s[14:15], 0
	v_mov_b32_e32 v14, v60
	v_mov_b32_e32 v10, v61
.LBB127_52:                             ;   Parent Loop BB127_2 Depth=1
                                        ; =>  This Inner Loop Header: Depth=2
	v_sub_u32_e32 v11, v10, v14
	v_lshrrev_b32_e32 v12, 31, v11
	v_add_u32_e32 v11, v11, v12
	v_ashrrev_i32_e32 v11, 1, v11
	v_add_u32_e32 v11, v11, v14
	v_lshl_add_u32 v12, v11, 3, v58
	v_xad_u32 v13, v11, -1, v55
	v_lshl_add_u32 v15, v13, 3, v59
	ds_read_b64 v[12:13], v12
	ds_read_b64 v[16:17], v15
	v_add_u32_e32 v15, 1, v11
	s_waitcnt lgkmcnt(0)
	v_cmp_lt_i64_e64 s[10:11], v[16:17], v[12:13]
	s_nop 1
	v_cndmask_b32_e64 v10, v10, v11, s[10:11]
	v_cndmask_b32_e64 v14, v15, v14, s[10:11]
	v_cmp_ge_i32_e64 s[10:11], v14, v10
	s_or_b64 s[14:15], s[10:11], s[14:15]
	s_andn2_b64 exec, exec, s[14:15]
	s_cbranch_execnz .LBB127_52
; %bb.53:                               ;   in Loop: Header=BB127_2 Depth=1
	s_or_b64 exec, exec, s[14:15]
.LBB127_54:                             ;   in Loop: Header=BB127_2 Depth=1
	s_or_b64 exec, exec, s[12:13]
	v_sub_u32_e32 v76, v62, v14
	v_lshl_add_u32 v16, v14, 3, v58
	v_lshlrev_b32_e32 v18, 3, v76
	ds_read_b64 v[10:11], v16
	ds_read_b64 v[12:13], v18
	v_add_u32_e32 v77, v14, v54
	v_cmp_le_i32_e64 s[12:13], v56, v77
	v_cmp_gt_i32_e64 s[10:11], v57, v76
                                        ; implicit-def: $vgpr14_vgpr15
	s_waitcnt lgkmcnt(0)
	v_cmp_lt_i64_e64 s[14:15], v[12:13], v[10:11]
	s_or_b64 s[12:13], s[12:13], s[14:15]
	s_and_b64 s[10:11], s[10:11], s[12:13]
	s_xor_b64 s[12:13], s[10:11], -1
	s_and_saveexec_b64 s[14:15], s[12:13]
	s_xor_b64 s[12:13], exec, s[14:15]
	s_cbranch_execz .LBB127_56
; %bb.55:                               ;   in Loop: Header=BB127_2 Depth=1
	ds_read_b64 v[14:15], v16 offset:8
                                        ; implicit-def: $vgpr18
.LBB127_56:                             ;   in Loop: Header=BB127_2 Depth=1
	s_or_saveexec_b64 s[12:13], s[12:13]
	v_mov_b64_e32 v[16:17], v[12:13]
	s_xor_b64 exec, exec, s[12:13]
	s_cbranch_execz .LBB127_58
; %bb.57:                               ;   in Loop: Header=BB127_2 Depth=1
	ds_read_b64 v[16:17], v18 offset:8
	s_waitcnt lgkmcnt(1)
	v_mov_b64_e32 v[14:15], v[10:11]
.LBB127_58:                             ;   in Loop: Header=BB127_2 Depth=1
	s_or_b64 exec, exec, s[12:13]
	v_add_u32_e32 v19, 1, v77
	v_add_u32_e32 v18, 1, v76
	v_cndmask_b32_e64 v79, v19, v77, s[10:11]
	v_cndmask_b32_e64 v78, v76, v18, s[10:11]
	v_cmp_ge_i32_e64 s[14:15], v79, v56
	s_waitcnt lgkmcnt(0)
	v_cmp_lt_i64_e64 s[16:17], v[16:17], v[14:15]
	v_cmp_lt_i32_e64 s[12:13], v78, v57
	s_or_b64 s[14:15], s[14:15], s[16:17]
	s_and_b64 s[12:13], s[12:13], s[14:15]
	s_xor_b64 s[14:15], s[12:13], -1
                                        ; implicit-def: $vgpr18_vgpr19
	s_and_saveexec_b64 s[16:17], s[14:15]
	s_xor_b64 s[14:15], exec, s[16:17]
	s_cbranch_execz .LBB127_60
; %bb.59:                               ;   in Loop: Header=BB127_2 Depth=1
	v_lshlrev_b32_e32 v18, 3, v79
	ds_read_b64 v[18:19], v18 offset:8
.LBB127_60:                             ;   in Loop: Header=BB127_2 Depth=1
	s_or_saveexec_b64 s[14:15], s[14:15]
	v_mov_b64_e32 v[20:21], v[16:17]
	s_xor_b64 exec, exec, s[14:15]
	s_cbranch_execz .LBB127_62
; %bb.61:                               ;   in Loop: Header=BB127_2 Depth=1
	s_waitcnt lgkmcnt(0)
	v_lshlrev_b32_e32 v18, 3, v78
	ds_read_b64 v[20:21], v18 offset:8
	v_mov_b64_e32 v[18:19], v[14:15]
.LBB127_62:                             ;   in Loop: Header=BB127_2 Depth=1
	s_or_b64 exec, exec, s[14:15]
	v_add_u32_e32 v23, 1, v79
	v_add_u32_e32 v22, 1, v78
	v_cndmask_b32_e64 v81, v23, v79, s[12:13]
	v_cndmask_b32_e64 v80, v78, v22, s[12:13]
	v_cmp_ge_i32_e64 s[16:17], v81, v56
	s_waitcnt lgkmcnt(0)
	v_cmp_lt_i64_e64 s[18:19], v[20:21], v[18:19]
	v_cmp_lt_i32_e64 s[14:15], v80, v57
	s_or_b64 s[16:17], s[16:17], s[18:19]
	s_and_b64 s[14:15], s[14:15], s[16:17]
	s_xor_b64 s[16:17], s[14:15], -1
                                        ; implicit-def: $vgpr22_vgpr23
	s_and_saveexec_b64 s[18:19], s[16:17]
	s_xor_b64 s[16:17], exec, s[18:19]
	s_cbranch_execz .LBB127_64
; %bb.63:                               ;   in Loop: Header=BB127_2 Depth=1
	v_lshlrev_b32_e32 v22, 3, v81
	ds_read_b64 v[22:23], v22 offset:8
.LBB127_64:                             ;   in Loop: Header=BB127_2 Depth=1
	s_or_saveexec_b64 s[16:17], s[16:17]
	v_mov_b64_e32 v[24:25], v[20:21]
	s_xor_b64 exec, exec, s[16:17]
	s_cbranch_execz .LBB127_66
; %bb.65:                               ;   in Loop: Header=BB127_2 Depth=1
	s_waitcnt lgkmcnt(0)
	v_lshlrev_b32_e32 v22, 3, v80
	ds_read_b64 v[24:25], v22 offset:8
	v_mov_b64_e32 v[22:23], v[18:19]
.LBB127_66:                             ;   in Loop: Header=BB127_2 Depth=1
	s_or_b64 exec, exec, s[16:17]
	v_cndmask_b32_e64 v19, v19, v21, s[14:15]
	v_add_u32_e32 v21, 1, v81
	v_cndmask_b32_e64 v18, v18, v20, s[14:15]
	v_add_u32_e32 v20, 1, v80
	v_cndmask_b32_e64 v21, v21, v81, s[14:15]
	v_cndmask_b32_e64 v20, v80, v20, s[14:15]
	;; [unrolled: 1-line block ×6, first 2 shown]
	v_cmp_ge_i32_e64 s[12:13], v21, v56
	s_waitcnt lgkmcnt(0)
	v_cmp_lt_i64_e64 s[14:15], v[24:25], v[22:23]
	v_cndmask_b32_e64 v11, v11, v13, s[10:11]
	v_cndmask_b32_e64 v10, v10, v12, s[10:11]
	;; [unrolled: 1-line block ×3, first 2 shown]
	v_cmp_lt_i32_e64 s[10:11], v20, v57
	s_or_b64 s[12:13], s[12:13], s[14:15]
	s_and_b64 s[10:11], s[10:11], s[12:13]
	v_cndmask_b32_e64 v20, v21, v20, s[10:11]
	s_waitcnt lgkmcnt(0)
	; wave barrier
	ds_write2_b64 v26, v[6:7], v[8:9] offset1:1
	ds_write2_b64 v26, v[2:3], v[4:5] offset0:2 offset1:3
	v_lshlrev_b32_e32 v2, 3, v17
	v_lshlrev_b32_e32 v3, 3, v16
	;; [unrolled: 1-line block ×4, first 2 shown]
	s_waitcnt lgkmcnt(0)
	; wave barrier
	s_waitcnt lgkmcnt(0)
	ds_read_b64 v[6:7], v2
	ds_read_b64 v[8:9], v3
	;; [unrolled: 1-line block ×4, first 2 shown]
	v_cndmask_b32_e64 v13, v23, v25, s[10:11]
	v_cndmask_b32_e64 v12, v22, v24, s[10:11]
	s_waitcnt lgkmcnt(0)
	; wave barrier
	s_waitcnt lgkmcnt(0)
	ds_write2_b64 v26, v[10:11], v[14:15] offset1:1
	ds_write2_b64 v26, v[18:19], v[12:13] offset0:2 offset1:3
	v_mov_b32_e32 v14, v70
	s_waitcnt lgkmcnt(0)
	; wave barrier
	s_waitcnt lgkmcnt(0)
	s_and_saveexec_b64 s[12:13], s[6:7]
	s_cbranch_execz .LBB127_70
; %bb.67:                               ;   in Loop: Header=BB127_2 Depth=1
	s_mov_b64 s[14:15], 0
	v_mov_b32_e32 v14, v70
	v_mov_b32_e32 v10, v71
.LBB127_68:                             ;   Parent Loop BB127_2 Depth=1
                                        ; =>  This Inner Loop Header: Depth=2
	v_sub_u32_e32 v11, v10, v14
	v_lshrrev_b32_e32 v12, 31, v11
	v_add_u32_e32 v11, v11, v12
	v_ashrrev_i32_e32 v11, 1, v11
	v_add_u32_e32 v11, v11, v14
	v_lshl_add_u32 v12, v11, 3, v68
	v_xad_u32 v13, v11, -1, v65
	v_lshl_add_u32 v15, v13, 3, v69
	ds_read_b64 v[12:13], v12
	ds_read_b64 v[16:17], v15
	v_add_u32_e32 v15, 1, v11
	s_waitcnt lgkmcnt(0)
	v_cmp_lt_i64_e64 s[10:11], v[16:17], v[12:13]
	s_nop 1
	v_cndmask_b32_e64 v10, v10, v11, s[10:11]
	v_cndmask_b32_e64 v14, v15, v14, s[10:11]
	v_cmp_ge_i32_e64 s[10:11], v14, v10
	s_or_b64 s[14:15], s[10:11], s[14:15]
	s_andn2_b64 exec, exec, s[14:15]
	s_cbranch_execnz .LBB127_68
; %bb.69:                               ;   in Loop: Header=BB127_2 Depth=1
	s_or_b64 exec, exec, s[14:15]
.LBB127_70:                             ;   in Loop: Header=BB127_2 Depth=1
	s_or_b64 exec, exec, s[12:13]
	v_sub_u32_e32 v76, v72, v14
	v_lshl_add_u32 v16, v14, 3, v68
	v_lshlrev_b32_e32 v18, 3, v76
	ds_read_b64 v[10:11], v16
	ds_read_b64 v[12:13], v18
	v_add_u32_e32 v77, v14, v64
	v_cmp_le_i32_e64 s[12:13], v66, v77
	v_cmp_gt_i32_e64 s[10:11], v67, v76
                                        ; implicit-def: $vgpr14_vgpr15
	s_waitcnt lgkmcnt(0)
	v_cmp_lt_i64_e64 s[14:15], v[12:13], v[10:11]
	s_or_b64 s[12:13], s[12:13], s[14:15]
	s_and_b64 s[10:11], s[10:11], s[12:13]
	s_xor_b64 s[12:13], s[10:11], -1
	s_and_saveexec_b64 s[14:15], s[12:13]
	s_xor_b64 s[12:13], exec, s[14:15]
	s_cbranch_execz .LBB127_72
; %bb.71:                               ;   in Loop: Header=BB127_2 Depth=1
	ds_read_b64 v[14:15], v16 offset:8
                                        ; implicit-def: $vgpr18
.LBB127_72:                             ;   in Loop: Header=BB127_2 Depth=1
	s_or_saveexec_b64 s[12:13], s[12:13]
	v_mov_b64_e32 v[16:17], v[12:13]
	s_xor_b64 exec, exec, s[12:13]
	s_cbranch_execz .LBB127_74
; %bb.73:                               ;   in Loop: Header=BB127_2 Depth=1
	ds_read_b64 v[16:17], v18 offset:8
	s_waitcnt lgkmcnt(1)
	v_mov_b64_e32 v[14:15], v[10:11]
.LBB127_74:                             ;   in Loop: Header=BB127_2 Depth=1
	s_or_b64 exec, exec, s[12:13]
	v_add_u32_e32 v19, 1, v77
	v_add_u32_e32 v18, 1, v76
	v_cndmask_b32_e64 v79, v19, v77, s[10:11]
	v_cndmask_b32_e64 v78, v76, v18, s[10:11]
	v_cmp_ge_i32_e64 s[14:15], v79, v66
	s_waitcnt lgkmcnt(0)
	v_cmp_lt_i64_e64 s[16:17], v[16:17], v[14:15]
	v_cmp_lt_i32_e64 s[12:13], v78, v67
	s_or_b64 s[14:15], s[14:15], s[16:17]
	s_and_b64 s[12:13], s[12:13], s[14:15]
	s_xor_b64 s[14:15], s[12:13], -1
                                        ; implicit-def: $vgpr18_vgpr19
	s_and_saveexec_b64 s[16:17], s[14:15]
	s_xor_b64 s[14:15], exec, s[16:17]
	s_cbranch_execz .LBB127_76
; %bb.75:                               ;   in Loop: Header=BB127_2 Depth=1
	v_lshlrev_b32_e32 v18, 3, v79
	ds_read_b64 v[18:19], v18 offset:8
.LBB127_76:                             ;   in Loop: Header=BB127_2 Depth=1
	s_or_saveexec_b64 s[14:15], s[14:15]
	v_mov_b64_e32 v[20:21], v[16:17]
	s_xor_b64 exec, exec, s[14:15]
	s_cbranch_execz .LBB127_78
; %bb.77:                               ;   in Loop: Header=BB127_2 Depth=1
	s_waitcnt lgkmcnt(0)
	v_lshlrev_b32_e32 v18, 3, v78
	ds_read_b64 v[20:21], v18 offset:8
	v_mov_b64_e32 v[18:19], v[14:15]
.LBB127_78:                             ;   in Loop: Header=BB127_2 Depth=1
	s_or_b64 exec, exec, s[14:15]
	v_add_u32_e32 v23, 1, v79
	v_add_u32_e32 v22, 1, v78
	v_cndmask_b32_e64 v81, v23, v79, s[12:13]
	v_cndmask_b32_e64 v80, v78, v22, s[12:13]
	v_cmp_ge_i32_e64 s[16:17], v81, v66
	s_waitcnt lgkmcnt(0)
	v_cmp_lt_i64_e64 s[18:19], v[20:21], v[18:19]
	v_cmp_lt_i32_e64 s[14:15], v80, v67
	s_or_b64 s[16:17], s[16:17], s[18:19]
	s_and_b64 s[14:15], s[14:15], s[16:17]
	s_xor_b64 s[16:17], s[14:15], -1
                                        ; implicit-def: $vgpr22_vgpr23
	s_and_saveexec_b64 s[18:19], s[16:17]
	s_xor_b64 s[16:17], exec, s[18:19]
	s_cbranch_execz .LBB127_80
; %bb.79:                               ;   in Loop: Header=BB127_2 Depth=1
	v_lshlrev_b32_e32 v22, 3, v81
	ds_read_b64 v[22:23], v22 offset:8
.LBB127_80:                             ;   in Loop: Header=BB127_2 Depth=1
	s_or_saveexec_b64 s[16:17], s[16:17]
	v_mov_b64_e32 v[24:25], v[20:21]
	s_xor_b64 exec, exec, s[16:17]
	s_cbranch_execz .LBB127_82
; %bb.81:                               ;   in Loop: Header=BB127_2 Depth=1
	s_waitcnt lgkmcnt(0)
	v_lshlrev_b32_e32 v22, 3, v80
	ds_read_b64 v[24:25], v22 offset:8
	v_mov_b64_e32 v[22:23], v[18:19]
.LBB127_82:                             ;   in Loop: Header=BB127_2 Depth=1
	s_or_b64 exec, exec, s[16:17]
	v_cndmask_b32_e64 v19, v19, v21, s[14:15]
	v_add_u32_e32 v21, 1, v81
	v_cndmask_b32_e64 v18, v18, v20, s[14:15]
	v_add_u32_e32 v20, 1, v80
	v_cndmask_b32_e64 v21, v21, v81, s[14:15]
	v_cndmask_b32_e64 v20, v80, v20, s[14:15]
	;; [unrolled: 1-line block ×6, first 2 shown]
	v_cmp_ge_i32_e64 s[12:13], v21, v66
	s_waitcnt lgkmcnt(0)
	v_cmp_lt_i64_e64 s[14:15], v[24:25], v[22:23]
	v_cndmask_b32_e64 v11, v11, v13, s[10:11]
	v_cndmask_b32_e64 v10, v10, v12, s[10:11]
	;; [unrolled: 1-line block ×3, first 2 shown]
	v_cmp_lt_i32_e64 s[10:11], v20, v67
	s_or_b64 s[12:13], s[12:13], s[14:15]
	s_and_b64 s[10:11], s[10:11], s[12:13]
	v_cndmask_b32_e64 v20, v21, v20, s[10:11]
	s_waitcnt lgkmcnt(0)
	; wave barrier
	ds_write2_b64 v26, v[6:7], v[8:9] offset1:1
	ds_write2_b64 v26, v[2:3], v[4:5] offset0:2 offset1:3
	v_lshlrev_b32_e32 v2, 3, v17
	v_lshlrev_b32_e32 v3, 3, v16
	;; [unrolled: 1-line block ×4, first 2 shown]
	s_waitcnt lgkmcnt(0)
	; wave barrier
	s_waitcnt lgkmcnt(0)
	ds_read_b64 v[6:7], v2
	ds_read_b64 v[8:9], v3
	;; [unrolled: 1-line block ×4, first 2 shown]
	v_mov_b32_e32 v76, v73
	v_cndmask_b32_e64 v13, v23, v25, s[10:11]
	v_cndmask_b32_e64 v12, v22, v24, s[10:11]
	s_waitcnt lgkmcnt(0)
	; wave barrier
	s_waitcnt lgkmcnt(0)
	ds_write2_b64 v26, v[10:11], v[14:15] offset1:1
	ds_write2_b64 v26, v[18:19], v[12:13] offset0:2 offset1:3
	s_waitcnt lgkmcnt(0)
	; wave barrier
	s_waitcnt lgkmcnt(0)
	s_and_saveexec_b64 s[12:13], s[8:9]
	s_cbranch_execz .LBB127_86
; %bb.83:                               ;   in Loop: Header=BB127_2 Depth=1
	s_mov_b64 s[14:15], 0
	v_mov_b32_e32 v76, v73
	v_mov_b32_e32 v10, v74
.LBB127_84:                             ;   Parent Loop BB127_2 Depth=1
                                        ; =>  This Inner Loop Header: Depth=2
	v_sub_u32_e32 v11, v10, v76
	v_lshrrev_b32_e32 v12, 31, v11
	v_add_u32_e32 v11, v11, v12
	v_ashrrev_i32_e32 v11, 1, v11
	v_add_u32_e32 v11, v11, v76
	v_xad_u32 v13, v11, -1, v1
	v_mov_b32_e32 v14, 0x400
	v_lshlrev_b32_e32 v12, 3, v11
	v_lshl_add_u32 v14, v13, 3, v14
	ds_read_b64 v[12:13], v12
	ds_read_b64 v[14:15], v14
	v_add_u32_e32 v16, 1, v11
	s_waitcnt lgkmcnt(0)
	v_cmp_lt_i64_e64 s[10:11], v[14:15], v[12:13]
	s_nop 1
	v_cndmask_b32_e64 v10, v10, v11, s[10:11]
	v_cndmask_b32_e64 v76, v16, v76, s[10:11]
	v_cmp_ge_i32_e64 s[10:11], v76, v10
	s_or_b64 s[14:15], s[10:11], s[14:15]
	s_andn2_b64 exec, exec, s[14:15]
	s_cbranch_execnz .LBB127_84
; %bb.85:                               ;   in Loop: Header=BB127_2 Depth=1
	s_or_b64 exec, exec, s[14:15]
.LBB127_86:                             ;   in Loop: Header=BB127_2 Depth=1
	s_or_b64 exec, exec, s[12:13]
	v_sub_u32_e32 v77, v75, v76
	v_lshlrev_b32_e32 v13, 3, v76
	v_lshlrev_b32_e32 v12, 3, v77
	ds_read_b64 v[10:11], v13
	ds_read_b64 v[14:15], v12
	v_cmp_le_i32_e64 s[12:13], v63, v76
	v_cmp_gt_i32_e64 s[10:11], s33, v77
                                        ; implicit-def: $vgpr16_vgpr17
	s_waitcnt lgkmcnt(0)
	v_cmp_lt_i64_e64 s[14:15], v[14:15], v[10:11]
	s_or_b64 s[12:13], s[12:13], s[14:15]
	s_and_b64 s[10:11], s[10:11], s[12:13]
	s_xor_b64 s[12:13], s[10:11], -1
	s_and_saveexec_b64 s[14:15], s[12:13]
	s_xor_b64 s[12:13], exec, s[14:15]
	s_cbranch_execz .LBB127_88
; %bb.87:                               ;   in Loop: Header=BB127_2 Depth=1
	ds_read_b64 v[16:17], v13 offset:8
                                        ; implicit-def: $vgpr12
.LBB127_88:                             ;   in Loop: Header=BB127_2 Depth=1
	s_or_saveexec_b64 s[12:13], s[12:13]
	v_mov_b64_e32 v[20:21], v[14:15]
	s_xor_b64 exec, exec, s[12:13]
	s_cbranch_execz .LBB127_90
; %bb.89:                               ;   in Loop: Header=BB127_2 Depth=1
	ds_read_b64 v[20:21], v12 offset:8
	s_waitcnt lgkmcnt(1)
	v_mov_b64_e32 v[16:17], v[10:11]
.LBB127_90:                             ;   in Loop: Header=BB127_2 Depth=1
	s_or_b64 exec, exec, s[12:13]
	v_add_u32_e32 v13, 1, v76
	v_add_u32_e32 v12, 1, v77
	v_cndmask_b32_e64 v79, v13, v76, s[10:11]
	v_cndmask_b32_e64 v78, v77, v12, s[10:11]
	v_cmp_ge_i32_e64 s[14:15], v79, v63
	s_waitcnt lgkmcnt(0)
	v_cmp_lt_i64_e64 s[16:17], v[20:21], v[16:17]
	v_cmp_gt_i32_e64 s[12:13], s33, v78
	s_or_b64 s[14:15], s[14:15], s[16:17]
	s_and_b64 s[14:15], s[12:13], s[14:15]
	s_xor_b64 s[12:13], s[14:15], -1
                                        ; implicit-def: $vgpr12_vgpr13
	s_and_saveexec_b64 s[16:17], s[12:13]
	s_xor_b64 s[12:13], exec, s[16:17]
	s_cbranch_execz .LBB127_92
; %bb.91:                               ;   in Loop: Header=BB127_2 Depth=1
	v_lshlrev_b32_e32 v12, 3, v79
	ds_read_b64 v[12:13], v12 offset:8
.LBB127_92:                             ;   in Loop: Header=BB127_2 Depth=1
	s_or_saveexec_b64 s[12:13], s[12:13]
	v_mov_b64_e32 v[18:19], v[20:21]
	s_xor_b64 exec, exec, s[12:13]
	s_cbranch_execz .LBB127_94
; %bb.93:                               ;   in Loop: Header=BB127_2 Depth=1
	s_waitcnt lgkmcnt(0)
	v_lshlrev_b32_e32 v12, 3, v78
	ds_read_b64 v[18:19], v12 offset:8
	v_mov_b64_e32 v[12:13], v[16:17]
.LBB127_94:                             ;   in Loop: Header=BB127_2 Depth=1
	s_or_b64 exec, exec, s[12:13]
	v_add_u32_e32 v23, 1, v79
	v_add_u32_e32 v22, 1, v78
	v_cndmask_b32_e64 v83, v23, v79, s[14:15]
	v_cndmask_b32_e64 v80, v78, v22, s[14:15]
	v_cmp_ge_i32_e64 s[16:17], v83, v63
	s_waitcnt lgkmcnt(0)
	v_cmp_lt_i64_e64 s[18:19], v[18:19], v[12:13]
	v_cmp_gt_i32_e64 s[12:13], s33, v80
	s_or_b64 s[16:17], s[16:17], s[18:19]
	s_and_b64 s[12:13], s[12:13], s[16:17]
	s_xor_b64 s[16:17], s[12:13], -1
                                        ; implicit-def: $vgpr22_vgpr23
                                        ; implicit-def: $vgpr82
	s_and_saveexec_b64 s[18:19], s[16:17]
	s_xor_b64 s[16:17], exec, s[18:19]
	s_cbranch_execz .LBB127_96
; %bb.95:                               ;   in Loop: Header=BB127_2 Depth=1
	v_lshlrev_b32_e32 v22, 3, v83
	ds_read_b64 v[22:23], v22 offset:8
	v_add_u32_e32 v82, 1, v83
.LBB127_96:                             ;   in Loop: Header=BB127_2 Depth=1
	s_or_saveexec_b64 s[16:17], s[16:17]
	v_mov_b32_e32 v81, v83
	v_mov_b64_e32 v[24:25], v[18:19]
	s_xor_b64 exec, exec, s[16:17]
	s_cbranch_execz .LBB127_1
; %bb.97:                               ;   in Loop: Header=BB127_2 Depth=1
	s_waitcnt lgkmcnt(0)
	v_lshlrev_b32_e32 v23, 3, v80
	ds_read_b64 v[24:25], v23 offset:8
	v_add_u32_e32 v22, 1, v80
	v_mov_b32_e32 v81, v80
	v_mov_b32_e32 v82, v83
	;; [unrolled: 1-line block ×3, first 2 shown]
	v_mov_b64_e32 v[22:23], v[12:13]
	s_branch .LBB127_1
.LBB127_98:
	s_add_u32 s0, s38, s34
	s_waitcnt lgkmcnt(3)
	v_lshl_add_u64 v[6:7], v[10:11], 0, v[6:7]
	s_addc_u32 s1, s39, s35
	v_lshlrev_b32_e32 v0, 3, v0
	s_waitcnt lgkmcnt(2)
	v_lshl_add_u64 v[8:9], v[14:15], 0, v[8:9]
	s_waitcnt lgkmcnt(1)
	v_lshl_add_u64 v[2:3], v[12:13], 0, v[2:3]
	;; [unrolled: 2-line block ×3, first 2 shown]
	global_store_dwordx2 v0, v[6:7], s[0:1]
	global_store_dwordx2 v0, v[8:9], s[0:1] offset:512
	global_store_dwordx2 v0, v[2:3], s[0:1] offset:1024
	;; [unrolled: 1-line block ×3, first 2 shown]
	s_endpgm
	.section	.rodata,"a",@progbits
	.p2align	6, 0x0
	.amdhsa_kernel _Z17sort_pairs_kernelIxLj64ELj4EN10test_utils4lessELj10EEvPKT_PS2_T2_
		.amdhsa_group_segment_fixed_size 2056
		.amdhsa_private_segment_fixed_size 0
		.amdhsa_kernarg_size 20
		.amdhsa_user_sgpr_count 2
		.amdhsa_user_sgpr_dispatch_ptr 0
		.amdhsa_user_sgpr_queue_ptr 0
		.amdhsa_user_sgpr_kernarg_segment_ptr 1
		.amdhsa_user_sgpr_dispatch_id 0
		.amdhsa_user_sgpr_kernarg_preload_length 0
		.amdhsa_user_sgpr_kernarg_preload_offset 0
		.amdhsa_user_sgpr_private_segment_size 0
		.amdhsa_uses_dynamic_stack 0
		.amdhsa_enable_private_segment 0
		.amdhsa_system_sgpr_workgroup_id_x 1
		.amdhsa_system_sgpr_workgroup_id_y 0
		.amdhsa_system_sgpr_workgroup_id_z 0
		.amdhsa_system_sgpr_workgroup_info 0
		.amdhsa_system_vgpr_workitem_id 0
		.amdhsa_next_free_vgpr 84
		.amdhsa_next_free_sgpr 42
		.amdhsa_accum_offset 84
		.amdhsa_reserve_vcc 1
		.amdhsa_float_round_mode_32 0
		.amdhsa_float_round_mode_16_64 0
		.amdhsa_float_denorm_mode_32 3
		.amdhsa_float_denorm_mode_16_64 3
		.amdhsa_dx10_clamp 1
		.amdhsa_ieee_mode 1
		.amdhsa_fp16_overflow 0
		.amdhsa_tg_split 0
		.amdhsa_exception_fp_ieee_invalid_op 0
		.amdhsa_exception_fp_denorm_src 0
		.amdhsa_exception_fp_ieee_div_zero 0
		.amdhsa_exception_fp_ieee_overflow 0
		.amdhsa_exception_fp_ieee_underflow 0
		.amdhsa_exception_fp_ieee_inexact 0
		.amdhsa_exception_int_div_zero 0
	.end_amdhsa_kernel
	.section	.text._Z17sort_pairs_kernelIxLj64ELj4EN10test_utils4lessELj10EEvPKT_PS2_T2_,"axG",@progbits,_Z17sort_pairs_kernelIxLj64ELj4EN10test_utils4lessELj10EEvPKT_PS2_T2_,comdat
.Lfunc_end127:
	.size	_Z17sort_pairs_kernelIxLj64ELj4EN10test_utils4lessELj10EEvPKT_PS2_T2_, .Lfunc_end127-_Z17sort_pairs_kernelIxLj64ELj4EN10test_utils4lessELj10EEvPKT_PS2_T2_
                                        ; -- End function
	.section	.AMDGPU.csdata,"",@progbits
; Kernel info:
; codeLenInByte = 5868
; NumSgprs: 48
; NumVgprs: 84
; NumAgprs: 0
; TotalNumVgprs: 84
; ScratchSize: 0
; MemoryBound: 0
; FloatMode: 240
; IeeeMode: 1
; LDSByteSize: 2056 bytes/workgroup (compile time only)
; SGPRBlocks: 5
; VGPRBlocks: 10
; NumSGPRsForWavesPerEU: 48
; NumVGPRsForWavesPerEU: 84
; AccumOffset: 84
; Occupancy: 5
; WaveLimiterHint : 1
; COMPUTE_PGM_RSRC2:SCRATCH_EN: 0
; COMPUTE_PGM_RSRC2:USER_SGPR: 2
; COMPUTE_PGM_RSRC2:TRAP_HANDLER: 0
; COMPUTE_PGM_RSRC2:TGID_X_EN: 1
; COMPUTE_PGM_RSRC2:TGID_Y_EN: 0
; COMPUTE_PGM_RSRC2:TGID_Z_EN: 0
; COMPUTE_PGM_RSRC2:TIDIG_COMP_CNT: 0
; COMPUTE_PGM_RSRC3_GFX90A:ACCUM_OFFSET: 20
; COMPUTE_PGM_RSRC3_GFX90A:TG_SPLIT: 0
	.section	.text._Z16sort_keys_kernelIxLj64ELj8EN10test_utils4lessELj10EEvPKT_PS2_T2_,"axG",@progbits,_Z16sort_keys_kernelIxLj64ELj8EN10test_utils4lessELj10EEvPKT_PS2_T2_,comdat
	.protected	_Z16sort_keys_kernelIxLj64ELj8EN10test_utils4lessELj10EEvPKT_PS2_T2_ ; -- Begin function _Z16sort_keys_kernelIxLj64ELj8EN10test_utils4lessELj10EEvPKT_PS2_T2_
	.globl	_Z16sort_keys_kernelIxLj64ELj8EN10test_utils4lessELj10EEvPKT_PS2_T2_
	.p2align	8
	.type	_Z16sort_keys_kernelIxLj64ELj8EN10test_utils4lessELj10EEvPKT_PS2_T2_,@function
_Z16sort_keys_kernelIxLj64ELj8EN10test_utils4lessELj10EEvPKT_PS2_T2_: ; @_Z16sort_keys_kernelIxLj64ELj8EN10test_utils4lessELj10EEvPKT_PS2_T2_
; %bb.0:
	s_load_dwordx4 s[28:31], s[0:1], 0x0
	s_lshl_b32 s34, s2, 9
	s_mov_b32 s35, 0
	s_lshl_b64 s[36:37], s[34:35], 3
	v_lshlrev_b32_e32 v1, 3, v0
	s_waitcnt lgkmcnt(0)
	s_add_u32 s0, s28, s36
	s_addc_u32 s1, s29, s37
	global_load_dwordx2 v[22:23], v1, s[0:1]
	global_load_dwordx2 v[24:25], v1, s[0:1] offset:512
	global_load_dwordx2 v[6:7], v1, s[0:1] offset:1024
	;; [unrolled: 1-line block ×7, first 2 shown]
	v_and_b32_e32 v39, 0x1f0, v1
	v_or_b32_e32 v41, 8, v39
	v_add_u32_e32 v42, 16, v39
	v_and_b32_e32 v48, 0x1e0, v1
	v_and_b32_e32 v40, 8, v1
	v_sub_u32_e32 v15, v42, v41
	v_or_b32_e32 v50, 16, v48
	v_add_u32_e32 v51, 32, v48
	v_and_b32_e32 v57, 0x1c0, v1
	v_sub_u32_e32 v14, v41, v39
	v_sub_u32_e32 v16, v40, v15
	v_cmp_ge_i32_e32 vcc, v40, v15
	v_and_b32_e32 v49, 24, v1
	v_sub_u32_e32 v15, v51, v50
	v_or_b32_e32 v59, 32, v57
	v_add_u32_e32 v60, 64, v57
	v_and_b32_e32 v66, 0x180, v1
	v_cndmask_b32_e32 v45, 0, v16, vcc
	v_min_i32_e32 v46, v40, v14
	v_sub_u32_e32 v14, v50, v48
	v_sub_u32_e32 v16, v49, v15
	v_cmp_ge_i32_e64 s[0:1], v49, v15
	v_and_b32_e32 v58, 56, v1
	v_sub_u32_e32 v15, v60, v59
	v_or_b32_e32 v68, 64, v66
	v_add_u32_e32 v69, 0x80, v66
	v_and_b32_e32 v76, 0x100, v1
	v_cndmask_b32_e64 v54, 0, v16, s[0:1]
	v_min_i32_e32 v55, v49, v14
	v_sub_u32_e32 v14, v59, v57
	v_sub_u32_e32 v16, v58, v15
	v_cmp_ge_i32_e64 s[2:3], v58, v15
	v_and_b32_e32 v67, 0x78, v1
	v_sub_u32_e32 v15, v69, v68
	v_or_b32_e32 v78, 0x80, v76
	v_add_u32_e32 v79, 0x100, v76
	v_cndmask_b32_e64 v63, 0, v16, s[2:3]
	v_min_i32_e32 v64, v58, v14
	v_sub_u32_e32 v14, v68, v66
	v_sub_u32_e32 v16, v67, v15
	v_cmp_ge_i32_e64 s[4:5], v67, v15
	v_and_b32_e32 v77, 0xf8, v1
	v_sub_u32_e32 v15, v79, v78
	v_cndmask_b32_e64 v72, 0, v16, s[4:5]
	v_min_i32_e32 v73, v67, v14
	v_mov_b32_e32 v75, 0x100
	v_sub_u32_e32 v14, v78, v76
	v_sub_u32_e32 v16, v77, v15
	v_cmp_ge_i32_e64 s[6:7], v77, v15
	v_min_i32_e32 v83, v77, v14
	v_sub_u32_e64 v86, v1, v75 clamp
	v_cndmask_b32_e64 v82, 0, v16, s[6:7]
	v_min_i32_e32 v87, 0x100, v1
	v_lshlrev_b32_e32 v38, 6, v0
	v_lshlrev_b32_e32 v43, 3, v39
	;; [unrolled: 1-line block ×3, first 2 shown]
	v_cmp_lt_i32_e32 vcc, v45, v46
	v_add_u32_e32 v47, v41, v40
	v_lshlrev_b32_e32 v52, 3, v48
	v_lshlrev_b32_e32 v53, 3, v50
	v_cmp_lt_i32_e64 s[0:1], v54, v55
	v_add_u32_e32 v56, v50, v49
	v_lshlrev_b32_e32 v61, 3, v57
	v_lshlrev_b32_e32 v62, 3, v59
	v_cmp_lt_i32_e64 s[2:3], v63, v64
	;; [unrolled: 4-line block ×4, first 2 shown]
	v_add_u32_e32 v84, v78, v77
	v_mov_b32_e32 v85, 0x800
	v_cmp_lt_i32_e64 s[8:9], v86, v87
	v_add_u32_e32 v88, 0x100, v1
	s_movk_i32 s28, 0x200
	s_branch .LBB128_2
.LBB128_1:                              ;   in Loop: Header=BB128_2 Depth=1
	s_or_b64 exec, exec, s[24:25]
	v_cndmask_b32_e64 v25, v7, v9, s[12:13]
	v_cndmask_b32_e64 v24, v6, v8, s[12:13]
	;; [unrolled: 1-line block ×4, first 2 shown]
	v_cmp_ge_i32_e64 s[12:13], v90, v75
	s_waitcnt lgkmcnt(0)
	v_cmp_lt_i64_e64 s[14:15], v[36:37], v[34:35]
	v_cndmask_b32_e64 v23, v3, v5, s[10:11]
	v_cndmask_b32_e64 v22, v2, v4, s[10:11]
	v_cmp_gt_i32_e64 s[10:11], s28, v89
	s_or_b64 s[12:13], s[12:13], s[14:15]
	s_and_b64 s[10:11], s[10:11], s[12:13]
	s_add_i32 s35, s35, 1
	v_cndmask_b32_e64 v11, v15, v17, s[16:17]
	v_cndmask_b32_e64 v10, v14, v16, s[16:17]
	;; [unrolled: 1-line block ×9, first 2 shown]
	s_cmp_eq_u32 s35, 10
	v_cndmask_b32_e64 v12, v34, v36, s[10:11]
	s_cbranch_scc1 .LBB128_194
.LBB128_2:                              ; =>This Loop Header: Depth=1
                                        ;     Child Loop BB128_4 Depth 2
                                        ;     Child Loop BB128_36 Depth 2
	;; [unrolled: 1-line block ×6, first 2 shown]
	s_waitcnt vmcnt(6)
	v_cmp_lt_i64_e64 s[10:11], v[24:25], v[22:23]
	s_waitcnt lgkmcnt(0)
	; wave barrier
	s_nop 0
	v_cndmask_b32_e64 v15, v23, v25, s[10:11]
	v_cndmask_b32_e64 v14, v22, v24, s[10:11]
	;; [unrolled: 1-line block ×4, first 2 shown]
	v_cmp_gt_i64_e64 s[10:11], v[24:25], v[22:23]
	s_nop 1
	v_cndmask_b32_e64 v17, v23, v25, s[10:11]
	v_cndmask_b32_e64 v16, v22, v24, s[10:11]
	s_waitcnt vmcnt(4)
	v_cmp_lt_i64_e64 s[10:11], v[10:11], v[6:7]
	s_nop 1
	v_cndmask_b32_e64 v19, v7, v11, s[10:11]
	v_cndmask_b32_e64 v18, v6, v10, s[10:11]
	v_cndmask_b32_e64 v22, v10, v6, s[10:11]
	v_cndmask_b32_e64 v23, v11, v7, s[10:11]
	v_cmp_gt_i64_e64 s[10:11], v[10:11], v[6:7]
	v_cmp_gt_i64_e64 s[12:13], v[18:19], v[16:17]
	s_nop 0
	v_cndmask_b32_e64 v7, v7, v11, s[10:11]
	v_cndmask_b32_e64 v6, v6, v10, s[10:11]
	s_waitcnt vmcnt(2)
	v_cmp_lt_i64_e64 s[10:11], v[8:9], v[4:5]
	s_nop 1
	v_cndmask_b32_e64 v11, v5, v9, s[10:11]
	v_cndmask_b32_e64 v10, v4, v8, s[10:11]
	;; [unrolled: 1-line block ×4, first 2 shown]
	v_cmp_gt_i64_e64 s[10:11], v[8:9], v[4:5]
	s_nop 1
	v_cndmask_b32_e64 v5, v5, v9, s[10:11]
	v_cndmask_b32_e64 v4, v4, v8, s[10:11]
	s_waitcnt vmcnt(0)
	v_cmp_lt_i64_e64 s[10:11], v[12:13], v[2:3]
	s_nop 1
	v_cndmask_b32_e64 v9, v3, v13, s[10:11]
	v_cndmask_b32_e64 v8, v2, v12, s[10:11]
	;; [unrolled: 1-line block ×4, first 2 shown]
	v_cmp_gt_i64_e64 s[10:11], v[12:13], v[2:3]
	s_nop 1
	v_cndmask_b32_e64 v3, v3, v13, s[10:11]
	v_cndmask_b32_e64 v2, v2, v12, s[10:11]
	v_cmp_lt_i64_e64 s[10:11], v[18:19], v[16:17]
	v_cndmask_b32_e64 v13, v17, v19, s[12:13]
	v_cndmask_b32_e64 v12, v16, v18, s[12:13]
	v_cndmask_b32_e64 v28, v19, v17, s[10:11]
	v_cndmask_b32_e64 v29, v18, v16, s[10:11]
	v_cndmask_b32_e64 v21, v21, v19, s[10:11]
	v_cndmask_b32_e64 v20, v20, v18, s[10:11]
	v_cndmask_b32_e64 v30, v16, v18, s[10:11]
	v_cndmask_b32_e64 v31, v17, v19, s[10:11]
	v_cmp_lt_i64_e64 s[10:11], v[10:11], v[6:7]
	v_cmp_gt_i64_e64 s[12:13], v[10:11], v[6:7]
	s_nop 0
	v_cndmask_b32_e64 v32, v11, v7, s[10:11]
	v_cndmask_b32_e64 v33, v10, v6, s[10:11]
	v_cndmask_b32_e64 v23, v23, v11, s[10:11]
	v_cndmask_b32_e64 v22, v22, v10, s[10:11]
	v_cndmask_b32_e64 v17, v7, v11, s[12:13]
	v_cndmask_b32_e64 v16, v6, v10, s[12:13]
	v_cndmask_b32_e64 v7, v7, v11, s[10:11]
	v_cndmask_b32_e64 v6, v6, v10, s[10:11]
	v_cmp_lt_i64_e64 s[10:11], v[8:9], v[4:5]
	v_cmp_gt_i64_e64 s[12:13], v[8:9], v[4:5]
	s_nop 0
	;; [unrolled: 11-line block ×3, first 2 shown]
	v_cndmask_b32_e64 v11, v15, v31, s[10:11]
	v_cndmask_b32_e64 v10, v14, v30, s[10:11]
	;; [unrolled: 1-line block ×6, first 2 shown]
	v_cmp_lt_i64_e64 s[10:11], v[6:7], v[12:13]
	v_cndmask_b32_e64 v19, v13, v7, s[12:13]
	v_cndmask_b32_e64 v18, v12, v6, s[12:13]
	;; [unrolled: 1-line block ×8, first 2 shown]
	v_cmp_lt_i64_e64 s[10:11], v[8:9], v[16:17]
	v_cmp_gt_i64_e64 s[12:13], v[8:9], v[16:17]
	s_nop 0
	v_cndmask_b32_e64 v24, v24, v16, s[10:11]
	v_cndmask_b32_e64 v25, v25, v17, s[10:11]
	;; [unrolled: 1-line block ×8, first 2 shown]
	v_cmp_gt_i64_e64 s[10:11], v[4:5], v[2:3]
	v_cmp_gt_i64_e64 s[12:13], v[6:7], v[14:15]
	s_nop 0
	v_cndmask_b32_e64 v27, v27, v37, s[10:11]
	v_cndmask_b32_e64 v26, v26, v36, s[10:11]
	;; [unrolled: 1-line block ×8, first 2 shown]
	v_cmp_lt_i64_e64 s[10:11], v[6:7], v[14:15]
	v_cndmask_b32_e64 v17, v15, v7, s[12:13]
	v_cndmask_b32_e64 v16, v14, v6, s[12:13]
	v_cndmask_b32_e64 v28, v28, v15, s[10:11]
	v_cndmask_b32_e64 v29, v29, v14, s[10:11]
	v_cndmask_b32_e64 v21, v21, v7, s[10:11]
	v_cndmask_b32_e64 v20, v20, v6, s[10:11]
	v_cndmask_b32_e64 v7, v15, v7, s[10:11]
	v_cndmask_b32_e64 v6, v14, v6, s[10:11]
	v_cmp_lt_i64_e64 s[10:11], v[8:9], v[18:19]
	v_cmp_gt_i64_e64 s[12:13], v[8:9], v[18:19]
	s_nop 0
	v_cndmask_b32_e64 v31, v31, v19, s[10:11]
	v_cndmask_b32_e64 v30, v30, v18, s[10:11]
	v_cndmask_b32_e64 v23, v23, v9, s[10:11]
	v_cndmask_b32_e64 v22, v22, v8, s[10:11]
	v_cndmask_b32_e64 v15, v19, v9, s[12:13]
	v_cndmask_b32_e64 v14, v18, v8, s[12:13]
	v_cndmask_b32_e64 v9, v19, v9, s[10:11]
	v_cndmask_b32_e64 v8, v18, v8, s[10:11]
	v_cmp_lt_i64_e64 s[10:11], v[2:3], v[12:13]
	v_cmp_gt_i64_e64 s[12:13], v[2:3], v[12:13]
	s_nop 0
	v_cndmask_b32_e64 v33, v33, v13, s[10:11]
	v_cndmask_b32_e64 v32, v32, v12, s[10:11]
	v_cndmask_b32_e64 v25, v25, v3, s[10:11]
	v_cndmask_b32_e64 v24, v24, v2, s[10:11]
	v_cndmask_b32_e64 v19, v13, v3, s[12:13]
	v_cndmask_b32_e64 v18, v12, v2, s[12:13]
	v_cndmask_b32_e64 v3, v13, v3, s[10:11]
	v_cndmask_b32_e64 v2, v12, v2, s[10:11]
	v_cmp_lt_i64_e64 s[10:11], v[6:7], v[10:11]
	v_cmp_gt_i64_e64 s[12:13], v[8:9], v[16:17]
	s_nop 0
	v_cndmask_b32_e64 v20, v20, v10, s[10:11]
	v_cndmask_b32_e64 v21, v21, v11, s[10:11]
	;; [unrolled: 1-line block ×4, first 2 shown]
	v_cmp_gt_i64_e64 s[10:11], v[6:7], v[10:11]
	s_nop 1
	v_cndmask_b32_e64 v7, v11, v7, s[10:11]
	v_cndmask_b32_e64 v6, v10, v6, s[10:11]
	v_cmp_lt_i64_e64 s[10:11], v[8:9], v[16:17]
	v_cndmask_b32_e64 v11, v17, v9, s[12:13]
	v_cndmask_b32_e64 v10, v16, v8, s[12:13]
	v_cndmask_b32_e64 v22, v22, v16, s[10:11]
	v_cndmask_b32_e64 v23, v23, v17, s[10:11]
	v_cndmask_b32_e64 v29, v29, v8, s[10:11]
	v_cndmask_b32_e64 v28, v28, v9, s[10:11]
	v_cndmask_b32_e64 v9, v17, v9, s[10:11]
	v_cndmask_b32_e64 v8, v16, v8, s[10:11]
	v_cmp_lt_i64_e64 s[10:11], v[2:3], v[14:15]
	v_cmp_gt_i64_e64 s[12:13], v[2:3], v[14:15]
	s_nop 0
	v_cndmask_b32_e64 v24, v24, v14, s[10:11]
	v_cndmask_b32_e64 v25, v25, v15, s[10:11]
	v_cndmask_b32_e64 v30, v30, v2, s[10:11]
	v_cndmask_b32_e64 v31, v31, v3, s[10:11]
	v_cndmask_b32_e64 v17, v15, v3, s[12:13]
	v_cndmask_b32_e64 v16, v14, v2, s[12:13]
	v_cndmask_b32_e64 v3, v15, v3, s[10:11]
	v_cndmask_b32_e64 v2, v14, v2, s[10:11]
	v_cmp_lt_i64_e64 s[10:11], v[4:5], v[18:19]
	v_cmp_gt_i64_e64 s[12:13], v[4:5], v[18:19]
	s_nop 0
	;; [unrolled: 11-line block ×6, first 2 shown]
	v_cndmask_b32_e64 v9, v13, v35, s[10:11]
	v_cndmask_b32_e64 v8, v12, v34, s[10:11]
	;; [unrolled: 1-line block ×6, first 2 shown]
	v_cmp_lt_i64_e64 s[10:11], v[2:3], v[18:19]
	v_cndmask_b32_e64 v13, v19, v3, s[12:13]
	v_cndmask_b32_e64 v12, v18, v2, s[12:13]
	v_cndmask_b32_e64 v22, v22, v18, s[10:11]
	v_cndmask_b32_e64 v23, v23, v19, s[10:11]
	v_cndmask_b32_e64 v29, v29, v2, s[10:11]
	v_cndmask_b32_e64 v28, v28, v3, s[10:11]
	v_cndmask_b32_e64 v3, v19, v3, s[10:11]
	v_cndmask_b32_e64 v2, v18, v2, s[10:11]
	v_cmp_lt_i64_e64 s[10:11], v[4:5], v[6:7]
	v_cmp_gt_i64_e64 s[12:13], v[4:5], v[6:7]
	s_nop 0
	v_cndmask_b32_e64 v24, v24, v6, s[10:11]
	v_cndmask_b32_e64 v25, v25, v7, s[10:11]
	;; [unrolled: 1-line block ×8, first 2 shown]
	v_cmp_gt_i64_e64 s[10:11], v[16:17], v[14:15]
	s_nop 1
	v_cndmask_b32_e64 v7, v27, v37, s[10:11]
	v_cndmask_b32_e64 v6, v26, v36, s[10:11]
	;; [unrolled: 1-line block ×6, first 2 shown]
	v_cmp_lt_i64_e64 s[10:11], v[2:3], v[10:11]
	s_nop 1
	v_cndmask_b32_e64 v11, v28, v11, s[10:11]
	v_cndmask_b32_e64 v10, v29, v10, s[10:11]
	v_cndmask_b32_e64 v3, v21, v3, s[10:11]
	v_cndmask_b32_e64 v2, v20, v2, s[10:11]
	v_cmp_lt_i64_e64 s[10:11], v[4:5], v[12:13]
	s_nop 1
	v_cndmask_b32_e64 v13, v31, v13, s[10:11]
	v_cndmask_b32_e64 v12, v30, v12, s[10:11]
	v_cndmask_b32_e64 v5, v23, v5, s[10:11]
	v_cndmask_b32_e64 v4, v22, v4, s[10:11]
	;; [unrolled: 6-line block ×3, first 2 shown]
	ds_write2_b64 v38, v[8:9], v[2:3] offset1:1
	ds_write2_b64 v38, v[10:11], v[4:5] offset0:2 offset1:3
	ds_write2_b64 v38, v[12:13], v[14:15] offset0:4 offset1:5
	;; [unrolled: 1-line block ×3, first 2 shown]
	v_mov_b32_e32 v6, v45
	s_waitcnt lgkmcnt(0)
	; wave barrier
	s_waitcnt lgkmcnt(0)
	s_and_saveexec_b64 s[12:13], vcc
	s_cbranch_execz .LBB128_6
; %bb.3:                                ;   in Loop: Header=BB128_2 Depth=1
	s_mov_b64 s[14:15], 0
	v_mov_b32_e32 v6, v45
	v_mov_b32_e32 v2, v46
.LBB128_4:                              ;   Parent Loop BB128_2 Depth=1
                                        ; =>  This Inner Loop Header: Depth=2
	v_sub_u32_e32 v3, v2, v6
	v_lshrrev_b32_e32 v4, 31, v3
	v_add_u32_e32 v3, v3, v4
	v_ashrrev_i32_e32 v3, 1, v3
	v_add_u32_e32 v3, v3, v6
	v_lshl_add_u32 v4, v3, 3, v43
	v_xad_u32 v5, v3, -1, v40
	v_lshl_add_u32 v7, v5, 3, v44
	ds_read_b64 v[4:5], v4
	ds_read_b64 v[8:9], v7
	v_add_u32_e32 v7, 1, v3
	s_waitcnt lgkmcnt(0)
	v_cmp_lt_i64_e64 s[10:11], v[8:9], v[4:5]
	s_nop 1
	v_cndmask_b32_e64 v2, v2, v3, s[10:11]
	v_cndmask_b32_e64 v6, v7, v6, s[10:11]
	v_cmp_ge_i32_e64 s[10:11], v6, v2
	s_or_b64 s[14:15], s[10:11], s[14:15]
	s_andn2_b64 exec, exec, s[14:15]
	s_cbranch_execnz .LBB128_4
; %bb.5:                                ;   in Loop: Header=BB128_2 Depth=1
	s_or_b64 exec, exec, s[14:15]
.LBB128_6:                              ;   in Loop: Header=BB128_2 Depth=1
	s_or_b64 exec, exec, s[12:13]
	v_sub_u32_e32 v10, v47, v6
	v_lshl_add_u32 v8, v6, 3, v43
	v_lshlrev_b32_e32 v12, 3, v10
	ds_read_b64 v[2:3], v8
	ds_read_b64 v[4:5], v12
	v_add_u32_e32 v11, v6, v39
	v_cmp_le_i32_e64 s[12:13], v41, v11
	v_cmp_gt_i32_e64 s[10:11], v42, v10
                                        ; implicit-def: $vgpr6_vgpr7
	s_waitcnt lgkmcnt(0)
	v_cmp_lt_i64_e64 s[14:15], v[4:5], v[2:3]
	s_or_b64 s[12:13], s[12:13], s[14:15]
	s_and_b64 s[10:11], s[10:11], s[12:13]
	s_xor_b64 s[12:13], s[10:11], -1
	s_and_saveexec_b64 s[14:15], s[12:13]
	s_xor_b64 s[12:13], exec, s[14:15]
	s_cbranch_execz .LBB128_8
; %bb.7:                                ;   in Loop: Header=BB128_2 Depth=1
	ds_read_b64 v[6:7], v8 offset:8
                                        ; implicit-def: $vgpr12
.LBB128_8:                              ;   in Loop: Header=BB128_2 Depth=1
	s_or_saveexec_b64 s[12:13], s[12:13]
	v_mov_b64_e32 v[8:9], v[4:5]
	s_xor_b64 exec, exec, s[12:13]
	s_cbranch_execz .LBB128_10
; %bb.9:                                ;   in Loop: Header=BB128_2 Depth=1
	ds_read_b64 v[8:9], v12 offset:8
	s_waitcnt lgkmcnt(1)
	v_mov_b64_e32 v[6:7], v[2:3]
.LBB128_10:                             ;   in Loop: Header=BB128_2 Depth=1
	s_or_b64 exec, exec, s[12:13]
	v_add_u32_e32 v13, 1, v11
	v_add_u32_e32 v12, 1, v10
	v_cndmask_b32_e64 v15, v13, v11, s[10:11]
	v_cndmask_b32_e64 v14, v10, v12, s[10:11]
	v_cmp_ge_i32_e64 s[14:15], v15, v41
	s_waitcnt lgkmcnt(0)
	v_cmp_lt_i64_e64 s[16:17], v[8:9], v[6:7]
	v_cmp_lt_i32_e64 s[12:13], v14, v42
	s_or_b64 s[14:15], s[14:15], s[16:17]
	s_and_b64 s[12:13], s[12:13], s[14:15]
	s_xor_b64 s[14:15], s[12:13], -1
                                        ; implicit-def: $vgpr10_vgpr11
	s_and_saveexec_b64 s[16:17], s[14:15]
	s_xor_b64 s[14:15], exec, s[16:17]
	s_cbranch_execz .LBB128_12
; %bb.11:                               ;   in Loop: Header=BB128_2 Depth=1
	v_lshlrev_b32_e32 v10, 3, v15
	ds_read_b64 v[10:11], v10 offset:8
.LBB128_12:                             ;   in Loop: Header=BB128_2 Depth=1
	s_or_saveexec_b64 s[14:15], s[14:15]
	v_mov_b64_e32 v[12:13], v[8:9]
	s_xor_b64 exec, exec, s[14:15]
	s_cbranch_execz .LBB128_14
; %bb.13:                               ;   in Loop: Header=BB128_2 Depth=1
	s_waitcnt lgkmcnt(0)
	v_lshlrev_b32_e32 v10, 3, v14
	ds_read_b64 v[12:13], v10 offset:8
	v_mov_b64_e32 v[10:11], v[6:7]
.LBB128_14:                             ;   in Loop: Header=BB128_2 Depth=1
	s_or_b64 exec, exec, s[14:15]
	v_add_u32_e32 v17, 1, v15
	v_add_u32_e32 v16, 1, v14
	v_cndmask_b32_e64 v19, v17, v15, s[12:13]
	v_cndmask_b32_e64 v18, v14, v16, s[12:13]
	v_cmp_ge_i32_e64 s[16:17], v19, v41
	s_waitcnt lgkmcnt(0)
	v_cmp_lt_i64_e64 s[18:19], v[12:13], v[10:11]
	v_cmp_lt_i32_e64 s[14:15], v18, v42
	s_or_b64 s[16:17], s[16:17], s[18:19]
	s_and_b64 s[14:15], s[14:15], s[16:17]
	s_xor_b64 s[16:17], s[14:15], -1
                                        ; implicit-def: $vgpr14_vgpr15
	s_and_saveexec_b64 s[18:19], s[16:17]
	s_xor_b64 s[16:17], exec, s[18:19]
	s_cbranch_execz .LBB128_16
; %bb.15:                               ;   in Loop: Header=BB128_2 Depth=1
	v_lshlrev_b32_e32 v14, 3, v19
	ds_read_b64 v[14:15], v14 offset:8
.LBB128_16:                             ;   in Loop: Header=BB128_2 Depth=1
	s_or_saveexec_b64 s[16:17], s[16:17]
	v_mov_b64_e32 v[16:17], v[12:13]
	s_xor_b64 exec, exec, s[16:17]
	s_cbranch_execz .LBB128_18
; %bb.17:                               ;   in Loop: Header=BB128_2 Depth=1
	s_waitcnt lgkmcnt(0)
	v_lshlrev_b32_e32 v14, 3, v18
	ds_read_b64 v[16:17], v14 offset:8
	v_mov_b64_e32 v[14:15], v[10:11]
.LBB128_18:                             ;   in Loop: Header=BB128_2 Depth=1
	s_or_b64 exec, exec, s[16:17]
	v_add_u32_e32 v21, 1, v19
	v_add_u32_e32 v20, 1, v18
	v_cndmask_b32_e64 v23, v21, v19, s[14:15]
	v_cndmask_b32_e64 v22, v18, v20, s[14:15]
	v_cmp_ge_i32_e64 s[18:19], v23, v41
	s_waitcnt lgkmcnt(0)
	v_cmp_lt_i64_e64 s[20:21], v[16:17], v[14:15]
	v_cmp_lt_i32_e64 s[16:17], v22, v42
	s_or_b64 s[18:19], s[18:19], s[20:21]
	s_and_b64 s[16:17], s[16:17], s[18:19]
	s_xor_b64 s[18:19], s[16:17], -1
                                        ; implicit-def: $vgpr18_vgpr19
	s_and_saveexec_b64 s[20:21], s[18:19]
	s_xor_b64 s[18:19], exec, s[20:21]
	s_cbranch_execz .LBB128_20
; %bb.19:                               ;   in Loop: Header=BB128_2 Depth=1
	v_lshlrev_b32_e32 v18, 3, v23
	ds_read_b64 v[18:19], v18 offset:8
.LBB128_20:                             ;   in Loop: Header=BB128_2 Depth=1
	s_or_saveexec_b64 s[18:19], s[18:19]
	v_mov_b64_e32 v[20:21], v[16:17]
	s_xor_b64 exec, exec, s[18:19]
	s_cbranch_execz .LBB128_22
; %bb.21:                               ;   in Loop: Header=BB128_2 Depth=1
	s_waitcnt lgkmcnt(0)
	v_lshlrev_b32_e32 v18, 3, v22
	ds_read_b64 v[20:21], v18 offset:8
	v_mov_b64_e32 v[18:19], v[14:15]
.LBB128_22:                             ;   in Loop: Header=BB128_2 Depth=1
	s_or_b64 exec, exec, s[18:19]
	v_add_u32_e32 v25, 1, v23
	v_add_u32_e32 v24, 1, v22
	v_cndmask_b32_e64 v27, v25, v23, s[16:17]
	v_cndmask_b32_e64 v26, v22, v24, s[16:17]
	v_cmp_ge_i32_e64 s[20:21], v27, v41
	s_waitcnt lgkmcnt(0)
	v_cmp_lt_i64_e64 s[22:23], v[20:21], v[18:19]
	v_cmp_lt_i32_e64 s[18:19], v26, v42
	s_or_b64 s[20:21], s[20:21], s[22:23]
	s_and_b64 s[18:19], s[18:19], s[20:21]
	s_xor_b64 s[20:21], s[18:19], -1
                                        ; implicit-def: $vgpr22_vgpr23
	s_and_saveexec_b64 s[22:23], s[20:21]
	s_xor_b64 s[20:21], exec, s[22:23]
	s_cbranch_execz .LBB128_24
; %bb.23:                               ;   in Loop: Header=BB128_2 Depth=1
	v_lshlrev_b32_e32 v22, 3, v27
	ds_read_b64 v[22:23], v22 offset:8
.LBB128_24:                             ;   in Loop: Header=BB128_2 Depth=1
	s_or_saveexec_b64 s[20:21], s[20:21]
	v_mov_b64_e32 v[24:25], v[20:21]
	s_xor_b64 exec, exec, s[20:21]
	s_cbranch_execz .LBB128_26
; %bb.25:                               ;   in Loop: Header=BB128_2 Depth=1
	s_waitcnt lgkmcnt(0)
	v_lshlrev_b32_e32 v22, 3, v26
	ds_read_b64 v[24:25], v22 offset:8
	v_mov_b64_e32 v[22:23], v[18:19]
.LBB128_26:                             ;   in Loop: Header=BB128_2 Depth=1
	s_or_b64 exec, exec, s[20:21]
	v_add_u32_e32 v29, 1, v27
	v_add_u32_e32 v28, 1, v26
	v_cndmask_b32_e64 v31, v29, v27, s[18:19]
	v_cndmask_b32_e64 v30, v26, v28, s[18:19]
	v_cmp_ge_i32_e64 s[22:23], v31, v41
	s_waitcnt lgkmcnt(0)
	v_cmp_lt_i64_e64 s[24:25], v[24:25], v[22:23]
	v_cmp_lt_i32_e64 s[20:21], v30, v42
	s_or_b64 s[22:23], s[22:23], s[24:25]
	s_and_b64 s[20:21], s[20:21], s[22:23]
	s_xor_b64 s[22:23], s[20:21], -1
                                        ; implicit-def: $vgpr26_vgpr27
	s_and_saveexec_b64 s[24:25], s[22:23]
	s_xor_b64 s[22:23], exec, s[24:25]
	s_cbranch_execz .LBB128_28
; %bb.27:                               ;   in Loop: Header=BB128_2 Depth=1
	v_lshlrev_b32_e32 v26, 3, v31
	ds_read_b64 v[26:27], v26 offset:8
.LBB128_28:                             ;   in Loop: Header=BB128_2 Depth=1
	s_or_saveexec_b64 s[22:23], s[22:23]
	v_mov_b64_e32 v[28:29], v[24:25]
	s_xor_b64 exec, exec, s[22:23]
	s_cbranch_execz .LBB128_30
; %bb.29:                               ;   in Loop: Header=BB128_2 Depth=1
	s_waitcnt lgkmcnt(0)
	v_lshlrev_b32_e32 v26, 3, v30
	ds_read_b64 v[28:29], v26 offset:8
	v_mov_b64_e32 v[26:27], v[22:23]
.LBB128_30:                             ;   in Loop: Header=BB128_2 Depth=1
	s_or_b64 exec, exec, s[22:23]
	v_add_u32_e32 v33, 1, v31
	v_add_u32_e32 v32, 1, v30
	v_cndmask_b32_e64 v35, v33, v31, s[20:21]
	v_cndmask_b32_e64 v34, v30, v32, s[20:21]
	v_cmp_ge_i32_e64 s[24:25], v35, v41
	s_waitcnt lgkmcnt(0)
	v_cmp_lt_i64_e64 s[26:27], v[28:29], v[26:27]
	v_cmp_lt_i32_e64 s[22:23], v34, v42
	s_or_b64 s[24:25], s[24:25], s[26:27]
	s_and_b64 s[22:23], s[22:23], s[24:25]
	s_xor_b64 s[24:25], s[22:23], -1
                                        ; implicit-def: $vgpr30_vgpr31
	s_and_saveexec_b64 s[26:27], s[24:25]
	s_xor_b64 s[24:25], exec, s[26:27]
	s_cbranch_execz .LBB128_32
; %bb.31:                               ;   in Loop: Header=BB128_2 Depth=1
	v_lshlrev_b32_e32 v30, 3, v35
	ds_read_b64 v[30:31], v30 offset:8
.LBB128_32:                             ;   in Loop: Header=BB128_2 Depth=1
	s_or_saveexec_b64 s[24:25], s[24:25]
	v_mov_b64_e32 v[32:33], v[28:29]
	s_xor_b64 exec, exec, s[24:25]
	s_cbranch_execz .LBB128_34
; %bb.33:                               ;   in Loop: Header=BB128_2 Depth=1
	s_waitcnt lgkmcnt(0)
	v_lshlrev_b32_e32 v30, 3, v34
	ds_read_b64 v[32:33], v30 offset:8
	v_mov_b64_e32 v[30:31], v[26:27]
.LBB128_34:                             ;   in Loop: Header=BB128_2 Depth=1
	s_or_b64 exec, exec, s[24:25]
	v_cndmask_b32_e64 v27, v27, v29, s[22:23]
	v_add_u32_e32 v29, 1, v35
	v_cndmask_b32_e64 v26, v26, v28, s[22:23]
	v_add_u32_e32 v28, 1, v34
	v_cndmask_b32_e64 v29, v29, v35, s[22:23]
	v_cndmask_b32_e64 v28, v34, v28, s[22:23]
	;; [unrolled: 1-line block ×6, first 2 shown]
	v_cmp_ge_i32_e64 s[12:13], v29, v41
	s_waitcnt lgkmcnt(0)
	v_cmp_lt_i64_e64 s[14:15], v[32:33], v[30:31]
	v_cndmask_b32_e64 v3, v3, v5, s[10:11]
	v_cndmask_b32_e64 v2, v2, v4, s[10:11]
	v_cmp_lt_i32_e64 s[10:11], v28, v42
	s_or_b64 s[12:13], s[12:13], s[14:15]
	s_and_b64 s[10:11], s[10:11], s[12:13]
	v_cndmask_b32_e64 v23, v23, v25, s[20:21]
	v_cndmask_b32_e64 v22, v22, v24, s[20:21]
	;; [unrolled: 1-line block ×8, first 2 shown]
	s_waitcnt lgkmcnt(0)
	; wave barrier
	ds_write2_b64 v38, v[2:3], v[6:7] offset1:1
	ds_write2_b64 v38, v[10:11], v[14:15] offset0:2 offset1:3
	ds_write2_b64 v38, v[18:19], v[22:23] offset0:4 offset1:5
	ds_write2_b64 v38, v[26:27], v[4:5] offset0:6 offset1:7
	v_mov_b32_e32 v6, v54
	s_waitcnt lgkmcnt(0)
	; wave barrier
	s_waitcnt lgkmcnt(0)
	s_and_saveexec_b64 s[12:13], s[0:1]
	s_cbranch_execz .LBB128_38
; %bb.35:                               ;   in Loop: Header=BB128_2 Depth=1
	s_mov_b64 s[14:15], 0
	v_mov_b32_e32 v6, v54
	v_mov_b32_e32 v2, v55
.LBB128_36:                             ;   Parent Loop BB128_2 Depth=1
                                        ; =>  This Inner Loop Header: Depth=2
	v_sub_u32_e32 v3, v2, v6
	v_lshrrev_b32_e32 v4, 31, v3
	v_add_u32_e32 v3, v3, v4
	v_ashrrev_i32_e32 v3, 1, v3
	v_add_u32_e32 v3, v3, v6
	v_lshl_add_u32 v4, v3, 3, v52
	v_xad_u32 v5, v3, -1, v49
	v_lshl_add_u32 v7, v5, 3, v53
	ds_read_b64 v[4:5], v4
	ds_read_b64 v[8:9], v7
	v_add_u32_e32 v7, 1, v3
	s_waitcnt lgkmcnt(0)
	v_cmp_lt_i64_e64 s[10:11], v[8:9], v[4:5]
	s_nop 1
	v_cndmask_b32_e64 v2, v2, v3, s[10:11]
	v_cndmask_b32_e64 v6, v7, v6, s[10:11]
	v_cmp_ge_i32_e64 s[10:11], v6, v2
	s_or_b64 s[14:15], s[10:11], s[14:15]
	s_andn2_b64 exec, exec, s[14:15]
	s_cbranch_execnz .LBB128_36
; %bb.37:                               ;   in Loop: Header=BB128_2 Depth=1
	s_or_b64 exec, exec, s[14:15]
.LBB128_38:                             ;   in Loop: Header=BB128_2 Depth=1
	s_or_b64 exec, exec, s[12:13]
	v_sub_u32_e32 v10, v56, v6
	v_lshl_add_u32 v8, v6, 3, v52
	v_lshlrev_b32_e32 v12, 3, v10
	ds_read_b64 v[2:3], v8
	ds_read_b64 v[4:5], v12
	v_add_u32_e32 v11, v6, v48
	v_cmp_le_i32_e64 s[12:13], v50, v11
	v_cmp_gt_i32_e64 s[10:11], v51, v10
                                        ; implicit-def: $vgpr6_vgpr7
	s_waitcnt lgkmcnt(0)
	v_cmp_lt_i64_e64 s[14:15], v[4:5], v[2:3]
	s_or_b64 s[12:13], s[12:13], s[14:15]
	s_and_b64 s[10:11], s[10:11], s[12:13]
	s_xor_b64 s[12:13], s[10:11], -1
	s_and_saveexec_b64 s[14:15], s[12:13]
	s_xor_b64 s[12:13], exec, s[14:15]
	s_cbranch_execz .LBB128_40
; %bb.39:                               ;   in Loop: Header=BB128_2 Depth=1
	ds_read_b64 v[6:7], v8 offset:8
                                        ; implicit-def: $vgpr12
.LBB128_40:                             ;   in Loop: Header=BB128_2 Depth=1
	s_or_saveexec_b64 s[12:13], s[12:13]
	v_mov_b64_e32 v[8:9], v[4:5]
	s_xor_b64 exec, exec, s[12:13]
	s_cbranch_execz .LBB128_42
; %bb.41:                               ;   in Loop: Header=BB128_2 Depth=1
	ds_read_b64 v[8:9], v12 offset:8
	s_waitcnt lgkmcnt(1)
	v_mov_b64_e32 v[6:7], v[2:3]
.LBB128_42:                             ;   in Loop: Header=BB128_2 Depth=1
	s_or_b64 exec, exec, s[12:13]
	v_add_u32_e32 v13, 1, v11
	v_add_u32_e32 v12, 1, v10
	v_cndmask_b32_e64 v15, v13, v11, s[10:11]
	v_cndmask_b32_e64 v14, v10, v12, s[10:11]
	v_cmp_ge_i32_e64 s[14:15], v15, v50
	s_waitcnt lgkmcnt(0)
	v_cmp_lt_i64_e64 s[16:17], v[8:9], v[6:7]
	v_cmp_lt_i32_e64 s[12:13], v14, v51
	s_or_b64 s[14:15], s[14:15], s[16:17]
	s_and_b64 s[12:13], s[12:13], s[14:15]
	s_xor_b64 s[14:15], s[12:13], -1
                                        ; implicit-def: $vgpr10_vgpr11
	s_and_saveexec_b64 s[16:17], s[14:15]
	s_xor_b64 s[14:15], exec, s[16:17]
	s_cbranch_execz .LBB128_44
; %bb.43:                               ;   in Loop: Header=BB128_2 Depth=1
	v_lshlrev_b32_e32 v10, 3, v15
	ds_read_b64 v[10:11], v10 offset:8
.LBB128_44:                             ;   in Loop: Header=BB128_2 Depth=1
	s_or_saveexec_b64 s[14:15], s[14:15]
	v_mov_b64_e32 v[12:13], v[8:9]
	s_xor_b64 exec, exec, s[14:15]
	s_cbranch_execz .LBB128_46
; %bb.45:                               ;   in Loop: Header=BB128_2 Depth=1
	s_waitcnt lgkmcnt(0)
	v_lshlrev_b32_e32 v10, 3, v14
	ds_read_b64 v[12:13], v10 offset:8
	v_mov_b64_e32 v[10:11], v[6:7]
.LBB128_46:                             ;   in Loop: Header=BB128_2 Depth=1
	s_or_b64 exec, exec, s[14:15]
	v_add_u32_e32 v17, 1, v15
	v_add_u32_e32 v16, 1, v14
	v_cndmask_b32_e64 v19, v17, v15, s[12:13]
	v_cndmask_b32_e64 v18, v14, v16, s[12:13]
	v_cmp_ge_i32_e64 s[16:17], v19, v50
	s_waitcnt lgkmcnt(0)
	v_cmp_lt_i64_e64 s[18:19], v[12:13], v[10:11]
	v_cmp_lt_i32_e64 s[14:15], v18, v51
	s_or_b64 s[16:17], s[16:17], s[18:19]
	s_and_b64 s[14:15], s[14:15], s[16:17]
	s_xor_b64 s[16:17], s[14:15], -1
                                        ; implicit-def: $vgpr14_vgpr15
	s_and_saveexec_b64 s[18:19], s[16:17]
	s_xor_b64 s[16:17], exec, s[18:19]
	s_cbranch_execz .LBB128_48
; %bb.47:                               ;   in Loop: Header=BB128_2 Depth=1
	v_lshlrev_b32_e32 v14, 3, v19
	ds_read_b64 v[14:15], v14 offset:8
.LBB128_48:                             ;   in Loop: Header=BB128_2 Depth=1
	s_or_saveexec_b64 s[16:17], s[16:17]
	v_mov_b64_e32 v[16:17], v[12:13]
	s_xor_b64 exec, exec, s[16:17]
	s_cbranch_execz .LBB128_50
; %bb.49:                               ;   in Loop: Header=BB128_2 Depth=1
	s_waitcnt lgkmcnt(0)
	v_lshlrev_b32_e32 v14, 3, v18
	ds_read_b64 v[16:17], v14 offset:8
	v_mov_b64_e32 v[14:15], v[10:11]
.LBB128_50:                             ;   in Loop: Header=BB128_2 Depth=1
	s_or_b64 exec, exec, s[16:17]
	v_add_u32_e32 v21, 1, v19
	v_add_u32_e32 v20, 1, v18
	v_cndmask_b32_e64 v23, v21, v19, s[14:15]
	v_cndmask_b32_e64 v22, v18, v20, s[14:15]
	v_cmp_ge_i32_e64 s[18:19], v23, v50
	s_waitcnt lgkmcnt(0)
	v_cmp_lt_i64_e64 s[20:21], v[16:17], v[14:15]
	v_cmp_lt_i32_e64 s[16:17], v22, v51
	s_or_b64 s[18:19], s[18:19], s[20:21]
	s_and_b64 s[16:17], s[16:17], s[18:19]
	s_xor_b64 s[18:19], s[16:17], -1
                                        ; implicit-def: $vgpr18_vgpr19
	s_and_saveexec_b64 s[20:21], s[18:19]
	s_xor_b64 s[18:19], exec, s[20:21]
	s_cbranch_execz .LBB128_52
; %bb.51:                               ;   in Loop: Header=BB128_2 Depth=1
	v_lshlrev_b32_e32 v18, 3, v23
	ds_read_b64 v[18:19], v18 offset:8
.LBB128_52:                             ;   in Loop: Header=BB128_2 Depth=1
	s_or_saveexec_b64 s[18:19], s[18:19]
	v_mov_b64_e32 v[20:21], v[16:17]
	s_xor_b64 exec, exec, s[18:19]
	s_cbranch_execz .LBB128_54
; %bb.53:                               ;   in Loop: Header=BB128_2 Depth=1
	s_waitcnt lgkmcnt(0)
	v_lshlrev_b32_e32 v18, 3, v22
	ds_read_b64 v[20:21], v18 offset:8
	v_mov_b64_e32 v[18:19], v[14:15]
.LBB128_54:                             ;   in Loop: Header=BB128_2 Depth=1
	s_or_b64 exec, exec, s[18:19]
	v_add_u32_e32 v25, 1, v23
	v_add_u32_e32 v24, 1, v22
	v_cndmask_b32_e64 v27, v25, v23, s[16:17]
	v_cndmask_b32_e64 v26, v22, v24, s[16:17]
	v_cmp_ge_i32_e64 s[20:21], v27, v50
	s_waitcnt lgkmcnt(0)
	v_cmp_lt_i64_e64 s[22:23], v[20:21], v[18:19]
	v_cmp_lt_i32_e64 s[18:19], v26, v51
	s_or_b64 s[20:21], s[20:21], s[22:23]
	s_and_b64 s[18:19], s[18:19], s[20:21]
	s_xor_b64 s[20:21], s[18:19], -1
                                        ; implicit-def: $vgpr22_vgpr23
	s_and_saveexec_b64 s[22:23], s[20:21]
	s_xor_b64 s[20:21], exec, s[22:23]
	s_cbranch_execz .LBB128_56
; %bb.55:                               ;   in Loop: Header=BB128_2 Depth=1
	v_lshlrev_b32_e32 v22, 3, v27
	ds_read_b64 v[22:23], v22 offset:8
.LBB128_56:                             ;   in Loop: Header=BB128_2 Depth=1
	s_or_saveexec_b64 s[20:21], s[20:21]
	v_mov_b64_e32 v[24:25], v[20:21]
	s_xor_b64 exec, exec, s[20:21]
	s_cbranch_execz .LBB128_58
; %bb.57:                               ;   in Loop: Header=BB128_2 Depth=1
	s_waitcnt lgkmcnt(0)
	v_lshlrev_b32_e32 v22, 3, v26
	ds_read_b64 v[24:25], v22 offset:8
	v_mov_b64_e32 v[22:23], v[18:19]
.LBB128_58:                             ;   in Loop: Header=BB128_2 Depth=1
	s_or_b64 exec, exec, s[20:21]
	v_add_u32_e32 v29, 1, v27
	v_add_u32_e32 v28, 1, v26
	v_cndmask_b32_e64 v31, v29, v27, s[18:19]
	v_cndmask_b32_e64 v30, v26, v28, s[18:19]
	v_cmp_ge_i32_e64 s[22:23], v31, v50
	s_waitcnt lgkmcnt(0)
	v_cmp_lt_i64_e64 s[24:25], v[24:25], v[22:23]
	v_cmp_lt_i32_e64 s[20:21], v30, v51
	s_or_b64 s[22:23], s[22:23], s[24:25]
	s_and_b64 s[20:21], s[20:21], s[22:23]
	s_xor_b64 s[22:23], s[20:21], -1
                                        ; implicit-def: $vgpr26_vgpr27
	s_and_saveexec_b64 s[24:25], s[22:23]
	s_xor_b64 s[22:23], exec, s[24:25]
	s_cbranch_execz .LBB128_60
; %bb.59:                               ;   in Loop: Header=BB128_2 Depth=1
	v_lshlrev_b32_e32 v26, 3, v31
	ds_read_b64 v[26:27], v26 offset:8
.LBB128_60:                             ;   in Loop: Header=BB128_2 Depth=1
	s_or_saveexec_b64 s[22:23], s[22:23]
	v_mov_b64_e32 v[28:29], v[24:25]
	s_xor_b64 exec, exec, s[22:23]
	s_cbranch_execz .LBB128_62
; %bb.61:                               ;   in Loop: Header=BB128_2 Depth=1
	s_waitcnt lgkmcnt(0)
	v_lshlrev_b32_e32 v26, 3, v30
	ds_read_b64 v[28:29], v26 offset:8
	v_mov_b64_e32 v[26:27], v[22:23]
.LBB128_62:                             ;   in Loop: Header=BB128_2 Depth=1
	s_or_b64 exec, exec, s[22:23]
	v_add_u32_e32 v33, 1, v31
	v_add_u32_e32 v32, 1, v30
	v_cndmask_b32_e64 v35, v33, v31, s[20:21]
	v_cndmask_b32_e64 v34, v30, v32, s[20:21]
	v_cmp_ge_i32_e64 s[24:25], v35, v50
	s_waitcnt lgkmcnt(0)
	v_cmp_lt_i64_e64 s[26:27], v[28:29], v[26:27]
	v_cmp_lt_i32_e64 s[22:23], v34, v51
	s_or_b64 s[24:25], s[24:25], s[26:27]
	s_and_b64 s[22:23], s[22:23], s[24:25]
	s_xor_b64 s[24:25], s[22:23], -1
                                        ; implicit-def: $vgpr30_vgpr31
	s_and_saveexec_b64 s[26:27], s[24:25]
	s_xor_b64 s[24:25], exec, s[26:27]
	s_cbranch_execz .LBB128_64
; %bb.63:                               ;   in Loop: Header=BB128_2 Depth=1
	v_lshlrev_b32_e32 v30, 3, v35
	ds_read_b64 v[30:31], v30 offset:8
.LBB128_64:                             ;   in Loop: Header=BB128_2 Depth=1
	s_or_saveexec_b64 s[24:25], s[24:25]
	v_mov_b64_e32 v[32:33], v[28:29]
	s_xor_b64 exec, exec, s[24:25]
	s_cbranch_execz .LBB128_66
; %bb.65:                               ;   in Loop: Header=BB128_2 Depth=1
	s_waitcnt lgkmcnt(0)
	v_lshlrev_b32_e32 v30, 3, v34
	ds_read_b64 v[32:33], v30 offset:8
	v_mov_b64_e32 v[30:31], v[26:27]
.LBB128_66:                             ;   in Loop: Header=BB128_2 Depth=1
	s_or_b64 exec, exec, s[24:25]
	v_cndmask_b32_e64 v27, v27, v29, s[22:23]
	v_add_u32_e32 v29, 1, v35
	v_cndmask_b32_e64 v26, v26, v28, s[22:23]
	v_add_u32_e32 v28, 1, v34
	v_cndmask_b32_e64 v29, v29, v35, s[22:23]
	v_cndmask_b32_e64 v28, v34, v28, s[22:23]
	;; [unrolled: 1-line block ×6, first 2 shown]
	v_cmp_ge_i32_e64 s[12:13], v29, v50
	s_waitcnt lgkmcnt(0)
	v_cmp_lt_i64_e64 s[14:15], v[32:33], v[30:31]
	v_cndmask_b32_e64 v3, v3, v5, s[10:11]
	v_cndmask_b32_e64 v2, v2, v4, s[10:11]
	v_cmp_lt_i32_e64 s[10:11], v28, v51
	s_or_b64 s[12:13], s[12:13], s[14:15]
	s_and_b64 s[10:11], s[10:11], s[12:13]
	v_cndmask_b32_e64 v23, v23, v25, s[20:21]
	v_cndmask_b32_e64 v22, v22, v24, s[20:21]
	;; [unrolled: 1-line block ×8, first 2 shown]
	s_waitcnt lgkmcnt(0)
	; wave barrier
	ds_write2_b64 v38, v[2:3], v[6:7] offset1:1
	ds_write2_b64 v38, v[10:11], v[14:15] offset0:2 offset1:3
	ds_write2_b64 v38, v[18:19], v[22:23] offset0:4 offset1:5
	;; [unrolled: 1-line block ×3, first 2 shown]
	v_mov_b32_e32 v6, v63
	s_waitcnt lgkmcnt(0)
	; wave barrier
	s_waitcnt lgkmcnt(0)
	s_and_saveexec_b64 s[12:13], s[2:3]
	s_cbranch_execz .LBB128_70
; %bb.67:                               ;   in Loop: Header=BB128_2 Depth=1
	s_mov_b64 s[14:15], 0
	v_mov_b32_e32 v6, v63
	v_mov_b32_e32 v2, v64
.LBB128_68:                             ;   Parent Loop BB128_2 Depth=1
                                        ; =>  This Inner Loop Header: Depth=2
	v_sub_u32_e32 v3, v2, v6
	v_lshrrev_b32_e32 v4, 31, v3
	v_add_u32_e32 v3, v3, v4
	v_ashrrev_i32_e32 v3, 1, v3
	v_add_u32_e32 v3, v3, v6
	v_lshl_add_u32 v4, v3, 3, v61
	v_xad_u32 v5, v3, -1, v58
	v_lshl_add_u32 v7, v5, 3, v62
	ds_read_b64 v[4:5], v4
	ds_read_b64 v[8:9], v7
	v_add_u32_e32 v7, 1, v3
	s_waitcnt lgkmcnt(0)
	v_cmp_lt_i64_e64 s[10:11], v[8:9], v[4:5]
	s_nop 1
	v_cndmask_b32_e64 v2, v2, v3, s[10:11]
	v_cndmask_b32_e64 v6, v7, v6, s[10:11]
	v_cmp_ge_i32_e64 s[10:11], v6, v2
	s_or_b64 s[14:15], s[10:11], s[14:15]
	s_andn2_b64 exec, exec, s[14:15]
	s_cbranch_execnz .LBB128_68
; %bb.69:                               ;   in Loop: Header=BB128_2 Depth=1
	s_or_b64 exec, exec, s[14:15]
.LBB128_70:                             ;   in Loop: Header=BB128_2 Depth=1
	s_or_b64 exec, exec, s[12:13]
	v_sub_u32_e32 v10, v65, v6
	v_lshl_add_u32 v8, v6, 3, v61
	v_lshlrev_b32_e32 v12, 3, v10
	ds_read_b64 v[2:3], v8
	ds_read_b64 v[4:5], v12
	v_add_u32_e32 v11, v6, v57
	v_cmp_le_i32_e64 s[12:13], v59, v11
	v_cmp_gt_i32_e64 s[10:11], v60, v10
                                        ; implicit-def: $vgpr6_vgpr7
	s_waitcnt lgkmcnt(0)
	v_cmp_lt_i64_e64 s[14:15], v[4:5], v[2:3]
	s_or_b64 s[12:13], s[12:13], s[14:15]
	s_and_b64 s[10:11], s[10:11], s[12:13]
	s_xor_b64 s[12:13], s[10:11], -1
	s_and_saveexec_b64 s[14:15], s[12:13]
	s_xor_b64 s[12:13], exec, s[14:15]
	s_cbranch_execz .LBB128_72
; %bb.71:                               ;   in Loop: Header=BB128_2 Depth=1
	ds_read_b64 v[6:7], v8 offset:8
                                        ; implicit-def: $vgpr12
.LBB128_72:                             ;   in Loop: Header=BB128_2 Depth=1
	s_or_saveexec_b64 s[12:13], s[12:13]
	v_mov_b64_e32 v[8:9], v[4:5]
	s_xor_b64 exec, exec, s[12:13]
	s_cbranch_execz .LBB128_74
; %bb.73:                               ;   in Loop: Header=BB128_2 Depth=1
	ds_read_b64 v[8:9], v12 offset:8
	s_waitcnt lgkmcnt(1)
	v_mov_b64_e32 v[6:7], v[2:3]
.LBB128_74:                             ;   in Loop: Header=BB128_2 Depth=1
	s_or_b64 exec, exec, s[12:13]
	v_add_u32_e32 v13, 1, v11
	v_add_u32_e32 v12, 1, v10
	v_cndmask_b32_e64 v15, v13, v11, s[10:11]
	v_cndmask_b32_e64 v14, v10, v12, s[10:11]
	v_cmp_ge_i32_e64 s[14:15], v15, v59
	s_waitcnt lgkmcnt(0)
	v_cmp_lt_i64_e64 s[16:17], v[8:9], v[6:7]
	v_cmp_lt_i32_e64 s[12:13], v14, v60
	s_or_b64 s[14:15], s[14:15], s[16:17]
	s_and_b64 s[12:13], s[12:13], s[14:15]
	s_xor_b64 s[14:15], s[12:13], -1
                                        ; implicit-def: $vgpr10_vgpr11
	s_and_saveexec_b64 s[16:17], s[14:15]
	s_xor_b64 s[14:15], exec, s[16:17]
	s_cbranch_execz .LBB128_76
; %bb.75:                               ;   in Loop: Header=BB128_2 Depth=1
	v_lshlrev_b32_e32 v10, 3, v15
	ds_read_b64 v[10:11], v10 offset:8
.LBB128_76:                             ;   in Loop: Header=BB128_2 Depth=1
	s_or_saveexec_b64 s[14:15], s[14:15]
	v_mov_b64_e32 v[12:13], v[8:9]
	s_xor_b64 exec, exec, s[14:15]
	s_cbranch_execz .LBB128_78
; %bb.77:                               ;   in Loop: Header=BB128_2 Depth=1
	s_waitcnt lgkmcnt(0)
	v_lshlrev_b32_e32 v10, 3, v14
	ds_read_b64 v[12:13], v10 offset:8
	v_mov_b64_e32 v[10:11], v[6:7]
.LBB128_78:                             ;   in Loop: Header=BB128_2 Depth=1
	s_or_b64 exec, exec, s[14:15]
	v_add_u32_e32 v17, 1, v15
	v_add_u32_e32 v16, 1, v14
	v_cndmask_b32_e64 v19, v17, v15, s[12:13]
	v_cndmask_b32_e64 v18, v14, v16, s[12:13]
	v_cmp_ge_i32_e64 s[16:17], v19, v59
	s_waitcnt lgkmcnt(0)
	v_cmp_lt_i64_e64 s[18:19], v[12:13], v[10:11]
	v_cmp_lt_i32_e64 s[14:15], v18, v60
	s_or_b64 s[16:17], s[16:17], s[18:19]
	s_and_b64 s[14:15], s[14:15], s[16:17]
	s_xor_b64 s[16:17], s[14:15], -1
                                        ; implicit-def: $vgpr14_vgpr15
	s_and_saveexec_b64 s[18:19], s[16:17]
	s_xor_b64 s[16:17], exec, s[18:19]
	s_cbranch_execz .LBB128_80
; %bb.79:                               ;   in Loop: Header=BB128_2 Depth=1
	v_lshlrev_b32_e32 v14, 3, v19
	ds_read_b64 v[14:15], v14 offset:8
.LBB128_80:                             ;   in Loop: Header=BB128_2 Depth=1
	s_or_saveexec_b64 s[16:17], s[16:17]
	v_mov_b64_e32 v[16:17], v[12:13]
	s_xor_b64 exec, exec, s[16:17]
	s_cbranch_execz .LBB128_82
; %bb.81:                               ;   in Loop: Header=BB128_2 Depth=1
	s_waitcnt lgkmcnt(0)
	v_lshlrev_b32_e32 v14, 3, v18
	ds_read_b64 v[16:17], v14 offset:8
	v_mov_b64_e32 v[14:15], v[10:11]
.LBB128_82:                             ;   in Loop: Header=BB128_2 Depth=1
	s_or_b64 exec, exec, s[16:17]
	v_add_u32_e32 v21, 1, v19
	v_add_u32_e32 v20, 1, v18
	v_cndmask_b32_e64 v23, v21, v19, s[14:15]
	v_cndmask_b32_e64 v22, v18, v20, s[14:15]
	v_cmp_ge_i32_e64 s[18:19], v23, v59
	s_waitcnt lgkmcnt(0)
	v_cmp_lt_i64_e64 s[20:21], v[16:17], v[14:15]
	v_cmp_lt_i32_e64 s[16:17], v22, v60
	s_or_b64 s[18:19], s[18:19], s[20:21]
	s_and_b64 s[16:17], s[16:17], s[18:19]
	s_xor_b64 s[18:19], s[16:17], -1
                                        ; implicit-def: $vgpr18_vgpr19
	s_and_saveexec_b64 s[20:21], s[18:19]
	s_xor_b64 s[18:19], exec, s[20:21]
	s_cbranch_execz .LBB128_84
; %bb.83:                               ;   in Loop: Header=BB128_2 Depth=1
	v_lshlrev_b32_e32 v18, 3, v23
	ds_read_b64 v[18:19], v18 offset:8
.LBB128_84:                             ;   in Loop: Header=BB128_2 Depth=1
	s_or_saveexec_b64 s[18:19], s[18:19]
	v_mov_b64_e32 v[20:21], v[16:17]
	s_xor_b64 exec, exec, s[18:19]
	s_cbranch_execz .LBB128_86
; %bb.85:                               ;   in Loop: Header=BB128_2 Depth=1
	s_waitcnt lgkmcnt(0)
	v_lshlrev_b32_e32 v18, 3, v22
	ds_read_b64 v[20:21], v18 offset:8
	v_mov_b64_e32 v[18:19], v[14:15]
.LBB128_86:                             ;   in Loop: Header=BB128_2 Depth=1
	s_or_b64 exec, exec, s[18:19]
	v_add_u32_e32 v25, 1, v23
	v_add_u32_e32 v24, 1, v22
	v_cndmask_b32_e64 v27, v25, v23, s[16:17]
	v_cndmask_b32_e64 v26, v22, v24, s[16:17]
	v_cmp_ge_i32_e64 s[20:21], v27, v59
	s_waitcnt lgkmcnt(0)
	v_cmp_lt_i64_e64 s[22:23], v[20:21], v[18:19]
	v_cmp_lt_i32_e64 s[18:19], v26, v60
	s_or_b64 s[20:21], s[20:21], s[22:23]
	s_and_b64 s[18:19], s[18:19], s[20:21]
	s_xor_b64 s[20:21], s[18:19], -1
                                        ; implicit-def: $vgpr22_vgpr23
	s_and_saveexec_b64 s[22:23], s[20:21]
	s_xor_b64 s[20:21], exec, s[22:23]
	s_cbranch_execz .LBB128_88
; %bb.87:                               ;   in Loop: Header=BB128_2 Depth=1
	v_lshlrev_b32_e32 v22, 3, v27
	ds_read_b64 v[22:23], v22 offset:8
.LBB128_88:                             ;   in Loop: Header=BB128_2 Depth=1
	s_or_saveexec_b64 s[20:21], s[20:21]
	v_mov_b64_e32 v[24:25], v[20:21]
	s_xor_b64 exec, exec, s[20:21]
	s_cbranch_execz .LBB128_90
; %bb.89:                               ;   in Loop: Header=BB128_2 Depth=1
	s_waitcnt lgkmcnt(0)
	v_lshlrev_b32_e32 v22, 3, v26
	ds_read_b64 v[24:25], v22 offset:8
	v_mov_b64_e32 v[22:23], v[18:19]
.LBB128_90:                             ;   in Loop: Header=BB128_2 Depth=1
	s_or_b64 exec, exec, s[20:21]
	v_add_u32_e32 v29, 1, v27
	v_add_u32_e32 v28, 1, v26
	v_cndmask_b32_e64 v31, v29, v27, s[18:19]
	v_cndmask_b32_e64 v30, v26, v28, s[18:19]
	v_cmp_ge_i32_e64 s[22:23], v31, v59
	s_waitcnt lgkmcnt(0)
	v_cmp_lt_i64_e64 s[24:25], v[24:25], v[22:23]
	v_cmp_lt_i32_e64 s[20:21], v30, v60
	s_or_b64 s[22:23], s[22:23], s[24:25]
	s_and_b64 s[20:21], s[20:21], s[22:23]
	s_xor_b64 s[22:23], s[20:21], -1
                                        ; implicit-def: $vgpr26_vgpr27
	s_and_saveexec_b64 s[24:25], s[22:23]
	s_xor_b64 s[22:23], exec, s[24:25]
	s_cbranch_execz .LBB128_92
; %bb.91:                               ;   in Loop: Header=BB128_2 Depth=1
	v_lshlrev_b32_e32 v26, 3, v31
	ds_read_b64 v[26:27], v26 offset:8
.LBB128_92:                             ;   in Loop: Header=BB128_2 Depth=1
	s_or_saveexec_b64 s[22:23], s[22:23]
	v_mov_b64_e32 v[28:29], v[24:25]
	s_xor_b64 exec, exec, s[22:23]
	s_cbranch_execz .LBB128_94
; %bb.93:                               ;   in Loop: Header=BB128_2 Depth=1
	s_waitcnt lgkmcnt(0)
	v_lshlrev_b32_e32 v26, 3, v30
	ds_read_b64 v[28:29], v26 offset:8
	v_mov_b64_e32 v[26:27], v[22:23]
.LBB128_94:                             ;   in Loop: Header=BB128_2 Depth=1
	s_or_b64 exec, exec, s[22:23]
	v_add_u32_e32 v33, 1, v31
	v_add_u32_e32 v32, 1, v30
	v_cndmask_b32_e64 v35, v33, v31, s[20:21]
	v_cndmask_b32_e64 v34, v30, v32, s[20:21]
	v_cmp_ge_i32_e64 s[24:25], v35, v59
	s_waitcnt lgkmcnt(0)
	v_cmp_lt_i64_e64 s[26:27], v[28:29], v[26:27]
	v_cmp_lt_i32_e64 s[22:23], v34, v60
	s_or_b64 s[24:25], s[24:25], s[26:27]
	s_and_b64 s[22:23], s[22:23], s[24:25]
	s_xor_b64 s[24:25], s[22:23], -1
                                        ; implicit-def: $vgpr30_vgpr31
	s_and_saveexec_b64 s[26:27], s[24:25]
	s_xor_b64 s[24:25], exec, s[26:27]
	s_cbranch_execz .LBB128_96
; %bb.95:                               ;   in Loop: Header=BB128_2 Depth=1
	v_lshlrev_b32_e32 v30, 3, v35
	ds_read_b64 v[30:31], v30 offset:8
.LBB128_96:                             ;   in Loop: Header=BB128_2 Depth=1
	s_or_saveexec_b64 s[24:25], s[24:25]
	v_mov_b64_e32 v[32:33], v[28:29]
	s_xor_b64 exec, exec, s[24:25]
	s_cbranch_execz .LBB128_98
; %bb.97:                               ;   in Loop: Header=BB128_2 Depth=1
	s_waitcnt lgkmcnt(0)
	v_lshlrev_b32_e32 v30, 3, v34
	ds_read_b64 v[32:33], v30 offset:8
	v_mov_b64_e32 v[30:31], v[26:27]
.LBB128_98:                             ;   in Loop: Header=BB128_2 Depth=1
	s_or_b64 exec, exec, s[24:25]
	v_cndmask_b32_e64 v27, v27, v29, s[22:23]
	v_add_u32_e32 v29, 1, v35
	v_cndmask_b32_e64 v26, v26, v28, s[22:23]
	v_add_u32_e32 v28, 1, v34
	v_cndmask_b32_e64 v29, v29, v35, s[22:23]
	v_cndmask_b32_e64 v28, v34, v28, s[22:23]
	;; [unrolled: 1-line block ×6, first 2 shown]
	v_cmp_ge_i32_e64 s[12:13], v29, v59
	s_waitcnt lgkmcnt(0)
	v_cmp_lt_i64_e64 s[14:15], v[32:33], v[30:31]
	v_cndmask_b32_e64 v3, v3, v5, s[10:11]
	v_cndmask_b32_e64 v2, v2, v4, s[10:11]
	v_cmp_lt_i32_e64 s[10:11], v28, v60
	s_or_b64 s[12:13], s[12:13], s[14:15]
	s_and_b64 s[10:11], s[10:11], s[12:13]
	v_cndmask_b32_e64 v23, v23, v25, s[20:21]
	v_cndmask_b32_e64 v22, v22, v24, s[20:21]
	;; [unrolled: 1-line block ×8, first 2 shown]
	s_waitcnt lgkmcnt(0)
	; wave barrier
	ds_write2_b64 v38, v[2:3], v[6:7] offset1:1
	ds_write2_b64 v38, v[10:11], v[14:15] offset0:2 offset1:3
	ds_write2_b64 v38, v[18:19], v[22:23] offset0:4 offset1:5
	;; [unrolled: 1-line block ×3, first 2 shown]
	v_mov_b32_e32 v6, v72
	s_waitcnt lgkmcnt(0)
	; wave barrier
	s_waitcnt lgkmcnt(0)
	s_and_saveexec_b64 s[12:13], s[4:5]
	s_cbranch_execz .LBB128_102
; %bb.99:                               ;   in Loop: Header=BB128_2 Depth=1
	s_mov_b64 s[14:15], 0
	v_mov_b32_e32 v6, v72
	v_mov_b32_e32 v2, v73
.LBB128_100:                            ;   Parent Loop BB128_2 Depth=1
                                        ; =>  This Inner Loop Header: Depth=2
	v_sub_u32_e32 v3, v2, v6
	v_lshrrev_b32_e32 v4, 31, v3
	v_add_u32_e32 v3, v3, v4
	v_ashrrev_i32_e32 v3, 1, v3
	v_add_u32_e32 v3, v3, v6
	v_lshl_add_u32 v4, v3, 3, v70
	v_xad_u32 v5, v3, -1, v67
	v_lshl_add_u32 v7, v5, 3, v71
	ds_read_b64 v[4:5], v4
	ds_read_b64 v[8:9], v7
	v_add_u32_e32 v7, 1, v3
	s_waitcnt lgkmcnt(0)
	v_cmp_lt_i64_e64 s[10:11], v[8:9], v[4:5]
	s_nop 1
	v_cndmask_b32_e64 v2, v2, v3, s[10:11]
	v_cndmask_b32_e64 v6, v7, v6, s[10:11]
	v_cmp_ge_i32_e64 s[10:11], v6, v2
	s_or_b64 s[14:15], s[10:11], s[14:15]
	s_andn2_b64 exec, exec, s[14:15]
	s_cbranch_execnz .LBB128_100
; %bb.101:                              ;   in Loop: Header=BB128_2 Depth=1
	s_or_b64 exec, exec, s[14:15]
.LBB128_102:                            ;   in Loop: Header=BB128_2 Depth=1
	s_or_b64 exec, exec, s[12:13]
	v_sub_u32_e32 v10, v74, v6
	v_lshl_add_u32 v8, v6, 3, v70
	v_lshlrev_b32_e32 v12, 3, v10
	ds_read_b64 v[2:3], v8
	ds_read_b64 v[4:5], v12
	v_add_u32_e32 v11, v6, v66
	v_cmp_le_i32_e64 s[12:13], v68, v11
	v_cmp_gt_i32_e64 s[10:11], v69, v10
                                        ; implicit-def: $vgpr6_vgpr7
	s_waitcnt lgkmcnt(0)
	v_cmp_lt_i64_e64 s[14:15], v[4:5], v[2:3]
	s_or_b64 s[12:13], s[12:13], s[14:15]
	s_and_b64 s[10:11], s[10:11], s[12:13]
	s_xor_b64 s[12:13], s[10:11], -1
	s_and_saveexec_b64 s[14:15], s[12:13]
	s_xor_b64 s[12:13], exec, s[14:15]
	s_cbranch_execz .LBB128_104
; %bb.103:                              ;   in Loop: Header=BB128_2 Depth=1
	ds_read_b64 v[6:7], v8 offset:8
                                        ; implicit-def: $vgpr12
.LBB128_104:                            ;   in Loop: Header=BB128_2 Depth=1
	s_or_saveexec_b64 s[12:13], s[12:13]
	v_mov_b64_e32 v[8:9], v[4:5]
	s_xor_b64 exec, exec, s[12:13]
	s_cbranch_execz .LBB128_106
; %bb.105:                              ;   in Loop: Header=BB128_2 Depth=1
	ds_read_b64 v[8:9], v12 offset:8
	s_waitcnt lgkmcnt(1)
	v_mov_b64_e32 v[6:7], v[2:3]
.LBB128_106:                            ;   in Loop: Header=BB128_2 Depth=1
	s_or_b64 exec, exec, s[12:13]
	v_add_u32_e32 v13, 1, v11
	v_add_u32_e32 v12, 1, v10
	v_cndmask_b32_e64 v15, v13, v11, s[10:11]
	v_cndmask_b32_e64 v14, v10, v12, s[10:11]
	v_cmp_ge_i32_e64 s[14:15], v15, v68
	s_waitcnt lgkmcnt(0)
	v_cmp_lt_i64_e64 s[16:17], v[8:9], v[6:7]
	v_cmp_lt_i32_e64 s[12:13], v14, v69
	s_or_b64 s[14:15], s[14:15], s[16:17]
	s_and_b64 s[12:13], s[12:13], s[14:15]
	s_xor_b64 s[14:15], s[12:13], -1
                                        ; implicit-def: $vgpr10_vgpr11
	s_and_saveexec_b64 s[16:17], s[14:15]
	s_xor_b64 s[14:15], exec, s[16:17]
	s_cbranch_execz .LBB128_108
; %bb.107:                              ;   in Loop: Header=BB128_2 Depth=1
	v_lshlrev_b32_e32 v10, 3, v15
	ds_read_b64 v[10:11], v10 offset:8
.LBB128_108:                            ;   in Loop: Header=BB128_2 Depth=1
	s_or_saveexec_b64 s[14:15], s[14:15]
	v_mov_b64_e32 v[12:13], v[8:9]
	s_xor_b64 exec, exec, s[14:15]
	s_cbranch_execz .LBB128_110
; %bb.109:                              ;   in Loop: Header=BB128_2 Depth=1
	s_waitcnt lgkmcnt(0)
	v_lshlrev_b32_e32 v10, 3, v14
	ds_read_b64 v[12:13], v10 offset:8
	v_mov_b64_e32 v[10:11], v[6:7]
.LBB128_110:                            ;   in Loop: Header=BB128_2 Depth=1
	s_or_b64 exec, exec, s[14:15]
	v_add_u32_e32 v17, 1, v15
	v_add_u32_e32 v16, 1, v14
	v_cndmask_b32_e64 v19, v17, v15, s[12:13]
	v_cndmask_b32_e64 v18, v14, v16, s[12:13]
	v_cmp_ge_i32_e64 s[16:17], v19, v68
	s_waitcnt lgkmcnt(0)
	v_cmp_lt_i64_e64 s[18:19], v[12:13], v[10:11]
	v_cmp_lt_i32_e64 s[14:15], v18, v69
	s_or_b64 s[16:17], s[16:17], s[18:19]
	s_and_b64 s[14:15], s[14:15], s[16:17]
	s_xor_b64 s[16:17], s[14:15], -1
                                        ; implicit-def: $vgpr14_vgpr15
	s_and_saveexec_b64 s[18:19], s[16:17]
	s_xor_b64 s[16:17], exec, s[18:19]
	s_cbranch_execz .LBB128_112
; %bb.111:                              ;   in Loop: Header=BB128_2 Depth=1
	v_lshlrev_b32_e32 v14, 3, v19
	ds_read_b64 v[14:15], v14 offset:8
.LBB128_112:                            ;   in Loop: Header=BB128_2 Depth=1
	s_or_saveexec_b64 s[16:17], s[16:17]
	v_mov_b64_e32 v[16:17], v[12:13]
	s_xor_b64 exec, exec, s[16:17]
	s_cbranch_execz .LBB128_114
; %bb.113:                              ;   in Loop: Header=BB128_2 Depth=1
	s_waitcnt lgkmcnt(0)
	v_lshlrev_b32_e32 v14, 3, v18
	ds_read_b64 v[16:17], v14 offset:8
	v_mov_b64_e32 v[14:15], v[10:11]
.LBB128_114:                            ;   in Loop: Header=BB128_2 Depth=1
	s_or_b64 exec, exec, s[16:17]
	v_add_u32_e32 v21, 1, v19
	v_add_u32_e32 v20, 1, v18
	v_cndmask_b32_e64 v23, v21, v19, s[14:15]
	v_cndmask_b32_e64 v22, v18, v20, s[14:15]
	v_cmp_ge_i32_e64 s[18:19], v23, v68
	s_waitcnt lgkmcnt(0)
	v_cmp_lt_i64_e64 s[20:21], v[16:17], v[14:15]
	v_cmp_lt_i32_e64 s[16:17], v22, v69
	s_or_b64 s[18:19], s[18:19], s[20:21]
	s_and_b64 s[16:17], s[16:17], s[18:19]
	s_xor_b64 s[18:19], s[16:17], -1
                                        ; implicit-def: $vgpr18_vgpr19
	s_and_saveexec_b64 s[20:21], s[18:19]
	s_xor_b64 s[18:19], exec, s[20:21]
	s_cbranch_execz .LBB128_116
; %bb.115:                              ;   in Loop: Header=BB128_2 Depth=1
	v_lshlrev_b32_e32 v18, 3, v23
	ds_read_b64 v[18:19], v18 offset:8
.LBB128_116:                            ;   in Loop: Header=BB128_2 Depth=1
	s_or_saveexec_b64 s[18:19], s[18:19]
	v_mov_b64_e32 v[20:21], v[16:17]
	s_xor_b64 exec, exec, s[18:19]
	s_cbranch_execz .LBB128_118
; %bb.117:                              ;   in Loop: Header=BB128_2 Depth=1
	s_waitcnt lgkmcnt(0)
	v_lshlrev_b32_e32 v18, 3, v22
	ds_read_b64 v[20:21], v18 offset:8
	v_mov_b64_e32 v[18:19], v[14:15]
.LBB128_118:                            ;   in Loop: Header=BB128_2 Depth=1
	s_or_b64 exec, exec, s[18:19]
	v_add_u32_e32 v25, 1, v23
	v_add_u32_e32 v24, 1, v22
	v_cndmask_b32_e64 v27, v25, v23, s[16:17]
	v_cndmask_b32_e64 v26, v22, v24, s[16:17]
	v_cmp_ge_i32_e64 s[20:21], v27, v68
	s_waitcnt lgkmcnt(0)
	v_cmp_lt_i64_e64 s[22:23], v[20:21], v[18:19]
	v_cmp_lt_i32_e64 s[18:19], v26, v69
	s_or_b64 s[20:21], s[20:21], s[22:23]
	s_and_b64 s[18:19], s[18:19], s[20:21]
	s_xor_b64 s[20:21], s[18:19], -1
                                        ; implicit-def: $vgpr22_vgpr23
	s_and_saveexec_b64 s[22:23], s[20:21]
	s_xor_b64 s[20:21], exec, s[22:23]
	s_cbranch_execz .LBB128_120
; %bb.119:                              ;   in Loop: Header=BB128_2 Depth=1
	v_lshlrev_b32_e32 v22, 3, v27
	ds_read_b64 v[22:23], v22 offset:8
.LBB128_120:                            ;   in Loop: Header=BB128_2 Depth=1
	s_or_saveexec_b64 s[20:21], s[20:21]
	v_mov_b64_e32 v[24:25], v[20:21]
	s_xor_b64 exec, exec, s[20:21]
	s_cbranch_execz .LBB128_122
; %bb.121:                              ;   in Loop: Header=BB128_2 Depth=1
	s_waitcnt lgkmcnt(0)
	v_lshlrev_b32_e32 v22, 3, v26
	ds_read_b64 v[24:25], v22 offset:8
	v_mov_b64_e32 v[22:23], v[18:19]
.LBB128_122:                            ;   in Loop: Header=BB128_2 Depth=1
	s_or_b64 exec, exec, s[20:21]
	v_add_u32_e32 v29, 1, v27
	v_add_u32_e32 v28, 1, v26
	v_cndmask_b32_e64 v31, v29, v27, s[18:19]
	v_cndmask_b32_e64 v30, v26, v28, s[18:19]
	v_cmp_ge_i32_e64 s[22:23], v31, v68
	s_waitcnt lgkmcnt(0)
	v_cmp_lt_i64_e64 s[24:25], v[24:25], v[22:23]
	v_cmp_lt_i32_e64 s[20:21], v30, v69
	s_or_b64 s[22:23], s[22:23], s[24:25]
	s_and_b64 s[20:21], s[20:21], s[22:23]
	s_xor_b64 s[22:23], s[20:21], -1
                                        ; implicit-def: $vgpr26_vgpr27
	s_and_saveexec_b64 s[24:25], s[22:23]
	s_xor_b64 s[22:23], exec, s[24:25]
	s_cbranch_execz .LBB128_124
; %bb.123:                              ;   in Loop: Header=BB128_2 Depth=1
	v_lshlrev_b32_e32 v26, 3, v31
	ds_read_b64 v[26:27], v26 offset:8
.LBB128_124:                            ;   in Loop: Header=BB128_2 Depth=1
	s_or_saveexec_b64 s[22:23], s[22:23]
	v_mov_b64_e32 v[28:29], v[24:25]
	s_xor_b64 exec, exec, s[22:23]
	s_cbranch_execz .LBB128_126
; %bb.125:                              ;   in Loop: Header=BB128_2 Depth=1
	s_waitcnt lgkmcnt(0)
	v_lshlrev_b32_e32 v26, 3, v30
	ds_read_b64 v[28:29], v26 offset:8
	v_mov_b64_e32 v[26:27], v[22:23]
.LBB128_126:                            ;   in Loop: Header=BB128_2 Depth=1
	s_or_b64 exec, exec, s[22:23]
	v_add_u32_e32 v33, 1, v31
	v_add_u32_e32 v32, 1, v30
	v_cndmask_b32_e64 v35, v33, v31, s[20:21]
	v_cndmask_b32_e64 v34, v30, v32, s[20:21]
	v_cmp_ge_i32_e64 s[24:25], v35, v68
	s_waitcnt lgkmcnt(0)
	v_cmp_lt_i64_e64 s[26:27], v[28:29], v[26:27]
	v_cmp_lt_i32_e64 s[22:23], v34, v69
	s_or_b64 s[24:25], s[24:25], s[26:27]
	s_and_b64 s[22:23], s[22:23], s[24:25]
	s_xor_b64 s[24:25], s[22:23], -1
                                        ; implicit-def: $vgpr30_vgpr31
	s_and_saveexec_b64 s[26:27], s[24:25]
	s_xor_b64 s[24:25], exec, s[26:27]
	s_cbranch_execz .LBB128_128
; %bb.127:                              ;   in Loop: Header=BB128_2 Depth=1
	v_lshlrev_b32_e32 v30, 3, v35
	ds_read_b64 v[30:31], v30 offset:8
.LBB128_128:                            ;   in Loop: Header=BB128_2 Depth=1
	s_or_saveexec_b64 s[24:25], s[24:25]
	v_mov_b64_e32 v[32:33], v[28:29]
	s_xor_b64 exec, exec, s[24:25]
	s_cbranch_execz .LBB128_130
; %bb.129:                              ;   in Loop: Header=BB128_2 Depth=1
	s_waitcnt lgkmcnt(0)
	v_lshlrev_b32_e32 v30, 3, v34
	ds_read_b64 v[32:33], v30 offset:8
	v_mov_b64_e32 v[30:31], v[26:27]
.LBB128_130:                            ;   in Loop: Header=BB128_2 Depth=1
	s_or_b64 exec, exec, s[24:25]
	v_cndmask_b32_e64 v27, v27, v29, s[22:23]
	v_add_u32_e32 v29, 1, v35
	v_cndmask_b32_e64 v26, v26, v28, s[22:23]
	v_add_u32_e32 v28, 1, v34
	v_cndmask_b32_e64 v29, v29, v35, s[22:23]
	v_cndmask_b32_e64 v28, v34, v28, s[22:23]
	;; [unrolled: 1-line block ×6, first 2 shown]
	v_cmp_ge_i32_e64 s[12:13], v29, v68
	s_waitcnt lgkmcnt(0)
	v_cmp_lt_i64_e64 s[14:15], v[32:33], v[30:31]
	v_cndmask_b32_e64 v3, v3, v5, s[10:11]
	v_cndmask_b32_e64 v2, v2, v4, s[10:11]
	v_cmp_lt_i32_e64 s[10:11], v28, v69
	s_or_b64 s[12:13], s[12:13], s[14:15]
	s_and_b64 s[10:11], s[10:11], s[12:13]
	v_cndmask_b32_e64 v23, v23, v25, s[20:21]
	v_cndmask_b32_e64 v22, v22, v24, s[20:21]
	;; [unrolled: 1-line block ×8, first 2 shown]
	s_waitcnt lgkmcnt(0)
	; wave barrier
	ds_write2_b64 v38, v[2:3], v[6:7] offset1:1
	ds_write2_b64 v38, v[10:11], v[14:15] offset0:2 offset1:3
	ds_write2_b64 v38, v[18:19], v[22:23] offset0:4 offset1:5
	;; [unrolled: 1-line block ×3, first 2 shown]
	v_mov_b32_e32 v6, v82
	s_waitcnt lgkmcnt(0)
	; wave barrier
	s_waitcnt lgkmcnt(0)
	s_and_saveexec_b64 s[12:13], s[6:7]
	s_cbranch_execz .LBB128_134
; %bb.131:                              ;   in Loop: Header=BB128_2 Depth=1
	s_mov_b64 s[14:15], 0
	v_mov_b32_e32 v6, v82
	v_mov_b32_e32 v2, v83
.LBB128_132:                            ;   Parent Loop BB128_2 Depth=1
                                        ; =>  This Inner Loop Header: Depth=2
	v_sub_u32_e32 v3, v2, v6
	v_lshrrev_b32_e32 v4, 31, v3
	v_add_u32_e32 v3, v3, v4
	v_ashrrev_i32_e32 v3, 1, v3
	v_add_u32_e32 v3, v3, v6
	v_lshl_add_u32 v4, v3, 3, v80
	v_xad_u32 v5, v3, -1, v77
	v_lshl_add_u32 v7, v5, 3, v81
	ds_read_b64 v[4:5], v4
	ds_read_b64 v[8:9], v7
	v_add_u32_e32 v7, 1, v3
	s_waitcnt lgkmcnt(0)
	v_cmp_lt_i64_e64 s[10:11], v[8:9], v[4:5]
	s_nop 1
	v_cndmask_b32_e64 v2, v2, v3, s[10:11]
	v_cndmask_b32_e64 v6, v7, v6, s[10:11]
	v_cmp_ge_i32_e64 s[10:11], v6, v2
	s_or_b64 s[14:15], s[10:11], s[14:15]
	s_andn2_b64 exec, exec, s[14:15]
	s_cbranch_execnz .LBB128_132
; %bb.133:                              ;   in Loop: Header=BB128_2 Depth=1
	s_or_b64 exec, exec, s[14:15]
.LBB128_134:                            ;   in Loop: Header=BB128_2 Depth=1
	s_or_b64 exec, exec, s[12:13]
	v_sub_u32_e32 v10, v84, v6
	v_lshl_add_u32 v8, v6, 3, v80
	v_lshlrev_b32_e32 v12, 3, v10
	ds_read_b64 v[2:3], v8
	ds_read_b64 v[4:5], v12
	v_add_u32_e32 v11, v6, v76
	v_cmp_le_i32_e64 s[12:13], v78, v11
	v_cmp_gt_i32_e64 s[10:11], v79, v10
                                        ; implicit-def: $vgpr6_vgpr7
	s_waitcnt lgkmcnt(0)
	v_cmp_lt_i64_e64 s[14:15], v[4:5], v[2:3]
	s_or_b64 s[12:13], s[12:13], s[14:15]
	s_and_b64 s[10:11], s[10:11], s[12:13]
	s_xor_b64 s[12:13], s[10:11], -1
	s_and_saveexec_b64 s[14:15], s[12:13]
	s_xor_b64 s[12:13], exec, s[14:15]
	s_cbranch_execz .LBB128_136
; %bb.135:                              ;   in Loop: Header=BB128_2 Depth=1
	ds_read_b64 v[6:7], v8 offset:8
                                        ; implicit-def: $vgpr12
.LBB128_136:                            ;   in Loop: Header=BB128_2 Depth=1
	s_or_saveexec_b64 s[12:13], s[12:13]
	v_mov_b64_e32 v[8:9], v[4:5]
	s_xor_b64 exec, exec, s[12:13]
	s_cbranch_execz .LBB128_138
; %bb.137:                              ;   in Loop: Header=BB128_2 Depth=1
	ds_read_b64 v[8:9], v12 offset:8
	s_waitcnt lgkmcnt(1)
	v_mov_b64_e32 v[6:7], v[2:3]
.LBB128_138:                            ;   in Loop: Header=BB128_2 Depth=1
	s_or_b64 exec, exec, s[12:13]
	v_add_u32_e32 v13, 1, v11
	v_add_u32_e32 v12, 1, v10
	v_cndmask_b32_e64 v15, v13, v11, s[10:11]
	v_cndmask_b32_e64 v14, v10, v12, s[10:11]
	v_cmp_ge_i32_e64 s[14:15], v15, v78
	s_waitcnt lgkmcnt(0)
	v_cmp_lt_i64_e64 s[16:17], v[8:9], v[6:7]
	v_cmp_lt_i32_e64 s[12:13], v14, v79
	s_or_b64 s[14:15], s[14:15], s[16:17]
	s_and_b64 s[12:13], s[12:13], s[14:15]
	s_xor_b64 s[14:15], s[12:13], -1
                                        ; implicit-def: $vgpr10_vgpr11
	s_and_saveexec_b64 s[16:17], s[14:15]
	s_xor_b64 s[14:15], exec, s[16:17]
	s_cbranch_execz .LBB128_140
; %bb.139:                              ;   in Loop: Header=BB128_2 Depth=1
	v_lshlrev_b32_e32 v10, 3, v15
	ds_read_b64 v[10:11], v10 offset:8
.LBB128_140:                            ;   in Loop: Header=BB128_2 Depth=1
	s_or_saveexec_b64 s[14:15], s[14:15]
	v_mov_b64_e32 v[12:13], v[8:9]
	s_xor_b64 exec, exec, s[14:15]
	s_cbranch_execz .LBB128_142
; %bb.141:                              ;   in Loop: Header=BB128_2 Depth=1
	s_waitcnt lgkmcnt(0)
	v_lshlrev_b32_e32 v10, 3, v14
	ds_read_b64 v[12:13], v10 offset:8
	v_mov_b64_e32 v[10:11], v[6:7]
.LBB128_142:                            ;   in Loop: Header=BB128_2 Depth=1
	s_or_b64 exec, exec, s[14:15]
	v_add_u32_e32 v17, 1, v15
	v_add_u32_e32 v16, 1, v14
	v_cndmask_b32_e64 v19, v17, v15, s[12:13]
	v_cndmask_b32_e64 v18, v14, v16, s[12:13]
	v_cmp_ge_i32_e64 s[16:17], v19, v78
	s_waitcnt lgkmcnt(0)
	v_cmp_lt_i64_e64 s[18:19], v[12:13], v[10:11]
	v_cmp_lt_i32_e64 s[14:15], v18, v79
	s_or_b64 s[16:17], s[16:17], s[18:19]
	s_and_b64 s[14:15], s[14:15], s[16:17]
	s_xor_b64 s[16:17], s[14:15], -1
                                        ; implicit-def: $vgpr14_vgpr15
	s_and_saveexec_b64 s[18:19], s[16:17]
	s_xor_b64 s[16:17], exec, s[18:19]
	s_cbranch_execz .LBB128_144
; %bb.143:                              ;   in Loop: Header=BB128_2 Depth=1
	v_lshlrev_b32_e32 v14, 3, v19
	ds_read_b64 v[14:15], v14 offset:8
.LBB128_144:                            ;   in Loop: Header=BB128_2 Depth=1
	s_or_saveexec_b64 s[16:17], s[16:17]
	v_mov_b64_e32 v[16:17], v[12:13]
	s_xor_b64 exec, exec, s[16:17]
	s_cbranch_execz .LBB128_146
; %bb.145:                              ;   in Loop: Header=BB128_2 Depth=1
	s_waitcnt lgkmcnt(0)
	v_lshlrev_b32_e32 v14, 3, v18
	ds_read_b64 v[16:17], v14 offset:8
	v_mov_b64_e32 v[14:15], v[10:11]
.LBB128_146:                            ;   in Loop: Header=BB128_2 Depth=1
	s_or_b64 exec, exec, s[16:17]
	v_add_u32_e32 v21, 1, v19
	v_add_u32_e32 v20, 1, v18
	v_cndmask_b32_e64 v23, v21, v19, s[14:15]
	v_cndmask_b32_e64 v22, v18, v20, s[14:15]
	v_cmp_ge_i32_e64 s[18:19], v23, v78
	s_waitcnt lgkmcnt(0)
	v_cmp_lt_i64_e64 s[20:21], v[16:17], v[14:15]
	v_cmp_lt_i32_e64 s[16:17], v22, v79
	s_or_b64 s[18:19], s[18:19], s[20:21]
	s_and_b64 s[16:17], s[16:17], s[18:19]
	s_xor_b64 s[18:19], s[16:17], -1
                                        ; implicit-def: $vgpr18_vgpr19
	s_and_saveexec_b64 s[20:21], s[18:19]
	s_xor_b64 s[18:19], exec, s[20:21]
	s_cbranch_execz .LBB128_148
; %bb.147:                              ;   in Loop: Header=BB128_2 Depth=1
	v_lshlrev_b32_e32 v18, 3, v23
	ds_read_b64 v[18:19], v18 offset:8
.LBB128_148:                            ;   in Loop: Header=BB128_2 Depth=1
	s_or_saveexec_b64 s[18:19], s[18:19]
	v_mov_b64_e32 v[20:21], v[16:17]
	s_xor_b64 exec, exec, s[18:19]
	s_cbranch_execz .LBB128_150
; %bb.149:                              ;   in Loop: Header=BB128_2 Depth=1
	s_waitcnt lgkmcnt(0)
	v_lshlrev_b32_e32 v18, 3, v22
	ds_read_b64 v[20:21], v18 offset:8
	v_mov_b64_e32 v[18:19], v[14:15]
.LBB128_150:                            ;   in Loop: Header=BB128_2 Depth=1
	s_or_b64 exec, exec, s[18:19]
	v_add_u32_e32 v25, 1, v23
	v_add_u32_e32 v24, 1, v22
	v_cndmask_b32_e64 v27, v25, v23, s[16:17]
	v_cndmask_b32_e64 v26, v22, v24, s[16:17]
	v_cmp_ge_i32_e64 s[20:21], v27, v78
	s_waitcnt lgkmcnt(0)
	v_cmp_lt_i64_e64 s[22:23], v[20:21], v[18:19]
	v_cmp_lt_i32_e64 s[18:19], v26, v79
	s_or_b64 s[20:21], s[20:21], s[22:23]
	s_and_b64 s[18:19], s[18:19], s[20:21]
	s_xor_b64 s[20:21], s[18:19], -1
                                        ; implicit-def: $vgpr22_vgpr23
	s_and_saveexec_b64 s[22:23], s[20:21]
	s_xor_b64 s[20:21], exec, s[22:23]
	s_cbranch_execz .LBB128_152
; %bb.151:                              ;   in Loop: Header=BB128_2 Depth=1
	v_lshlrev_b32_e32 v22, 3, v27
	ds_read_b64 v[22:23], v22 offset:8
.LBB128_152:                            ;   in Loop: Header=BB128_2 Depth=1
	s_or_saveexec_b64 s[20:21], s[20:21]
	v_mov_b64_e32 v[24:25], v[20:21]
	s_xor_b64 exec, exec, s[20:21]
	s_cbranch_execz .LBB128_154
; %bb.153:                              ;   in Loop: Header=BB128_2 Depth=1
	s_waitcnt lgkmcnt(0)
	v_lshlrev_b32_e32 v22, 3, v26
	ds_read_b64 v[24:25], v22 offset:8
	v_mov_b64_e32 v[22:23], v[18:19]
.LBB128_154:                            ;   in Loop: Header=BB128_2 Depth=1
	s_or_b64 exec, exec, s[20:21]
	v_add_u32_e32 v29, 1, v27
	v_add_u32_e32 v28, 1, v26
	v_cndmask_b32_e64 v31, v29, v27, s[18:19]
	v_cndmask_b32_e64 v30, v26, v28, s[18:19]
	v_cmp_ge_i32_e64 s[22:23], v31, v78
	s_waitcnt lgkmcnt(0)
	v_cmp_lt_i64_e64 s[24:25], v[24:25], v[22:23]
	v_cmp_lt_i32_e64 s[20:21], v30, v79
	s_or_b64 s[22:23], s[22:23], s[24:25]
	s_and_b64 s[20:21], s[20:21], s[22:23]
	s_xor_b64 s[22:23], s[20:21], -1
                                        ; implicit-def: $vgpr26_vgpr27
	s_and_saveexec_b64 s[24:25], s[22:23]
	s_xor_b64 s[22:23], exec, s[24:25]
	s_cbranch_execz .LBB128_156
; %bb.155:                              ;   in Loop: Header=BB128_2 Depth=1
	v_lshlrev_b32_e32 v26, 3, v31
	ds_read_b64 v[26:27], v26 offset:8
.LBB128_156:                            ;   in Loop: Header=BB128_2 Depth=1
	s_or_saveexec_b64 s[22:23], s[22:23]
	v_mov_b64_e32 v[28:29], v[24:25]
	s_xor_b64 exec, exec, s[22:23]
	s_cbranch_execz .LBB128_158
; %bb.157:                              ;   in Loop: Header=BB128_2 Depth=1
	s_waitcnt lgkmcnt(0)
	v_lshlrev_b32_e32 v26, 3, v30
	ds_read_b64 v[28:29], v26 offset:8
	v_mov_b64_e32 v[26:27], v[22:23]
.LBB128_158:                            ;   in Loop: Header=BB128_2 Depth=1
	s_or_b64 exec, exec, s[22:23]
	v_add_u32_e32 v33, 1, v31
	v_add_u32_e32 v32, 1, v30
	v_cndmask_b32_e64 v35, v33, v31, s[20:21]
	v_cndmask_b32_e64 v34, v30, v32, s[20:21]
	v_cmp_ge_i32_e64 s[24:25], v35, v78
	s_waitcnt lgkmcnt(0)
	v_cmp_lt_i64_e64 s[26:27], v[28:29], v[26:27]
	v_cmp_lt_i32_e64 s[22:23], v34, v79
	s_or_b64 s[24:25], s[24:25], s[26:27]
	s_and_b64 s[22:23], s[22:23], s[24:25]
	s_xor_b64 s[24:25], s[22:23], -1
                                        ; implicit-def: $vgpr30_vgpr31
	s_and_saveexec_b64 s[26:27], s[24:25]
	s_xor_b64 s[24:25], exec, s[26:27]
	s_cbranch_execz .LBB128_160
; %bb.159:                              ;   in Loop: Header=BB128_2 Depth=1
	v_lshlrev_b32_e32 v30, 3, v35
	ds_read_b64 v[30:31], v30 offset:8
.LBB128_160:                            ;   in Loop: Header=BB128_2 Depth=1
	s_or_saveexec_b64 s[24:25], s[24:25]
	v_mov_b64_e32 v[32:33], v[28:29]
	s_xor_b64 exec, exec, s[24:25]
	s_cbranch_execz .LBB128_162
; %bb.161:                              ;   in Loop: Header=BB128_2 Depth=1
	s_waitcnt lgkmcnt(0)
	v_lshlrev_b32_e32 v30, 3, v34
	ds_read_b64 v[32:33], v30 offset:8
	v_mov_b64_e32 v[30:31], v[26:27]
.LBB128_162:                            ;   in Loop: Header=BB128_2 Depth=1
	s_or_b64 exec, exec, s[24:25]
	v_cndmask_b32_e64 v27, v27, v29, s[22:23]
	v_add_u32_e32 v29, 1, v35
	v_cndmask_b32_e64 v26, v26, v28, s[22:23]
	v_add_u32_e32 v28, 1, v34
	v_cndmask_b32_e64 v29, v29, v35, s[22:23]
	v_cndmask_b32_e64 v28, v34, v28, s[22:23]
	v_cndmask_b32_e64 v11, v11, v13, s[14:15]
	v_cndmask_b32_e64 v10, v10, v12, s[14:15]
	v_cndmask_b32_e64 v7, v7, v9, s[12:13]
	v_cndmask_b32_e64 v6, v6, v8, s[12:13]
	v_cmp_ge_i32_e64 s[12:13], v29, v78
	s_waitcnt lgkmcnt(0)
	v_cmp_lt_i64_e64 s[14:15], v[32:33], v[30:31]
	v_cndmask_b32_e64 v3, v3, v5, s[10:11]
	v_cndmask_b32_e64 v2, v2, v4, s[10:11]
	v_cmp_lt_i32_e64 s[10:11], v28, v79
	s_or_b64 s[12:13], s[12:13], s[14:15]
	s_and_b64 s[10:11], s[10:11], s[12:13]
	v_cndmask_b32_e64 v23, v23, v25, s[20:21]
	v_cndmask_b32_e64 v22, v22, v24, s[20:21]
	;; [unrolled: 1-line block ×8, first 2 shown]
	s_waitcnt lgkmcnt(0)
	; wave barrier
	ds_write2_b64 v38, v[2:3], v[6:7] offset1:1
	ds_write2_b64 v38, v[10:11], v[14:15] offset0:2 offset1:3
	ds_write2_b64 v38, v[18:19], v[22:23] offset0:4 offset1:5
	;; [unrolled: 1-line block ×3, first 2 shown]
	v_mov_b32_e32 v10, v86
	s_waitcnt lgkmcnt(0)
	; wave barrier
	s_waitcnt lgkmcnt(0)
	s_and_saveexec_b64 s[12:13], s[8:9]
	s_cbranch_execz .LBB128_166
; %bb.163:                              ;   in Loop: Header=BB128_2 Depth=1
	s_mov_b64 s[14:15], 0
	v_mov_b32_e32 v10, v86
	v_mov_b32_e32 v2, v87
.LBB128_164:                            ;   Parent Loop BB128_2 Depth=1
                                        ; =>  This Inner Loop Header: Depth=2
	v_sub_u32_e32 v3, v2, v10
	v_lshrrev_b32_e32 v4, 31, v3
	v_add_u32_e32 v3, v3, v4
	v_ashrrev_i32_e32 v3, 1, v3
	v_add_u32_e32 v3, v3, v10
	v_xad_u32 v5, v3, -1, v1
	v_lshlrev_b32_e32 v4, 3, v3
	v_lshl_add_u32 v6, v5, 3, v85
	ds_read_b64 v[4:5], v4
	ds_read_b64 v[6:7], v6
	v_add_u32_e32 v8, 1, v3
	s_waitcnt lgkmcnt(0)
	v_cmp_lt_i64_e64 s[10:11], v[6:7], v[4:5]
	s_nop 1
	v_cndmask_b32_e64 v2, v2, v3, s[10:11]
	v_cndmask_b32_e64 v10, v8, v10, s[10:11]
	v_cmp_ge_i32_e64 s[10:11], v10, v2
	s_or_b64 s[14:15], s[10:11], s[14:15]
	s_andn2_b64 exec, exec, s[14:15]
	s_cbranch_execnz .LBB128_164
; %bb.165:                              ;   in Loop: Header=BB128_2 Depth=1
	s_or_b64 exec, exec, s[14:15]
.LBB128_166:                            ;   in Loop: Header=BB128_2 Depth=1
	s_or_b64 exec, exec, s[12:13]
	v_sub_u32_e32 v11, v88, v10
	v_lshlrev_b32_e32 v8, 3, v10
	v_lshlrev_b32_e32 v12, 3, v11
	ds_read_b64 v[2:3], v8
	ds_read_b64 v[4:5], v12
	v_cmp_le_i32_e64 s[12:13], v75, v10
	v_cmp_gt_i32_e64 s[10:11], s28, v11
                                        ; implicit-def: $vgpr6_vgpr7
	s_waitcnt lgkmcnt(0)
	v_cmp_lt_i64_e64 s[14:15], v[4:5], v[2:3]
	s_or_b64 s[12:13], s[12:13], s[14:15]
	s_and_b64 s[10:11], s[10:11], s[12:13]
	s_xor_b64 s[12:13], s[10:11], -1
	s_and_saveexec_b64 s[14:15], s[12:13]
	s_xor_b64 s[12:13], exec, s[14:15]
	s_cbranch_execz .LBB128_168
; %bb.167:                              ;   in Loop: Header=BB128_2 Depth=1
	ds_read_b64 v[6:7], v8 offset:8
                                        ; implicit-def: $vgpr12
.LBB128_168:                            ;   in Loop: Header=BB128_2 Depth=1
	s_or_saveexec_b64 s[12:13], s[12:13]
	v_mov_b64_e32 v[8:9], v[4:5]
	s_xor_b64 exec, exec, s[12:13]
	s_cbranch_execz .LBB128_170
; %bb.169:                              ;   in Loop: Header=BB128_2 Depth=1
	ds_read_b64 v[8:9], v12 offset:8
	s_waitcnt lgkmcnt(1)
	v_mov_b64_e32 v[6:7], v[2:3]
.LBB128_170:                            ;   in Loop: Header=BB128_2 Depth=1
	s_or_b64 exec, exec, s[12:13]
	v_add_u32_e32 v13, 1, v10
	v_add_u32_e32 v12, 1, v11
	v_cndmask_b32_e64 v15, v13, v10, s[10:11]
	v_cndmask_b32_e64 v14, v11, v12, s[10:11]
	v_cmp_ge_i32_e64 s[14:15], v15, v75
	s_waitcnt lgkmcnt(0)
	v_cmp_lt_i64_e64 s[16:17], v[8:9], v[6:7]
	v_cmp_gt_i32_e64 s[12:13], s28, v14
	s_or_b64 s[14:15], s[14:15], s[16:17]
	s_and_b64 s[12:13], s[12:13], s[14:15]
	s_xor_b64 s[14:15], s[12:13], -1
                                        ; implicit-def: $vgpr10_vgpr11
	s_and_saveexec_b64 s[16:17], s[14:15]
	s_xor_b64 s[14:15], exec, s[16:17]
	s_cbranch_execz .LBB128_172
; %bb.171:                              ;   in Loop: Header=BB128_2 Depth=1
	v_lshlrev_b32_e32 v10, 3, v15
	ds_read_b64 v[10:11], v10 offset:8
.LBB128_172:                            ;   in Loop: Header=BB128_2 Depth=1
	s_or_saveexec_b64 s[14:15], s[14:15]
	v_mov_b64_e32 v[12:13], v[8:9]
	s_xor_b64 exec, exec, s[14:15]
	s_cbranch_execz .LBB128_174
; %bb.173:                              ;   in Loop: Header=BB128_2 Depth=1
	s_waitcnt lgkmcnt(0)
	v_lshlrev_b32_e32 v10, 3, v14
	ds_read_b64 v[12:13], v10 offset:8
	v_mov_b64_e32 v[10:11], v[6:7]
.LBB128_174:                            ;   in Loop: Header=BB128_2 Depth=1
	s_or_b64 exec, exec, s[14:15]
	v_add_u32_e32 v17, 1, v15
	v_add_u32_e32 v16, 1, v14
	v_cndmask_b32_e64 v19, v17, v15, s[12:13]
	v_cndmask_b32_e64 v18, v14, v16, s[12:13]
	v_cmp_ge_i32_e64 s[16:17], v19, v75
	s_waitcnt lgkmcnt(0)
	v_cmp_lt_i64_e64 s[18:19], v[12:13], v[10:11]
	v_cmp_gt_i32_e64 s[14:15], s28, v18
	s_or_b64 s[16:17], s[16:17], s[18:19]
	s_and_b64 s[14:15], s[14:15], s[16:17]
	s_xor_b64 s[16:17], s[14:15], -1
                                        ; implicit-def: $vgpr14_vgpr15
	s_and_saveexec_b64 s[18:19], s[16:17]
	s_xor_b64 s[16:17], exec, s[18:19]
	s_cbranch_execz .LBB128_176
; %bb.175:                              ;   in Loop: Header=BB128_2 Depth=1
	v_lshlrev_b32_e32 v14, 3, v19
	ds_read_b64 v[14:15], v14 offset:8
.LBB128_176:                            ;   in Loop: Header=BB128_2 Depth=1
	s_or_saveexec_b64 s[16:17], s[16:17]
	v_mov_b64_e32 v[16:17], v[12:13]
	s_xor_b64 exec, exec, s[16:17]
	s_cbranch_execz .LBB128_178
; %bb.177:                              ;   in Loop: Header=BB128_2 Depth=1
	s_waitcnt lgkmcnt(0)
	v_lshlrev_b32_e32 v14, 3, v18
	ds_read_b64 v[16:17], v14 offset:8
	v_mov_b64_e32 v[14:15], v[10:11]
.LBB128_178:                            ;   in Loop: Header=BB128_2 Depth=1
	s_or_b64 exec, exec, s[16:17]
	v_add_u32_e32 v21, 1, v19
	v_add_u32_e32 v20, 1, v18
	v_cndmask_b32_e64 v23, v21, v19, s[14:15]
	v_cndmask_b32_e64 v22, v18, v20, s[14:15]
	v_cmp_ge_i32_e64 s[18:19], v23, v75
	s_waitcnt lgkmcnt(0)
	v_cmp_lt_i64_e64 s[20:21], v[16:17], v[14:15]
	v_cmp_gt_i32_e64 s[16:17], s28, v22
	s_or_b64 s[18:19], s[18:19], s[20:21]
	s_and_b64 s[16:17], s[16:17], s[18:19]
	s_xor_b64 s[18:19], s[16:17], -1
                                        ; implicit-def: $vgpr18_vgpr19
	s_and_saveexec_b64 s[20:21], s[18:19]
	s_xor_b64 s[18:19], exec, s[20:21]
	s_cbranch_execz .LBB128_180
; %bb.179:                              ;   in Loop: Header=BB128_2 Depth=1
	v_lshlrev_b32_e32 v18, 3, v23
	ds_read_b64 v[18:19], v18 offset:8
.LBB128_180:                            ;   in Loop: Header=BB128_2 Depth=1
	s_or_saveexec_b64 s[18:19], s[18:19]
	v_mov_b64_e32 v[20:21], v[16:17]
	s_xor_b64 exec, exec, s[18:19]
	s_cbranch_execz .LBB128_182
; %bb.181:                              ;   in Loop: Header=BB128_2 Depth=1
	s_waitcnt lgkmcnt(0)
	v_lshlrev_b32_e32 v18, 3, v22
	ds_read_b64 v[20:21], v18 offset:8
	v_mov_b64_e32 v[18:19], v[14:15]
.LBB128_182:                            ;   in Loop: Header=BB128_2 Depth=1
	s_or_b64 exec, exec, s[18:19]
	v_add_u32_e32 v25, 1, v23
	v_add_u32_e32 v24, 1, v22
	v_cndmask_b32_e64 v23, v25, v23, s[16:17]
	v_cndmask_b32_e64 v22, v22, v24, s[16:17]
	v_cmp_ge_i32_e64 s[20:21], v23, v75
	s_waitcnt lgkmcnt(0)
	v_cmp_lt_i64_e64 s[22:23], v[20:21], v[18:19]
	v_cmp_gt_i32_e64 s[18:19], s28, v22
	s_or_b64 s[20:21], s[20:21], s[22:23]
	s_and_b64 s[18:19], s[18:19], s[20:21]
	s_xor_b64 s[20:21], s[18:19], -1
                                        ; implicit-def: $vgpr26_vgpr27
	s_and_saveexec_b64 s[22:23], s[20:21]
	s_xor_b64 s[20:21], exec, s[22:23]
	s_cbranch_execz .LBB128_184
; %bb.183:                              ;   in Loop: Header=BB128_2 Depth=1
	v_lshlrev_b32_e32 v24, 3, v23
	ds_read_b64 v[26:27], v24 offset:8
.LBB128_184:                            ;   in Loop: Header=BB128_2 Depth=1
	s_or_saveexec_b64 s[20:21], s[20:21]
	v_mov_b64_e32 v[28:29], v[20:21]
	s_xor_b64 exec, exec, s[20:21]
	s_cbranch_execz .LBB128_186
; %bb.185:                              ;   in Loop: Header=BB128_2 Depth=1
	v_lshlrev_b32_e32 v24, 3, v22
	ds_read_b64 v[28:29], v24 offset:8
	s_waitcnt lgkmcnt(1)
	v_mov_b64_e32 v[26:27], v[18:19]
.LBB128_186:                            ;   in Loop: Header=BB128_2 Depth=1
	s_or_b64 exec, exec, s[20:21]
	v_add_u32_e32 v25, 1, v23
	v_add_u32_e32 v24, 1, v22
	v_cndmask_b32_e64 v23, v25, v23, s[18:19]
	v_cndmask_b32_e64 v22, v22, v24, s[18:19]
	v_cmp_ge_i32_e64 s[22:23], v23, v75
	s_waitcnt lgkmcnt(0)
	v_cmp_lt_i64_e64 s[24:25], v[28:29], v[26:27]
	v_cmp_gt_i32_e64 s[20:21], s28, v22
	s_or_b64 s[22:23], s[22:23], s[24:25]
	s_and_b64 s[20:21], s[20:21], s[22:23]
	s_xor_b64 s[22:23], s[20:21], -1
                                        ; implicit-def: $vgpr30_vgpr31
	s_and_saveexec_b64 s[24:25], s[22:23]
	s_xor_b64 s[22:23], exec, s[24:25]
	s_cbranch_execz .LBB128_188
; %bb.187:                              ;   in Loop: Header=BB128_2 Depth=1
	v_lshlrev_b32_e32 v24, 3, v23
	ds_read_b64 v[30:31], v24 offset:8
.LBB128_188:                            ;   in Loop: Header=BB128_2 Depth=1
	s_or_saveexec_b64 s[22:23], s[22:23]
	v_mov_b64_e32 v[32:33], v[28:29]
	s_xor_b64 exec, exec, s[22:23]
	s_cbranch_execz .LBB128_190
; %bb.189:                              ;   in Loop: Header=BB128_2 Depth=1
	v_lshlrev_b32_e32 v24, 3, v22
	ds_read_b64 v[32:33], v24 offset:8
	s_waitcnt lgkmcnt(1)
	v_mov_b64_e32 v[30:31], v[26:27]
.LBB128_190:                            ;   in Loop: Header=BB128_2 Depth=1
	s_or_b64 exec, exec, s[22:23]
	v_add_u32_e32 v24, 1, v22
	v_add_u32_e32 v25, 1, v23
	v_cndmask_b32_e64 v89, v22, v24, s[20:21]
	v_cndmask_b32_e64 v22, v25, v23, s[20:21]
	v_cmp_ge_i32_e64 s[24:25], v22, v75
	s_waitcnt lgkmcnt(0)
	v_cmp_lt_i64_e64 s[26:27], v[32:33], v[30:31]
	v_cmp_gt_i32_e64 s[22:23], s28, v89
	s_or_b64 s[24:25], s[24:25], s[26:27]
	s_and_b64 s[22:23], s[22:23], s[24:25]
	s_xor_b64 s[24:25], s[22:23], -1
                                        ; implicit-def: $vgpr34_vgpr35
                                        ; implicit-def: $vgpr90
	s_and_saveexec_b64 s[26:27], s[24:25]
	s_xor_b64 s[24:25], exec, s[26:27]
	s_cbranch_execz .LBB128_192
; %bb.191:                              ;   in Loop: Header=BB128_2 Depth=1
	v_lshlrev_b32_e32 v23, 3, v22
	ds_read_b64 v[34:35], v23 offset:8
	v_add_u32_e32 v90, 1, v22
                                        ; implicit-def: $vgpr22
.LBB128_192:                            ;   in Loop: Header=BB128_2 Depth=1
	s_or_saveexec_b64 s[24:25], s[24:25]
	v_mov_b64_e32 v[36:37], v[32:33]
	s_xor_b64 exec, exec, s[24:25]
	s_cbranch_execz .LBB128_1
; %bb.193:                              ;   in Loop: Header=BB128_2 Depth=1
	v_lshlrev_b32_e32 v23, 3, v89
	ds_read_b64 v[36:37], v23 offset:8
	v_add_u32_e32 v89, 1, v89
	v_mov_b32_e32 v90, v22
	s_waitcnt lgkmcnt(1)
	v_mov_b64_e32 v[34:35], v[30:31]
	s_branch .LBB128_1
.LBB128_194:
	s_add_u32 s0, s30, s36
	s_addc_u32 s1, s31, s37
	v_lshlrev_b32_e32 v0, 3, v0
	global_store_dwordx2 v0, v[22:23], s[0:1]
	global_store_dwordx2 v0, v[24:25], s[0:1] offset:512
	global_store_dwordx2 v0, v[6:7], s[0:1] offset:1024
	;; [unrolled: 1-line block ×7, first 2 shown]
	s_endpgm
	.section	.rodata,"a",@progbits
	.p2align	6, 0x0
	.amdhsa_kernel _Z16sort_keys_kernelIxLj64ELj8EN10test_utils4lessELj10EEvPKT_PS2_T2_
		.amdhsa_group_segment_fixed_size 4104
		.amdhsa_private_segment_fixed_size 0
		.amdhsa_kernarg_size 20
		.amdhsa_user_sgpr_count 2
		.amdhsa_user_sgpr_dispatch_ptr 0
		.amdhsa_user_sgpr_queue_ptr 0
		.amdhsa_user_sgpr_kernarg_segment_ptr 1
		.amdhsa_user_sgpr_dispatch_id 0
		.amdhsa_user_sgpr_kernarg_preload_length 0
		.amdhsa_user_sgpr_kernarg_preload_offset 0
		.amdhsa_user_sgpr_private_segment_size 0
		.amdhsa_uses_dynamic_stack 0
		.amdhsa_enable_private_segment 0
		.amdhsa_system_sgpr_workgroup_id_x 1
		.amdhsa_system_sgpr_workgroup_id_y 0
		.amdhsa_system_sgpr_workgroup_id_z 0
		.amdhsa_system_sgpr_workgroup_info 0
		.amdhsa_system_vgpr_workitem_id 0
		.amdhsa_next_free_vgpr 91
		.amdhsa_next_free_sgpr 38
		.amdhsa_accum_offset 92
		.amdhsa_reserve_vcc 1
		.amdhsa_float_round_mode_32 0
		.amdhsa_float_round_mode_16_64 0
		.amdhsa_float_denorm_mode_32 3
		.amdhsa_float_denorm_mode_16_64 3
		.amdhsa_dx10_clamp 1
		.amdhsa_ieee_mode 1
		.amdhsa_fp16_overflow 0
		.amdhsa_tg_split 0
		.amdhsa_exception_fp_ieee_invalid_op 0
		.amdhsa_exception_fp_denorm_src 0
		.amdhsa_exception_fp_ieee_div_zero 0
		.amdhsa_exception_fp_ieee_overflow 0
		.amdhsa_exception_fp_ieee_underflow 0
		.amdhsa_exception_fp_ieee_inexact 0
		.amdhsa_exception_int_div_zero 0
	.end_amdhsa_kernel
	.section	.text._Z16sort_keys_kernelIxLj64ELj8EN10test_utils4lessELj10EEvPKT_PS2_T2_,"axG",@progbits,_Z16sort_keys_kernelIxLj64ELj8EN10test_utils4lessELj10EEvPKT_PS2_T2_,comdat
.Lfunc_end128:
	.size	_Z16sort_keys_kernelIxLj64ELj8EN10test_utils4lessELj10EEvPKT_PS2_T2_, .Lfunc_end128-_Z16sort_keys_kernelIxLj64ELj8EN10test_utils4lessELj10EEvPKT_PS2_T2_
                                        ; -- End function
	.section	.AMDGPU.csdata,"",@progbits
; Kernel info:
; codeLenInByte = 10368
; NumSgprs: 44
; NumVgprs: 91
; NumAgprs: 0
; TotalNumVgprs: 91
; ScratchSize: 0
; MemoryBound: 0
; FloatMode: 240
; IeeeMode: 1
; LDSByteSize: 4104 bytes/workgroup (compile time only)
; SGPRBlocks: 5
; VGPRBlocks: 11
; NumSGPRsForWavesPerEU: 44
; NumVGPRsForWavesPerEU: 91
; AccumOffset: 92
; Occupancy: 4
; WaveLimiterHint : 1
; COMPUTE_PGM_RSRC2:SCRATCH_EN: 0
; COMPUTE_PGM_RSRC2:USER_SGPR: 2
; COMPUTE_PGM_RSRC2:TRAP_HANDLER: 0
; COMPUTE_PGM_RSRC2:TGID_X_EN: 1
; COMPUTE_PGM_RSRC2:TGID_Y_EN: 0
; COMPUTE_PGM_RSRC2:TGID_Z_EN: 0
; COMPUTE_PGM_RSRC2:TIDIG_COMP_CNT: 0
; COMPUTE_PGM_RSRC3_GFX90A:ACCUM_OFFSET: 22
; COMPUTE_PGM_RSRC3_GFX90A:TG_SPLIT: 0
	.section	.text._Z17sort_pairs_kernelIxLj64ELj8EN10test_utils4lessELj10EEvPKT_PS2_T2_,"axG",@progbits,_Z17sort_pairs_kernelIxLj64ELj8EN10test_utils4lessELj10EEvPKT_PS2_T2_,comdat
	.protected	_Z17sort_pairs_kernelIxLj64ELj8EN10test_utils4lessELj10EEvPKT_PS2_T2_ ; -- Begin function _Z17sort_pairs_kernelIxLj64ELj8EN10test_utils4lessELj10EEvPKT_PS2_T2_
	.globl	_Z17sort_pairs_kernelIxLj64ELj8EN10test_utils4lessELj10EEvPKT_PS2_T2_
	.p2align	8
	.type	_Z17sort_pairs_kernelIxLj64ELj8EN10test_utils4lessELj10EEvPKT_PS2_T2_,@function
_Z17sort_pairs_kernelIxLj64ELj8EN10test_utils4lessELj10EEvPKT_PS2_T2_: ; @_Z17sort_pairs_kernelIxLj64ELj8EN10test_utils4lessELj10EEvPKT_PS2_T2_
; %bb.0:
	s_load_dwordx4 s[84:87], s[0:1], 0x0
	s_lshl_b32 s90, s2, 9
	s_mov_b32 s91, 0
	s_lshl_b64 s[88:89], s[90:91], 3
	v_lshlrev_b32_e32 v1, 3, v0
	s_waitcnt lgkmcnt(0)
	s_add_u32 s0, s84, s88
	s_addc_u32 s1, s85, s89
	global_load_dwordx2 v[18:19], v1, s[0:1]
	global_load_dwordx2 v[26:27], v1, s[0:1] offset:512
	global_load_dwordx2 v[20:21], v1, s[0:1] offset:1024
	;; [unrolled: 1-line block ×7, first 2 shown]
	v_and_b32_e32 v54, 0x1f0, v1
	v_and_b32_e32 v56, 0x1e0, v1
	v_or_b32_e32 v64, 8, v54
	v_add_u32_e32 v65, 16, v54
	v_and_b32_e32 v55, 8, v1
	v_and_b32_e32 v58, 0x1c0, v1
	v_or_b32_e32 v67, 16, v56
	v_add_u32_e32 v68, 32, v56
	v_sub_u32_e32 v3, v65, v64
	v_and_b32_e32 v57, 24, v1
	v_and_b32_e32 v60, 0x180, v1
	;; [unrolled: 1-line block ×3, first 2 shown]
	v_or_b32_e32 v70, 32, v58
	v_add_u32_e32 v71, 64, v58
	v_sub_u32_e32 v2, v64, v54
	v_sub_u32_e32 v5, v68, v67
	;; [unrolled: 1-line block ×3, first 2 shown]
	v_cmp_ge_i32_e32 vcc, v55, v3
	v_and_b32_e32 v59, 56, v1
	v_or_b32_e32 v73, 64, v60
	v_add_u32_e32 v74, 0x80, v60
	v_or_b32_e32 v76, 0x80, v62
	v_add_u32_e32 v77, 0x100, v62
	v_sub_u32_e32 v4, v67, v56
	v_sub_u32_e32 v7, v71, v70
	v_min_i32_e32 v86, v55, v2
	v_sub_u32_e32 v2, v57, v5
	v_cndmask_b32_e32 v90, 0, v10, vcc
	v_cmp_ge_i32_e32 vcc, v57, v5
	v_and_b32_e32 v61, 0x78, v1
	v_and_b32_e32 v63, 0xf8, v1
	v_sub_u32_e32 v6, v70, v58
	v_sub_u32_e32 v9, v74, v73
	v_min_i32_e32 v87, v57, v4
	v_sub_u32_e32 v4, v59, v7
	v_cndmask_b32_e32 v91, 0, v2, vcc
	v_cmp_ge_i32_e32 vcc, v59, v7
	v_sub_u32_e32 v35, v77, v76
	v_mov_b32_e32 v52, 0x100
	v_sub_u32_e32 v8, v73, v60
	v_sub_u32_e32 v34, v76, v62
	v_min_i32_e32 v88, v59, v6
	v_sub_u32_e32 v6, v61, v9
	v_cndmask_b32_e32 v92, 0, v4, vcc
	v_cmp_ge_i32_e32 vcc, v61, v9
	v_sub_u32_e32 v36, v63, v35
	v_cmp_ge_i32_e64 s[6:7], v63, v35
	v_min_i32_e32 v89, v61, v8
	v_cndmask_b32_e32 v93, 0, v6, vcc
	v_cndmask_b32_e64 v96, 0, v36, s[6:7]
	v_min_i32_e32 v97, v63, v34
	v_sub_u32_e64 v100, v1, v52 clamp
	v_min_i32_e32 v101, 0x100, v1
	v_lshlrev_b32_e32 v53, 6, v0
	v_lshlrev_b32_e32 v66, 3, v54
	;; [unrolled: 1-line block ×6, first 2 shown]
	v_add_u32_e32 v79, v64, v55
	v_lshlrev_b32_e32 v80, 3, v67
	v_add_u32_e32 v81, v67, v57
	v_lshlrev_b32_e32 v82, 3, v70
	;; [unrolled: 2-line block ×3, first 2 shown]
	v_add_u32_e32 v85, v73, v61
	v_cmp_lt_i32_e32 vcc, v90, v86
	v_cmp_lt_i32_e64 s[0:1], v91, v87
	v_cmp_lt_i32_e64 s[2:3], v92, v88
	;; [unrolled: 1-line block ×3, first 2 shown]
	v_lshlrev_b32_e32 v94, 3, v62
	v_lshlrev_b32_e32 v95, 3, v76
	s_waitcnt vmcnt(7)
	v_lshl_add_u64 v[6:7], v[18:19], 0, 1
	s_waitcnt vmcnt(6)
	v_lshl_add_u64 v[8:9], v[26:27], 0, 1
	;; [unrolled: 2-line block ×8, first 2 shown]
	v_cmp_lt_i32_e64 s[6:7], v96, v97
	v_add_u32_e32 v98, v76, v63
	v_mov_b32_e32 v99, 0x800
	v_cmp_lt_i32_e64 s[8:9], v100, v101
	v_add_u32_e32 v102, 0x100, v1
	s_movk_i32 s33, 0x200
	s_branch .LBB129_2
.LBB129_1:                              ;   in Loop: Header=BB129_2 Depth=1
	s_or_b64 exec, exec, s[24:25]
	v_cndmask_b32_e64 v19, v19, v21, s[10:11]
	v_cndmask_b32_e64 v18, v18, v20, s[10:11]
	;; [unrolled: 1-line block ×10, first 2 shown]
	v_cmp_ge_i32_e64 s[12:13], v117, v52
	s_waitcnt lgkmcnt(0)
	v_cmp_lt_i64_e64 s[14:15], v[50:51], v[44:45]
	v_cndmask_b32_e64 v22, v38, v42, s[18:19]
	v_cndmask_b32_e64 v38, v103, v104, s[10:11]
	v_cmp_gt_i32_e64 s[10:11], s33, v116
	s_or_b64 s[12:13], s[12:13], s[14:15]
	s_and_b64 s[10:11], s[10:11], s[12:13]
	v_cndmask_b32_e64 v28, v32, v34, s[16:17]
	v_cndmask_b32_e64 v23, v39, v43, s[18:19]
	;; [unrolled: 1-line block ×6, first 2 shown]
	s_waitcnt lgkmcnt(0)
	; wave barrier
	ds_write2_b64 v53, v[14:15], v[16:17] offset1:1
	ds_write2_b64 v53, v[8:9], v[12:13] offset0:2 offset1:3
	ds_write2_b64 v53, v[6:7], v[10:11] offset0:4 offset1:5
	;; [unrolled: 1-line block ×3, first 2 shown]
	v_lshlrev_b32_e32 v2, 3, v38
	v_lshlrev_b32_e32 v3, 3, v37
	;; [unrolled: 1-line block ×8, first 2 shown]
	s_waitcnt lgkmcnt(0)
	; wave barrier
	s_waitcnt lgkmcnt(0)
	ds_read_b64 v[6:7], v2
	ds_read_b64 v[8:9], v3
	;; [unrolled: 1-line block ×8, first 2 shown]
	s_add_i32 s91, s91, 1
	v_cndmask_b32_e64 v31, v47, v49, s[22:23]
	v_cndmask_b32_e64 v30, v46, v48, s[22:23]
	;; [unrolled: 1-line block ×4, first 2 shown]
	s_cmp_eq_u32 s91, 10
	v_cndmask_b32_e64 v32, v44, v50, s[10:11]
	s_cbranch_scc1 .LBB129_194
.LBB129_2:                              ; =>This Loop Header: Depth=1
                                        ;     Child Loop BB129_4 Depth 2
                                        ;     Child Loop BB129_36 Depth 2
	;; [unrolled: 1-line block ×6, first 2 shown]
	v_cmp_lt_i64_e64 s[10:11], v[26:27], v[18:19]
	v_cmp_lt_i64_e64 s[12:13], v[28:29], v[20:21]
	;; [unrolled: 1-line block ×4, first 2 shown]
	v_cndmask_b32_e64 v35, v19, v27, s[10:11]
	v_cndmask_b32_e64 v34, v18, v26, s[10:11]
	;; [unrolled: 1-line block ×16, first 2 shown]
	v_cmp_lt_i64_e64 s[18:19], v[20:21], v[18:19]
	v_cmp_lt_i64_e64 s[20:21], v[22:23], v[26:27]
	;; [unrolled: 1-line block ×3, first 2 shown]
	v_cndmask_b32_e64 v33, v21, v19, s[18:19]
	v_cndmask_b32_e64 v32, v20, v18, s[18:19]
	;; [unrolled: 1-line block ×12, first 2 shown]
	v_cmp_lt_i64_e64 s[24:25], v[18:19], v[34:35]
	v_cmp_lt_i64_e64 s[26:27], v[22:23], v[32:33]
	;; [unrolled: 1-line block ×4, first 2 shown]
	v_cndmask_b32_e64 v29, v35, v19, s[24:25]
	v_cndmask_b32_e64 v28, v34, v18, s[24:25]
	;; [unrolled: 1-line block ×16, first 2 shown]
	v_cmp_lt_i64_e64 s[34:35], v[22:23], v[18:19]
	v_cmp_lt_i64_e64 s[36:37], v[20:21], v[34:35]
	v_cmp_lt_i64_e64 s[38:39], v[26:27], v[32:33]
	v_cndmask_b32_e64 v31, v23, v19, s[34:35]
	v_cndmask_b32_e64 v30, v22, v18, s[34:35]
	v_cndmask_b32_e64 v19, v19, v23, s[34:35]
	v_cndmask_b32_e64 v18, v18, v22, s[34:35]
	v_cndmask_b32_e64 v23, v21, v35, s[36:37]
	v_cndmask_b32_e64 v22, v20, v34, s[36:37]
	v_cndmask_b32_e64 v21, v35, v21, s[36:37]
	v_cndmask_b32_e64 v20, v34, v20, s[36:37]
	v_cndmask_b32_e64 v35, v27, v33, s[38:39]
	v_cndmask_b32_e64 v34, v26, v32, s[38:39]
	v_cndmask_b32_e64 v27, v33, v27, s[38:39]
	v_cndmask_b32_e64 v26, v32, v26, s[38:39]
	v_cmp_lt_i64_e64 s[40:41], v[18:19], v[28:29]
	v_cmp_lt_i64_e64 s[42:43], v[20:21], v[30:31]
	v_cmp_lt_i64_e64 s[44:45], v[26:27], v[22:23]
	v_cndmask_b32_e64 v33, v29, v19, s[40:41]
	v_cndmask_b32_e64 v32, v28, v18, s[40:41]
	v_cndmask_b32_e64 v19, v19, v29, s[40:41]
	v_cndmask_b32_e64 v18, v18, v28, s[40:41]
	v_cndmask_b32_e64 v29, v21, v31, s[42:43]
	v_cndmask_b32_e64 v28, v20, v30, s[42:43]
	v_cndmask_b32_e64 v21, v31, v21, s[42:43]
	v_cndmask_b32_e64 v20, v30, v20, s[42:43]
	v_cndmask_b32_e64 v31, v27, v23, s[44:45]
	v_cndmask_b32_e64 v30, v26, v22, s[44:45]
	v_cndmask_b32_e64 v23, v23, v27, s[44:45]
	v_cndmask_b32_e64 v22, v22, v26, s[44:45]
	;; [unrolled: 15-line block ×5, first 2 shown]
	v_cmp_lt_i64_e64 s[64:65], v[20:21], v[32:33]
	v_cmp_lt_i64_e64 s[66:67], v[24:25], v[34:35]
	s_nop 0
	v_cndmask_b32_e64 v31, v21, v33, s[64:65]
	v_cndmask_b32_e64 v30, v20, v32, s[64:65]
	;; [unrolled: 1-line block ×8, first 2 shown]
	; wave barrier
	ds_write2_b64 v53, v[18:19], v[22:23] offset1:1
	ds_write2_b64 v53, v[28:29], v[20:21] offset0:2 offset1:3
	ds_write2_b64 v53, v[30:31], v[24:25] offset0:4 offset1:5
	;; [unrolled: 1-line block ×3, first 2 shown]
	v_mov_b32_e32 v22, v90
	s_waitcnt lgkmcnt(0)
	; wave barrier
	s_waitcnt lgkmcnt(0)
	s_and_saveexec_b64 s[70:71], vcc
	s_cbranch_execz .LBB129_6
; %bb.3:                                ;   in Loop: Header=BB129_2 Depth=1
	s_mov_b64 s[72:73], 0
	v_mov_b32_e32 v22, v90
	v_mov_b32_e32 v18, v86
.LBB129_4:                              ;   Parent Loop BB129_2 Depth=1
                                        ; =>  This Inner Loop Header: Depth=2
	v_sub_u32_e32 v19, v18, v22
	v_lshrrev_b32_e32 v20, 31, v19
	v_add_u32_e32 v19, v19, v20
	v_ashrrev_i32_e32 v19, 1, v19
	v_add_u32_e32 v19, v19, v22
	v_lshl_add_u32 v20, v19, 3, v66
	v_xad_u32 v21, v19, -1, v55
	v_lshl_add_u32 v23, v21, 3, v78
	ds_read_b64 v[20:21], v20
	ds_read_b64 v[24:25], v23
	v_add_u32_e32 v23, 1, v19
	s_waitcnt lgkmcnt(0)
	v_cmp_lt_i64_e64 s[68:69], v[24:25], v[20:21]
	s_nop 1
	v_cndmask_b32_e64 v18, v18, v19, s[68:69]
	v_cndmask_b32_e64 v22, v23, v22, s[68:69]
	v_cmp_ge_i32_e64 s[68:69], v22, v18
	s_or_b64 s[72:73], s[68:69], s[72:73]
	s_andn2_b64 exec, exec, s[72:73]
	s_cbranch_execnz .LBB129_4
; %bb.5:                                ;   in Loop: Header=BB129_2 Depth=1
	s_or_b64 exec, exec, s[72:73]
.LBB129_6:                              ;   in Loop: Header=BB129_2 Depth=1
	s_or_b64 exec, exec, s[70:71]
	v_sub_u32_e32 v50, v79, v22
	v_lshl_add_u32 v24, v22, 3, v66
	v_lshlrev_b32_e32 v26, 3, v50
	ds_read_b64 v[18:19], v24
	ds_read_b64 v[20:21], v26
	v_add_u32_e32 v51, v22, v54
	v_cmp_le_i32_e64 s[70:71], v64, v51
	v_cmp_gt_i32_e64 s[68:69], v65, v50
                                        ; implicit-def: $vgpr22_vgpr23
	s_waitcnt lgkmcnt(0)
	v_cmp_lt_i64_e64 s[72:73], v[20:21], v[18:19]
	s_or_b64 s[70:71], s[70:71], s[72:73]
	s_and_b64 s[68:69], s[68:69], s[70:71]
	s_xor_b64 s[70:71], s[68:69], -1
	s_and_saveexec_b64 s[72:73], s[70:71]
	s_xor_b64 s[70:71], exec, s[72:73]
	s_cbranch_execz .LBB129_8
; %bb.7:                                ;   in Loop: Header=BB129_2 Depth=1
	ds_read_b64 v[22:23], v24 offset:8
                                        ; implicit-def: $vgpr26
.LBB129_8:                              ;   in Loop: Header=BB129_2 Depth=1
	s_or_saveexec_b64 s[70:71], s[70:71]
	v_mov_b64_e32 v[24:25], v[20:21]
	s_xor_b64 exec, exec, s[70:71]
	s_cbranch_execz .LBB129_10
; %bb.9:                                ;   in Loop: Header=BB129_2 Depth=1
	ds_read_b64 v[24:25], v26 offset:8
	s_waitcnt lgkmcnt(1)
	v_mov_b64_e32 v[22:23], v[18:19]
.LBB129_10:                             ;   in Loop: Header=BB129_2 Depth=1
	s_or_b64 exec, exec, s[70:71]
	v_add_u32_e32 v27, 1, v51
	v_add_u32_e32 v26, 1, v50
	v_cndmask_b32_e64 v104, v27, v51, s[68:69]
	v_cndmask_b32_e64 v103, v50, v26, s[68:69]
	v_cmp_ge_i32_e64 s[72:73], v104, v64
	s_waitcnt lgkmcnt(0)
	v_cmp_lt_i64_e64 s[74:75], v[24:25], v[22:23]
	v_cmp_lt_i32_e64 s[70:71], v103, v65
	s_or_b64 s[72:73], s[72:73], s[74:75]
	s_and_b64 s[70:71], s[70:71], s[72:73]
	s_xor_b64 s[72:73], s[70:71], -1
                                        ; implicit-def: $vgpr26_vgpr27
	s_and_saveexec_b64 s[74:75], s[72:73]
	s_xor_b64 s[72:73], exec, s[74:75]
	s_cbranch_execz .LBB129_12
; %bb.11:                               ;   in Loop: Header=BB129_2 Depth=1
	v_lshlrev_b32_e32 v26, 3, v104
	ds_read_b64 v[26:27], v26 offset:8
.LBB129_12:                             ;   in Loop: Header=BB129_2 Depth=1
	s_or_saveexec_b64 s[72:73], s[72:73]
	v_mov_b64_e32 v[28:29], v[24:25]
	s_xor_b64 exec, exec, s[72:73]
	s_cbranch_execz .LBB129_14
; %bb.13:                               ;   in Loop: Header=BB129_2 Depth=1
	s_waitcnt lgkmcnt(0)
	v_lshlrev_b32_e32 v26, 3, v103
	ds_read_b64 v[28:29], v26 offset:8
	v_mov_b64_e32 v[26:27], v[22:23]
.LBB129_14:                             ;   in Loop: Header=BB129_2 Depth=1
	s_or_b64 exec, exec, s[72:73]
	v_add_u32_e32 v31, 1, v104
	v_add_u32_e32 v30, 1, v103
	v_cndmask_b32_e64 v106, v31, v104, s[70:71]
	v_cndmask_b32_e64 v105, v103, v30, s[70:71]
	v_cmp_ge_i32_e64 s[74:75], v106, v64
	s_waitcnt lgkmcnt(0)
	v_cmp_lt_i64_e64 s[76:77], v[28:29], v[26:27]
	v_cmp_lt_i32_e64 s[72:73], v105, v65
	s_or_b64 s[74:75], s[74:75], s[76:77]
	s_and_b64 s[72:73], s[72:73], s[74:75]
	s_xor_b64 s[74:75], s[72:73], -1
                                        ; implicit-def: $vgpr30_vgpr31
	s_and_saveexec_b64 s[76:77], s[74:75]
	s_xor_b64 s[74:75], exec, s[76:77]
	s_cbranch_execz .LBB129_16
; %bb.15:                               ;   in Loop: Header=BB129_2 Depth=1
	v_lshlrev_b32_e32 v30, 3, v106
	ds_read_b64 v[30:31], v30 offset:8
.LBB129_16:                             ;   in Loop: Header=BB129_2 Depth=1
	s_or_saveexec_b64 s[74:75], s[74:75]
	v_mov_b64_e32 v[32:33], v[28:29]
	s_xor_b64 exec, exec, s[74:75]
	s_cbranch_execz .LBB129_18
; %bb.17:                               ;   in Loop: Header=BB129_2 Depth=1
	s_waitcnt lgkmcnt(0)
	v_lshlrev_b32_e32 v30, 3, v105
	ds_read_b64 v[32:33], v30 offset:8
	v_mov_b64_e32 v[30:31], v[26:27]
.LBB129_18:                             ;   in Loop: Header=BB129_2 Depth=1
	s_or_b64 exec, exec, s[74:75]
	v_add_u32_e32 v35, 1, v106
	v_add_u32_e32 v34, 1, v105
	v_cndmask_b32_e64 v108, v35, v106, s[72:73]
	v_cndmask_b32_e64 v107, v105, v34, s[72:73]
	v_cmp_ge_i32_e64 s[76:77], v108, v64
	s_waitcnt lgkmcnt(0)
	v_cmp_lt_i64_e64 s[78:79], v[32:33], v[30:31]
	v_cmp_lt_i32_e64 s[74:75], v107, v65
	s_or_b64 s[76:77], s[76:77], s[78:79]
	s_and_b64 s[74:75], s[74:75], s[76:77]
	s_xor_b64 s[76:77], s[74:75], -1
                                        ; implicit-def: $vgpr36_vgpr37
	s_and_saveexec_b64 s[78:79], s[76:77]
	s_xor_b64 s[76:77], exec, s[78:79]
	s_cbranch_execz .LBB129_20
; %bb.19:                               ;   in Loop: Header=BB129_2 Depth=1
	v_lshlrev_b32_e32 v34, 3, v108
	ds_read_b64 v[36:37], v34 offset:8
.LBB129_20:                             ;   in Loop: Header=BB129_2 Depth=1
	s_or_saveexec_b64 s[76:77], s[76:77]
	v_mov_b64_e32 v[40:41], v[32:33]
	s_xor_b64 exec, exec, s[76:77]
	s_cbranch_execz .LBB129_22
; %bb.21:                               ;   in Loop: Header=BB129_2 Depth=1
	v_lshlrev_b32_e32 v34, 3, v107
	ds_read_b64 v[40:41], v34 offset:8
	s_waitcnt lgkmcnt(1)
	v_mov_b64_e32 v[36:37], v[30:31]
.LBB129_22:                             ;   in Loop: Header=BB129_2 Depth=1
	s_or_b64 exec, exec, s[76:77]
	v_add_u32_e32 v35, 1, v108
	v_add_u32_e32 v34, 1, v107
	v_cndmask_b32_e64 v110, v35, v108, s[74:75]
	v_cndmask_b32_e64 v109, v107, v34, s[74:75]
	v_cmp_ge_i32_e64 s[78:79], v110, v64
	s_waitcnt lgkmcnt(0)
	v_cmp_lt_i64_e64 s[80:81], v[40:41], v[36:37]
	v_cmp_lt_i32_e64 s[76:77], v109, v65
	s_or_b64 s[78:79], s[78:79], s[80:81]
	s_and_b64 s[76:77], s[76:77], s[78:79]
	s_xor_b64 s[78:79], s[76:77], -1
                                        ; implicit-def: $vgpr42_vgpr43
	s_and_saveexec_b64 s[80:81], s[78:79]
	s_xor_b64 s[78:79], exec, s[80:81]
	s_cbranch_execz .LBB129_24
; %bb.23:                               ;   in Loop: Header=BB129_2 Depth=1
	v_lshlrev_b32_e32 v34, 3, v110
	ds_read_b64 v[42:43], v34 offset:8
.LBB129_24:                             ;   in Loop: Header=BB129_2 Depth=1
	s_or_saveexec_b64 s[78:79], s[78:79]
	v_mov_b64_e32 v[44:45], v[40:41]
	s_xor_b64 exec, exec, s[78:79]
	s_cbranch_execz .LBB129_26
; %bb.25:                               ;   in Loop: Header=BB129_2 Depth=1
	v_lshlrev_b32_e32 v34, 3, v109
	ds_read_b64 v[44:45], v34 offset:8
	s_waitcnt lgkmcnt(1)
	v_mov_b64_e32 v[42:43], v[36:37]
.LBB129_26:                             ;   in Loop: Header=BB129_2 Depth=1
	s_or_b64 exec, exec, s[78:79]
	v_add_u32_e32 v35, 1, v110
	v_add_u32_e32 v34, 1, v109
	v_cndmask_b32_e64 v112, v35, v110, s[76:77]
	v_cndmask_b32_e64 v111, v109, v34, s[76:77]
	v_cmp_ge_i32_e64 s[80:81], v112, v64
	s_waitcnt lgkmcnt(0)
	v_cmp_lt_i64_e64 s[82:83], v[44:45], v[42:43]
	v_cmp_lt_i32_e64 s[78:79], v111, v65
	s_or_b64 s[80:81], s[80:81], s[82:83]
	s_and_b64 s[78:79], s[78:79], s[80:81]
	s_xor_b64 s[80:81], s[78:79], -1
                                        ; implicit-def: $vgpr46_vgpr47
	s_and_saveexec_b64 s[82:83], s[80:81]
	s_xor_b64 s[80:81], exec, s[82:83]
	s_cbranch_execz .LBB129_28
; %bb.27:                               ;   in Loop: Header=BB129_2 Depth=1
	v_lshlrev_b32_e32 v34, 3, v112
	ds_read_b64 v[46:47], v34 offset:8
.LBB129_28:                             ;   in Loop: Header=BB129_2 Depth=1
	s_or_saveexec_b64 s[80:81], s[80:81]
	v_mov_b64_e32 v[48:49], v[44:45]
	s_xor_b64 exec, exec, s[80:81]
	s_cbranch_execz .LBB129_30
; %bb.29:                               ;   in Loop: Header=BB129_2 Depth=1
	v_lshlrev_b32_e32 v34, 3, v111
	ds_read_b64 v[48:49], v34 offset:8
	s_waitcnt lgkmcnt(1)
	v_mov_b64_e32 v[46:47], v[42:43]
.LBB129_30:                             ;   in Loop: Header=BB129_2 Depth=1
	s_or_b64 exec, exec, s[80:81]
	v_add_u32_e32 v35, 1, v112
	v_add_u32_e32 v34, 1, v111
	v_cndmask_b32_e64 v114, v35, v112, s[78:79]
	v_cndmask_b32_e64 v113, v111, v34, s[78:79]
	v_cmp_ge_i32_e64 s[82:83], v114, v64
	s_waitcnt lgkmcnt(0)
	v_cmp_lt_i64_e64 s[84:85], v[48:49], v[46:47]
	v_cmp_lt_i32_e64 s[80:81], v113, v65
	s_or_b64 s[82:83], s[82:83], s[84:85]
	s_and_b64 s[80:81], s[80:81], s[82:83]
	s_xor_b64 s[82:83], s[80:81], -1
                                        ; implicit-def: $vgpr34_vgpr35
	s_and_saveexec_b64 s[84:85], s[82:83]
	s_xor_b64 s[82:83], exec, s[84:85]
	s_cbranch_execz .LBB129_32
; %bb.31:                               ;   in Loop: Header=BB129_2 Depth=1
	v_lshlrev_b32_e32 v34, 3, v114
	ds_read_b64 v[34:35], v34 offset:8
.LBB129_32:                             ;   in Loop: Header=BB129_2 Depth=1
	s_or_saveexec_b64 s[82:83], s[82:83]
	v_mov_b64_e32 v[38:39], v[48:49]
	s_xor_b64 exec, exec, s[82:83]
	s_cbranch_execz .LBB129_34
; %bb.33:                               ;   in Loop: Header=BB129_2 Depth=1
	s_waitcnt lgkmcnt(0)
	v_lshlrev_b32_e32 v34, 3, v113
	ds_read_b64 v[38:39], v34 offset:8
	v_mov_b64_e32 v[34:35], v[46:47]
.LBB129_34:                             ;   in Loop: Header=BB129_2 Depth=1
	s_or_b64 exec, exec, s[82:83]
	v_cndmask_b32_e64 v19, v19, v21, s[68:69]
	v_cndmask_b32_e64 v18, v18, v20, s[68:69]
	;; [unrolled: 1-line block ×47, first 2 shown]
	v_add_u32_e32 v49, 1, v114
	v_cndmask_b32_e64 v16, v9, v3, s[34:35]
	v_cndmask_b32_e64 v17, v8, v2, s[34:35]
	;; [unrolled: 1-line block ×13, first 2 shown]
	v_add_u32_e32 v48, 1, v113
	v_cndmask_b32_e64 v49, v49, v114, s[80:81]
	v_cndmask_b32_e64 v14, v11, v2, s[40:41]
	;; [unrolled: 1-line block ×28, first 2 shown]
	v_cmp_ge_i32_e64 s[12:13], v49, v64
	s_waitcnt lgkmcnt(0)
	v_cmp_lt_i64_e64 s[14:15], v[38:39], v[34:35]
	v_cndmask_b32_e64 v10, v7, v17, s[52:53]
	v_cndmask_b32_e64 v11, v6, v16, s[52:53]
	;; [unrolled: 1-line block ×12, first 2 shown]
	v_cmp_lt_i32_e64 s[10:11], v48, v65
	s_or_b64 s[12:13], s[12:13], s[14:15]
	v_cndmask_b32_e64 v43, v43, v45, s[78:79]
	v_cndmask_b32_e64 v37, v37, v41, s[76:77]
	;; [unrolled: 1-line block ×22, first 2 shown]
	s_and_b64 s[10:11], s[10:11], s[12:13]
	v_cndmask_b32_e64 v113, v114, v113, s[80:81]
	v_cndmask_b32_e64 v42, v42, v44, s[78:79]
	;; [unrolled: 1-line block ×14, first 2 shown]
	s_waitcnt lgkmcnt(0)
	; wave barrier
	ds_write2_b64 v53, v[2:3], v[8:9] offset1:1
	ds_write2_b64 v53, v[6:7], v[12:13] offset0:2 offset1:3
	ds_write2_b64 v53, v[10:11], v[16:17] offset0:4 offset1:5
	;; [unrolled: 1-line block ×3, first 2 shown]
	v_lshlrev_b32_e32 v2, 3, v25
	v_lshlrev_b32_e32 v3, 3, v24
	;; [unrolled: 1-line block ×4, first 2 shown]
	s_waitcnt lgkmcnt(0)
	; wave barrier
	s_waitcnt lgkmcnt(0)
	ds_read_b64 v[14:15], v2
	ds_read_b64 v[16:17], v3
	ds_read_b64 v[8:9], v4
	ds_read_b64 v[12:13], v5
	v_lshlrev_b32_e32 v2, 3, v40
	v_lshlrev_b32_e32 v3, 3, v44
	;; [unrolled: 1-line block ×4, first 2 shown]
	ds_read_b64 v[6:7], v2
	ds_read_b64 v[10:11], v3
	;; [unrolled: 1-line block ×4, first 2 shown]
	v_cndmask_b32_e64 v21, v35, v39, s[10:11]
	v_cndmask_b32_e64 v20, v34, v38, s[10:11]
	s_waitcnt lgkmcnt(0)
	; wave barrier
	s_waitcnt lgkmcnt(0)
	ds_write2_b64 v53, v[18:19], v[22:23] offset1:1
	ds_write2_b64 v53, v[26:27], v[30:31] offset0:2 offset1:3
	ds_write2_b64 v53, v[36:37], v[42:43] offset0:4 offset1:5
	;; [unrolled: 1-line block ×3, first 2 shown]
	v_mov_b32_e32 v22, v91
	s_waitcnt lgkmcnt(0)
	; wave barrier
	s_waitcnt lgkmcnt(0)
	s_and_saveexec_b64 s[12:13], s[0:1]
	s_cbranch_execz .LBB129_38
; %bb.35:                               ;   in Loop: Header=BB129_2 Depth=1
	s_mov_b64 s[14:15], 0
	v_mov_b32_e32 v22, v91
	v_mov_b32_e32 v18, v87
.LBB129_36:                             ;   Parent Loop BB129_2 Depth=1
                                        ; =>  This Inner Loop Header: Depth=2
	v_sub_u32_e32 v19, v18, v22
	v_lshrrev_b32_e32 v20, 31, v19
	v_add_u32_e32 v19, v19, v20
	v_ashrrev_i32_e32 v19, 1, v19
	v_add_u32_e32 v19, v19, v22
	v_lshl_add_u32 v20, v19, 3, v69
	v_xad_u32 v21, v19, -1, v57
	v_lshl_add_u32 v23, v21, 3, v80
	ds_read_b64 v[20:21], v20
	ds_read_b64 v[24:25], v23
	v_add_u32_e32 v23, 1, v19
	s_waitcnt lgkmcnt(0)
	v_cmp_lt_i64_e64 s[10:11], v[24:25], v[20:21]
	s_nop 1
	v_cndmask_b32_e64 v18, v18, v19, s[10:11]
	v_cndmask_b32_e64 v22, v23, v22, s[10:11]
	v_cmp_ge_i32_e64 s[10:11], v22, v18
	s_or_b64 s[14:15], s[10:11], s[14:15]
	s_andn2_b64 exec, exec, s[14:15]
	s_cbranch_execnz .LBB129_36
; %bb.37:                               ;   in Loop: Header=BB129_2 Depth=1
	s_or_b64 exec, exec, s[14:15]
.LBB129_38:                             ;   in Loop: Header=BB129_2 Depth=1
	s_or_b64 exec, exec, s[12:13]
	v_sub_u32_e32 v50, v81, v22
	v_lshl_add_u32 v24, v22, 3, v69
	v_lshlrev_b32_e32 v26, 3, v50
	ds_read_b64 v[18:19], v24
	ds_read_b64 v[20:21], v26
	v_add_u32_e32 v51, v22, v56
	v_cmp_le_i32_e64 s[12:13], v67, v51
	v_cmp_gt_i32_e64 s[10:11], v68, v50
                                        ; implicit-def: $vgpr22_vgpr23
	s_waitcnt lgkmcnt(0)
	v_cmp_lt_i64_e64 s[14:15], v[20:21], v[18:19]
	s_or_b64 s[12:13], s[12:13], s[14:15]
	s_and_b64 s[10:11], s[10:11], s[12:13]
	s_xor_b64 s[12:13], s[10:11], -1
	s_and_saveexec_b64 s[14:15], s[12:13]
	s_xor_b64 s[12:13], exec, s[14:15]
	s_cbranch_execz .LBB129_40
; %bb.39:                               ;   in Loop: Header=BB129_2 Depth=1
	ds_read_b64 v[22:23], v24 offset:8
                                        ; implicit-def: $vgpr26
.LBB129_40:                             ;   in Loop: Header=BB129_2 Depth=1
	s_or_saveexec_b64 s[12:13], s[12:13]
	v_mov_b64_e32 v[24:25], v[20:21]
	s_xor_b64 exec, exec, s[12:13]
	s_cbranch_execz .LBB129_42
; %bb.41:                               ;   in Loop: Header=BB129_2 Depth=1
	ds_read_b64 v[24:25], v26 offset:8
	s_waitcnt lgkmcnt(1)
	v_mov_b64_e32 v[22:23], v[18:19]
.LBB129_42:                             ;   in Loop: Header=BB129_2 Depth=1
	s_or_b64 exec, exec, s[12:13]
	v_add_u32_e32 v27, 1, v51
	v_add_u32_e32 v26, 1, v50
	v_cndmask_b32_e64 v104, v27, v51, s[10:11]
	v_cndmask_b32_e64 v103, v50, v26, s[10:11]
	v_cmp_ge_i32_e64 s[14:15], v104, v67
	s_waitcnt lgkmcnt(0)
	v_cmp_lt_i64_e64 s[16:17], v[24:25], v[22:23]
	v_cmp_lt_i32_e64 s[12:13], v103, v68
	s_or_b64 s[14:15], s[14:15], s[16:17]
	s_and_b64 s[12:13], s[12:13], s[14:15]
	s_xor_b64 s[14:15], s[12:13], -1
                                        ; implicit-def: $vgpr26_vgpr27
	s_and_saveexec_b64 s[16:17], s[14:15]
	s_xor_b64 s[14:15], exec, s[16:17]
	s_cbranch_execz .LBB129_44
; %bb.43:                               ;   in Loop: Header=BB129_2 Depth=1
	v_lshlrev_b32_e32 v26, 3, v104
	ds_read_b64 v[26:27], v26 offset:8
.LBB129_44:                             ;   in Loop: Header=BB129_2 Depth=1
	s_or_saveexec_b64 s[14:15], s[14:15]
	v_mov_b64_e32 v[28:29], v[24:25]
	s_xor_b64 exec, exec, s[14:15]
	s_cbranch_execz .LBB129_46
; %bb.45:                               ;   in Loop: Header=BB129_2 Depth=1
	s_waitcnt lgkmcnt(0)
	v_lshlrev_b32_e32 v26, 3, v103
	ds_read_b64 v[28:29], v26 offset:8
	v_mov_b64_e32 v[26:27], v[22:23]
.LBB129_46:                             ;   in Loop: Header=BB129_2 Depth=1
	s_or_b64 exec, exec, s[14:15]
	v_add_u32_e32 v31, 1, v104
	v_add_u32_e32 v30, 1, v103
	v_cndmask_b32_e64 v106, v31, v104, s[12:13]
	v_cndmask_b32_e64 v105, v103, v30, s[12:13]
	v_cmp_ge_i32_e64 s[16:17], v106, v67
	s_waitcnt lgkmcnt(0)
	v_cmp_lt_i64_e64 s[18:19], v[28:29], v[26:27]
	v_cmp_lt_i32_e64 s[14:15], v105, v68
	s_or_b64 s[16:17], s[16:17], s[18:19]
	s_and_b64 s[14:15], s[14:15], s[16:17]
	s_xor_b64 s[16:17], s[14:15], -1
                                        ; implicit-def: $vgpr30_vgpr31
	s_and_saveexec_b64 s[18:19], s[16:17]
	s_xor_b64 s[16:17], exec, s[18:19]
	s_cbranch_execz .LBB129_48
; %bb.47:                               ;   in Loop: Header=BB129_2 Depth=1
	v_lshlrev_b32_e32 v30, 3, v106
	ds_read_b64 v[30:31], v30 offset:8
.LBB129_48:                             ;   in Loop: Header=BB129_2 Depth=1
	s_or_saveexec_b64 s[16:17], s[16:17]
	v_mov_b64_e32 v[32:33], v[28:29]
	s_xor_b64 exec, exec, s[16:17]
	s_cbranch_execz .LBB129_50
; %bb.49:                               ;   in Loop: Header=BB129_2 Depth=1
	s_waitcnt lgkmcnt(0)
	v_lshlrev_b32_e32 v30, 3, v105
	ds_read_b64 v[32:33], v30 offset:8
	v_mov_b64_e32 v[30:31], v[26:27]
.LBB129_50:                             ;   in Loop: Header=BB129_2 Depth=1
	s_or_b64 exec, exec, s[16:17]
	v_add_u32_e32 v35, 1, v106
	v_add_u32_e32 v34, 1, v105
	v_cndmask_b32_e64 v108, v35, v106, s[14:15]
	v_cndmask_b32_e64 v107, v105, v34, s[14:15]
	v_cmp_ge_i32_e64 s[18:19], v108, v67
	s_waitcnt lgkmcnt(0)
	v_cmp_lt_i64_e64 s[20:21], v[32:33], v[30:31]
	v_cmp_lt_i32_e64 s[16:17], v107, v68
	s_or_b64 s[18:19], s[18:19], s[20:21]
	s_and_b64 s[16:17], s[16:17], s[18:19]
	s_xor_b64 s[18:19], s[16:17], -1
                                        ; implicit-def: $vgpr34_vgpr35
	s_and_saveexec_b64 s[20:21], s[18:19]
	s_xor_b64 s[18:19], exec, s[20:21]
	s_cbranch_execz .LBB129_52
; %bb.51:                               ;   in Loop: Header=BB129_2 Depth=1
	v_lshlrev_b32_e32 v34, 3, v108
	ds_read_b64 v[34:35], v34 offset:8
.LBB129_52:                             ;   in Loop: Header=BB129_2 Depth=1
	s_or_saveexec_b64 s[18:19], s[18:19]
	v_mov_b64_e32 v[36:37], v[32:33]
	s_xor_b64 exec, exec, s[18:19]
	s_cbranch_execz .LBB129_54
; %bb.53:                               ;   in Loop: Header=BB129_2 Depth=1
	s_waitcnt lgkmcnt(0)
	v_lshlrev_b32_e32 v34, 3, v107
	ds_read_b64 v[36:37], v34 offset:8
	v_mov_b64_e32 v[34:35], v[30:31]
.LBB129_54:                             ;   in Loop: Header=BB129_2 Depth=1
	s_or_b64 exec, exec, s[18:19]
	v_add_u32_e32 v39, 1, v108
	v_add_u32_e32 v38, 1, v107
	v_cndmask_b32_e64 v110, v39, v108, s[16:17]
	v_cndmask_b32_e64 v109, v107, v38, s[16:17]
	v_cmp_ge_i32_e64 s[20:21], v110, v67
	s_waitcnt lgkmcnt(0)
	v_cmp_lt_i64_e64 s[22:23], v[36:37], v[34:35]
	v_cmp_lt_i32_e64 s[18:19], v109, v68
	s_or_b64 s[20:21], s[20:21], s[22:23]
	s_and_b64 s[18:19], s[18:19], s[20:21]
	s_xor_b64 s[20:21], s[18:19], -1
                                        ; implicit-def: $vgpr38_vgpr39
	s_and_saveexec_b64 s[22:23], s[20:21]
	s_xor_b64 s[20:21], exec, s[22:23]
	s_cbranch_execz .LBB129_56
; %bb.55:                               ;   in Loop: Header=BB129_2 Depth=1
	v_lshlrev_b32_e32 v38, 3, v110
	ds_read_b64 v[38:39], v38 offset:8
.LBB129_56:                             ;   in Loop: Header=BB129_2 Depth=1
	s_or_saveexec_b64 s[20:21], s[20:21]
	v_mov_b64_e32 v[40:41], v[36:37]
	s_xor_b64 exec, exec, s[20:21]
	s_cbranch_execz .LBB129_58
; %bb.57:                               ;   in Loop: Header=BB129_2 Depth=1
	s_waitcnt lgkmcnt(0)
	v_lshlrev_b32_e32 v38, 3, v109
	ds_read_b64 v[40:41], v38 offset:8
	v_mov_b64_e32 v[38:39], v[34:35]
.LBB129_58:                             ;   in Loop: Header=BB129_2 Depth=1
	s_or_b64 exec, exec, s[20:21]
	v_add_u32_e32 v43, 1, v110
	v_add_u32_e32 v42, 1, v109
	v_cndmask_b32_e64 v112, v43, v110, s[18:19]
	v_cndmask_b32_e64 v111, v109, v42, s[18:19]
	v_cmp_ge_i32_e64 s[22:23], v112, v67
	s_waitcnt lgkmcnt(0)
	v_cmp_lt_i64_e64 s[24:25], v[40:41], v[38:39]
	v_cmp_lt_i32_e64 s[20:21], v111, v68
	s_or_b64 s[22:23], s[22:23], s[24:25]
	s_and_b64 s[20:21], s[20:21], s[22:23]
	s_xor_b64 s[22:23], s[20:21], -1
                                        ; implicit-def: $vgpr42_vgpr43
	s_and_saveexec_b64 s[24:25], s[22:23]
	s_xor_b64 s[22:23], exec, s[24:25]
	s_cbranch_execz .LBB129_60
; %bb.59:                               ;   in Loop: Header=BB129_2 Depth=1
	v_lshlrev_b32_e32 v42, 3, v112
	ds_read_b64 v[42:43], v42 offset:8
.LBB129_60:                             ;   in Loop: Header=BB129_2 Depth=1
	s_or_saveexec_b64 s[22:23], s[22:23]
	v_mov_b64_e32 v[46:47], v[40:41]
	s_xor_b64 exec, exec, s[22:23]
	s_cbranch_execz .LBB129_62
; %bb.61:                               ;   in Loop: Header=BB129_2 Depth=1
	s_waitcnt lgkmcnt(0)
	v_lshlrev_b32_e32 v42, 3, v111
	ds_read_b64 v[46:47], v42 offset:8
	v_mov_b64_e32 v[42:43], v[38:39]
.LBB129_62:                             ;   in Loop: Header=BB129_2 Depth=1
	s_or_b64 exec, exec, s[22:23]
	v_add_u32_e32 v45, 1, v112
	v_add_u32_e32 v44, 1, v111
	v_cndmask_b32_e64 v114, v45, v112, s[20:21]
	v_cndmask_b32_e64 v113, v111, v44, s[20:21]
	v_cmp_ge_i32_e64 s[24:25], v114, v67
	s_waitcnt lgkmcnt(0)
	v_cmp_lt_i64_e64 s[26:27], v[46:47], v[42:43]
	v_cmp_lt_i32_e64 s[22:23], v113, v68
	s_or_b64 s[24:25], s[24:25], s[26:27]
	s_and_b64 s[22:23], s[22:23], s[24:25]
	s_xor_b64 s[24:25], s[22:23], -1
                                        ; implicit-def: $vgpr44_vgpr45
	s_and_saveexec_b64 s[26:27], s[24:25]
	s_xor_b64 s[24:25], exec, s[26:27]
	s_cbranch_execz .LBB129_64
; %bb.63:                               ;   in Loop: Header=BB129_2 Depth=1
	v_lshlrev_b32_e32 v44, 3, v114
	ds_read_b64 v[44:45], v44 offset:8
.LBB129_64:                             ;   in Loop: Header=BB129_2 Depth=1
	s_or_saveexec_b64 s[24:25], s[24:25]
	v_mov_b64_e32 v[48:49], v[46:47]
	s_xor_b64 exec, exec, s[24:25]
	s_cbranch_execz .LBB129_66
; %bb.65:                               ;   in Loop: Header=BB129_2 Depth=1
	s_waitcnt lgkmcnt(0)
	v_lshlrev_b32_e32 v44, 3, v113
	ds_read_b64 v[48:49], v44 offset:8
	v_mov_b64_e32 v[44:45], v[42:43]
.LBB129_66:                             ;   in Loop: Header=BB129_2 Depth=1
	s_or_b64 exec, exec, s[24:25]
	v_cndmask_b32_e64 v43, v43, v47, s[22:23]
	v_add_u32_e32 v47, 1, v114
	v_cndmask_b32_e64 v42, v42, v46, s[22:23]
	v_add_u32_e32 v46, 1, v113
	v_cndmask_b32_e64 v47, v47, v114, s[22:23]
	v_cndmask_b32_e64 v46, v113, v46, s[22:23]
	;; [unrolled: 1-line block ×8, first 2 shown]
	v_cmp_ge_i32_e64 s[12:13], v47, v67
	s_waitcnt lgkmcnt(0)
	v_cmp_lt_i64_e64 s[14:15], v[48:49], v[44:45]
	v_cndmask_b32_e64 v19, v19, v21, s[10:11]
	v_cndmask_b32_e64 v18, v18, v20, s[10:11]
	;; [unrolled: 1-line block ×3, first 2 shown]
	v_cmp_lt_i32_e64 s[10:11], v46, v68
	s_or_b64 s[12:13], s[12:13], s[14:15]
	v_cndmask_b32_e64 v30, v30, v32, s[16:17]
	v_cndmask_b32_e64 v32, v108, v107, s[16:17]
	s_and_b64 s[10:11], s[10:11], s[12:13]
	v_cndmask_b32_e64 v113, v114, v113, s[22:23]
	v_cndmask_b32_e64 v38, v38, v40, s[20:21]
	;; [unrolled: 1-line block ×6, first 2 shown]
	s_waitcnt lgkmcnt(0)
	; wave barrier
	ds_write2_b64 v53, v[14:15], v[16:17] offset1:1
	ds_write2_b64 v53, v[8:9], v[12:13] offset0:2 offset1:3
	ds_write2_b64 v53, v[6:7], v[10:11] offset0:4 offset1:5
	;; [unrolled: 1-line block ×3, first 2 shown]
	v_lshlrev_b32_e32 v2, 3, v25
	v_lshlrev_b32_e32 v3, 3, v24
	;; [unrolled: 1-line block ×4, first 2 shown]
	s_waitcnt lgkmcnt(0)
	; wave barrier
	s_waitcnt lgkmcnt(0)
	ds_read_b64 v[14:15], v2
	ds_read_b64 v[16:17], v3
	;; [unrolled: 1-line block ×4, first 2 shown]
	v_lshlrev_b32_e32 v2, 3, v36
	v_lshlrev_b32_e32 v3, 3, v40
	;; [unrolled: 1-line block ×4, first 2 shown]
	ds_read_b64 v[6:7], v2
	ds_read_b64 v[10:11], v3
	;; [unrolled: 1-line block ×4, first 2 shown]
	v_cndmask_b32_e64 v39, v39, v41, s[20:21]
	v_cndmask_b32_e64 v35, v35, v37, s[18:19]
	;; [unrolled: 1-line block ×5, first 2 shown]
	s_waitcnt lgkmcnt(0)
	; wave barrier
	s_waitcnt lgkmcnt(0)
	ds_write2_b64 v53, v[18:19], v[22:23] offset1:1
	ds_write2_b64 v53, v[26:27], v[30:31] offset0:2 offset1:3
	ds_write2_b64 v53, v[34:35], v[38:39] offset0:4 offset1:5
	;; [unrolled: 1-line block ×3, first 2 shown]
	v_mov_b32_e32 v22, v92
	s_waitcnt lgkmcnt(0)
	; wave barrier
	s_waitcnt lgkmcnt(0)
	s_and_saveexec_b64 s[12:13], s[2:3]
	s_cbranch_execz .LBB129_70
; %bb.67:                               ;   in Loop: Header=BB129_2 Depth=1
	s_mov_b64 s[14:15], 0
	v_mov_b32_e32 v22, v92
	v_mov_b32_e32 v18, v88
.LBB129_68:                             ;   Parent Loop BB129_2 Depth=1
                                        ; =>  This Inner Loop Header: Depth=2
	v_sub_u32_e32 v19, v18, v22
	v_lshrrev_b32_e32 v20, 31, v19
	v_add_u32_e32 v19, v19, v20
	v_ashrrev_i32_e32 v19, 1, v19
	v_add_u32_e32 v19, v19, v22
	v_lshl_add_u32 v20, v19, 3, v72
	v_xad_u32 v21, v19, -1, v59
	v_lshl_add_u32 v23, v21, 3, v82
	ds_read_b64 v[20:21], v20
	ds_read_b64 v[24:25], v23
	v_add_u32_e32 v23, 1, v19
	s_waitcnt lgkmcnt(0)
	v_cmp_lt_i64_e64 s[10:11], v[24:25], v[20:21]
	s_nop 1
	v_cndmask_b32_e64 v18, v18, v19, s[10:11]
	v_cndmask_b32_e64 v22, v23, v22, s[10:11]
	v_cmp_ge_i32_e64 s[10:11], v22, v18
	s_or_b64 s[14:15], s[10:11], s[14:15]
	s_andn2_b64 exec, exec, s[14:15]
	s_cbranch_execnz .LBB129_68
; %bb.69:                               ;   in Loop: Header=BB129_2 Depth=1
	s_or_b64 exec, exec, s[14:15]
.LBB129_70:                             ;   in Loop: Header=BB129_2 Depth=1
	s_or_b64 exec, exec, s[12:13]
	v_sub_u32_e32 v50, v83, v22
	v_lshl_add_u32 v24, v22, 3, v72
	v_lshlrev_b32_e32 v26, 3, v50
	ds_read_b64 v[18:19], v24
	ds_read_b64 v[20:21], v26
	v_add_u32_e32 v51, v22, v58
	v_cmp_le_i32_e64 s[12:13], v70, v51
	v_cmp_gt_i32_e64 s[10:11], v71, v50
                                        ; implicit-def: $vgpr22_vgpr23
	s_waitcnt lgkmcnt(0)
	v_cmp_lt_i64_e64 s[14:15], v[20:21], v[18:19]
	s_or_b64 s[12:13], s[12:13], s[14:15]
	s_and_b64 s[10:11], s[10:11], s[12:13]
	s_xor_b64 s[12:13], s[10:11], -1
	s_and_saveexec_b64 s[14:15], s[12:13]
	s_xor_b64 s[12:13], exec, s[14:15]
	s_cbranch_execz .LBB129_72
; %bb.71:                               ;   in Loop: Header=BB129_2 Depth=1
	ds_read_b64 v[22:23], v24 offset:8
                                        ; implicit-def: $vgpr26
.LBB129_72:                             ;   in Loop: Header=BB129_2 Depth=1
	s_or_saveexec_b64 s[12:13], s[12:13]
	v_mov_b64_e32 v[24:25], v[20:21]
	s_xor_b64 exec, exec, s[12:13]
	s_cbranch_execz .LBB129_74
; %bb.73:                               ;   in Loop: Header=BB129_2 Depth=1
	ds_read_b64 v[24:25], v26 offset:8
	s_waitcnt lgkmcnt(1)
	v_mov_b64_e32 v[22:23], v[18:19]
.LBB129_74:                             ;   in Loop: Header=BB129_2 Depth=1
	s_or_b64 exec, exec, s[12:13]
	v_add_u32_e32 v27, 1, v51
	v_add_u32_e32 v26, 1, v50
	v_cndmask_b32_e64 v104, v27, v51, s[10:11]
	v_cndmask_b32_e64 v103, v50, v26, s[10:11]
	v_cmp_ge_i32_e64 s[14:15], v104, v70
	s_waitcnt lgkmcnt(0)
	v_cmp_lt_i64_e64 s[16:17], v[24:25], v[22:23]
	v_cmp_lt_i32_e64 s[12:13], v103, v71
	s_or_b64 s[14:15], s[14:15], s[16:17]
	s_and_b64 s[12:13], s[12:13], s[14:15]
	s_xor_b64 s[14:15], s[12:13], -1
                                        ; implicit-def: $vgpr26_vgpr27
	s_and_saveexec_b64 s[16:17], s[14:15]
	s_xor_b64 s[14:15], exec, s[16:17]
	s_cbranch_execz .LBB129_76
; %bb.75:                               ;   in Loop: Header=BB129_2 Depth=1
	v_lshlrev_b32_e32 v26, 3, v104
	ds_read_b64 v[26:27], v26 offset:8
.LBB129_76:                             ;   in Loop: Header=BB129_2 Depth=1
	s_or_saveexec_b64 s[14:15], s[14:15]
	v_mov_b64_e32 v[28:29], v[24:25]
	s_xor_b64 exec, exec, s[14:15]
	s_cbranch_execz .LBB129_78
; %bb.77:                               ;   in Loop: Header=BB129_2 Depth=1
	s_waitcnt lgkmcnt(0)
	v_lshlrev_b32_e32 v26, 3, v103
	ds_read_b64 v[28:29], v26 offset:8
	v_mov_b64_e32 v[26:27], v[22:23]
.LBB129_78:                             ;   in Loop: Header=BB129_2 Depth=1
	s_or_b64 exec, exec, s[14:15]
	v_add_u32_e32 v31, 1, v104
	v_add_u32_e32 v30, 1, v103
	v_cndmask_b32_e64 v106, v31, v104, s[12:13]
	v_cndmask_b32_e64 v105, v103, v30, s[12:13]
	v_cmp_ge_i32_e64 s[16:17], v106, v70
	s_waitcnt lgkmcnt(0)
	v_cmp_lt_i64_e64 s[18:19], v[28:29], v[26:27]
	v_cmp_lt_i32_e64 s[14:15], v105, v71
	s_or_b64 s[16:17], s[16:17], s[18:19]
	s_and_b64 s[14:15], s[14:15], s[16:17]
	s_xor_b64 s[16:17], s[14:15], -1
                                        ; implicit-def: $vgpr30_vgpr31
	s_and_saveexec_b64 s[18:19], s[16:17]
	s_xor_b64 s[16:17], exec, s[18:19]
	s_cbranch_execz .LBB129_80
; %bb.79:                               ;   in Loop: Header=BB129_2 Depth=1
	v_lshlrev_b32_e32 v30, 3, v106
	ds_read_b64 v[30:31], v30 offset:8
.LBB129_80:                             ;   in Loop: Header=BB129_2 Depth=1
	s_or_saveexec_b64 s[16:17], s[16:17]
	v_mov_b64_e32 v[32:33], v[28:29]
	s_xor_b64 exec, exec, s[16:17]
	s_cbranch_execz .LBB129_82
; %bb.81:                               ;   in Loop: Header=BB129_2 Depth=1
	s_waitcnt lgkmcnt(0)
	v_lshlrev_b32_e32 v30, 3, v105
	ds_read_b64 v[32:33], v30 offset:8
	v_mov_b64_e32 v[30:31], v[26:27]
.LBB129_82:                             ;   in Loop: Header=BB129_2 Depth=1
	s_or_b64 exec, exec, s[16:17]
	v_add_u32_e32 v35, 1, v106
	v_add_u32_e32 v34, 1, v105
	v_cndmask_b32_e64 v108, v35, v106, s[14:15]
	v_cndmask_b32_e64 v107, v105, v34, s[14:15]
	v_cmp_ge_i32_e64 s[18:19], v108, v70
	s_waitcnt lgkmcnt(0)
	v_cmp_lt_i64_e64 s[20:21], v[32:33], v[30:31]
	v_cmp_lt_i32_e64 s[16:17], v107, v71
	s_or_b64 s[18:19], s[18:19], s[20:21]
	s_and_b64 s[16:17], s[16:17], s[18:19]
	s_xor_b64 s[18:19], s[16:17], -1
                                        ; implicit-def: $vgpr34_vgpr35
	s_and_saveexec_b64 s[20:21], s[18:19]
	s_xor_b64 s[18:19], exec, s[20:21]
	s_cbranch_execz .LBB129_84
; %bb.83:                               ;   in Loop: Header=BB129_2 Depth=1
	v_lshlrev_b32_e32 v34, 3, v108
	ds_read_b64 v[34:35], v34 offset:8
.LBB129_84:                             ;   in Loop: Header=BB129_2 Depth=1
	s_or_saveexec_b64 s[18:19], s[18:19]
	v_mov_b64_e32 v[36:37], v[32:33]
	s_xor_b64 exec, exec, s[18:19]
	s_cbranch_execz .LBB129_86
; %bb.85:                               ;   in Loop: Header=BB129_2 Depth=1
	s_waitcnt lgkmcnt(0)
	v_lshlrev_b32_e32 v34, 3, v107
	ds_read_b64 v[36:37], v34 offset:8
	v_mov_b64_e32 v[34:35], v[30:31]
.LBB129_86:                             ;   in Loop: Header=BB129_2 Depth=1
	s_or_b64 exec, exec, s[18:19]
	v_add_u32_e32 v39, 1, v108
	v_add_u32_e32 v38, 1, v107
	v_cndmask_b32_e64 v110, v39, v108, s[16:17]
	v_cndmask_b32_e64 v109, v107, v38, s[16:17]
	v_cmp_ge_i32_e64 s[20:21], v110, v70
	s_waitcnt lgkmcnt(0)
	v_cmp_lt_i64_e64 s[22:23], v[36:37], v[34:35]
	v_cmp_lt_i32_e64 s[18:19], v109, v71
	s_or_b64 s[20:21], s[20:21], s[22:23]
	s_and_b64 s[18:19], s[18:19], s[20:21]
	s_xor_b64 s[20:21], s[18:19], -1
                                        ; implicit-def: $vgpr38_vgpr39
	s_and_saveexec_b64 s[22:23], s[20:21]
	s_xor_b64 s[20:21], exec, s[22:23]
	s_cbranch_execz .LBB129_88
; %bb.87:                               ;   in Loop: Header=BB129_2 Depth=1
	v_lshlrev_b32_e32 v38, 3, v110
	ds_read_b64 v[38:39], v38 offset:8
.LBB129_88:                             ;   in Loop: Header=BB129_2 Depth=1
	s_or_saveexec_b64 s[20:21], s[20:21]
	v_mov_b64_e32 v[40:41], v[36:37]
	s_xor_b64 exec, exec, s[20:21]
	s_cbranch_execz .LBB129_90
; %bb.89:                               ;   in Loop: Header=BB129_2 Depth=1
	s_waitcnt lgkmcnt(0)
	v_lshlrev_b32_e32 v38, 3, v109
	ds_read_b64 v[40:41], v38 offset:8
	v_mov_b64_e32 v[38:39], v[34:35]
.LBB129_90:                             ;   in Loop: Header=BB129_2 Depth=1
	s_or_b64 exec, exec, s[20:21]
	v_add_u32_e32 v43, 1, v110
	v_add_u32_e32 v42, 1, v109
	v_cndmask_b32_e64 v112, v43, v110, s[18:19]
	v_cndmask_b32_e64 v111, v109, v42, s[18:19]
	v_cmp_ge_i32_e64 s[22:23], v112, v70
	s_waitcnt lgkmcnt(0)
	v_cmp_lt_i64_e64 s[24:25], v[40:41], v[38:39]
	v_cmp_lt_i32_e64 s[20:21], v111, v71
	s_or_b64 s[22:23], s[22:23], s[24:25]
	s_and_b64 s[20:21], s[20:21], s[22:23]
	s_xor_b64 s[22:23], s[20:21], -1
                                        ; implicit-def: $vgpr42_vgpr43
	s_and_saveexec_b64 s[24:25], s[22:23]
	s_xor_b64 s[22:23], exec, s[24:25]
	s_cbranch_execz .LBB129_92
; %bb.91:                               ;   in Loop: Header=BB129_2 Depth=1
	v_lshlrev_b32_e32 v42, 3, v112
	ds_read_b64 v[42:43], v42 offset:8
.LBB129_92:                             ;   in Loop: Header=BB129_2 Depth=1
	s_or_saveexec_b64 s[22:23], s[22:23]
	v_mov_b64_e32 v[46:47], v[40:41]
	s_xor_b64 exec, exec, s[22:23]
	s_cbranch_execz .LBB129_94
; %bb.93:                               ;   in Loop: Header=BB129_2 Depth=1
	s_waitcnt lgkmcnt(0)
	v_lshlrev_b32_e32 v42, 3, v111
	ds_read_b64 v[46:47], v42 offset:8
	v_mov_b64_e32 v[42:43], v[38:39]
.LBB129_94:                             ;   in Loop: Header=BB129_2 Depth=1
	s_or_b64 exec, exec, s[22:23]
	v_add_u32_e32 v45, 1, v112
	v_add_u32_e32 v44, 1, v111
	v_cndmask_b32_e64 v114, v45, v112, s[20:21]
	v_cndmask_b32_e64 v113, v111, v44, s[20:21]
	v_cmp_ge_i32_e64 s[24:25], v114, v70
	s_waitcnt lgkmcnt(0)
	v_cmp_lt_i64_e64 s[26:27], v[46:47], v[42:43]
	v_cmp_lt_i32_e64 s[22:23], v113, v71
	s_or_b64 s[24:25], s[24:25], s[26:27]
	s_and_b64 s[22:23], s[22:23], s[24:25]
	s_xor_b64 s[24:25], s[22:23], -1
                                        ; implicit-def: $vgpr44_vgpr45
	s_and_saveexec_b64 s[26:27], s[24:25]
	s_xor_b64 s[24:25], exec, s[26:27]
	s_cbranch_execz .LBB129_96
; %bb.95:                               ;   in Loop: Header=BB129_2 Depth=1
	v_lshlrev_b32_e32 v44, 3, v114
	ds_read_b64 v[44:45], v44 offset:8
.LBB129_96:                             ;   in Loop: Header=BB129_2 Depth=1
	s_or_saveexec_b64 s[24:25], s[24:25]
	v_mov_b64_e32 v[48:49], v[46:47]
	s_xor_b64 exec, exec, s[24:25]
	s_cbranch_execz .LBB129_98
; %bb.97:                               ;   in Loop: Header=BB129_2 Depth=1
	s_waitcnt lgkmcnt(0)
	v_lshlrev_b32_e32 v44, 3, v113
	ds_read_b64 v[48:49], v44 offset:8
	v_mov_b64_e32 v[44:45], v[42:43]
.LBB129_98:                             ;   in Loop: Header=BB129_2 Depth=1
	s_or_b64 exec, exec, s[24:25]
	v_cndmask_b32_e64 v43, v43, v47, s[22:23]
	v_add_u32_e32 v47, 1, v114
	v_cndmask_b32_e64 v42, v42, v46, s[22:23]
	v_add_u32_e32 v46, 1, v113
	v_cndmask_b32_e64 v47, v47, v114, s[22:23]
	v_cndmask_b32_e64 v46, v113, v46, s[22:23]
	;; [unrolled: 1-line block ×8, first 2 shown]
	v_cmp_ge_i32_e64 s[12:13], v47, v70
	s_waitcnt lgkmcnt(0)
	v_cmp_lt_i64_e64 s[14:15], v[48:49], v[44:45]
	v_cndmask_b32_e64 v19, v19, v21, s[10:11]
	v_cndmask_b32_e64 v18, v18, v20, s[10:11]
	;; [unrolled: 1-line block ×3, first 2 shown]
	v_cmp_lt_i32_e64 s[10:11], v46, v71
	s_or_b64 s[12:13], s[12:13], s[14:15]
	v_cndmask_b32_e64 v30, v30, v32, s[16:17]
	v_cndmask_b32_e64 v32, v108, v107, s[16:17]
	s_and_b64 s[10:11], s[10:11], s[12:13]
	v_cndmask_b32_e64 v113, v114, v113, s[22:23]
	v_cndmask_b32_e64 v38, v38, v40, s[20:21]
	;; [unrolled: 1-line block ×6, first 2 shown]
	s_waitcnt lgkmcnt(0)
	; wave barrier
	ds_write2_b64 v53, v[14:15], v[16:17] offset1:1
	ds_write2_b64 v53, v[8:9], v[12:13] offset0:2 offset1:3
	ds_write2_b64 v53, v[6:7], v[10:11] offset0:4 offset1:5
	;; [unrolled: 1-line block ×3, first 2 shown]
	v_lshlrev_b32_e32 v2, 3, v25
	v_lshlrev_b32_e32 v3, 3, v24
	;; [unrolled: 1-line block ×4, first 2 shown]
	s_waitcnt lgkmcnt(0)
	; wave barrier
	s_waitcnt lgkmcnt(0)
	ds_read_b64 v[14:15], v2
	ds_read_b64 v[16:17], v3
	ds_read_b64 v[8:9], v4
	ds_read_b64 v[12:13], v5
	v_lshlrev_b32_e32 v2, 3, v36
	v_lshlrev_b32_e32 v3, 3, v40
	v_lshlrev_b32_e32 v4, 3, v113
	v_lshlrev_b32_e32 v5, 3, v29
	ds_read_b64 v[6:7], v2
	ds_read_b64 v[10:11], v3
	;; [unrolled: 1-line block ×4, first 2 shown]
	v_cndmask_b32_e64 v39, v39, v41, s[20:21]
	v_cndmask_b32_e64 v35, v35, v37, s[18:19]
	;; [unrolled: 1-line block ×5, first 2 shown]
	s_waitcnt lgkmcnt(0)
	; wave barrier
	s_waitcnt lgkmcnt(0)
	ds_write2_b64 v53, v[18:19], v[22:23] offset1:1
	ds_write2_b64 v53, v[26:27], v[30:31] offset0:2 offset1:3
	ds_write2_b64 v53, v[34:35], v[38:39] offset0:4 offset1:5
	ds_write2_b64 v53, v[42:43], v[20:21] offset0:6 offset1:7
	v_mov_b32_e32 v22, v93
	s_waitcnt lgkmcnt(0)
	; wave barrier
	s_waitcnt lgkmcnt(0)
	s_and_saveexec_b64 s[12:13], s[4:5]
	s_cbranch_execz .LBB129_102
; %bb.99:                               ;   in Loop: Header=BB129_2 Depth=1
	s_mov_b64 s[14:15], 0
	v_mov_b32_e32 v22, v93
	v_mov_b32_e32 v18, v89
.LBB129_100:                            ;   Parent Loop BB129_2 Depth=1
                                        ; =>  This Inner Loop Header: Depth=2
	v_sub_u32_e32 v19, v18, v22
	v_lshrrev_b32_e32 v20, 31, v19
	v_add_u32_e32 v19, v19, v20
	v_ashrrev_i32_e32 v19, 1, v19
	v_add_u32_e32 v19, v19, v22
	v_lshl_add_u32 v20, v19, 3, v75
	v_xad_u32 v21, v19, -1, v61
	v_lshl_add_u32 v23, v21, 3, v84
	ds_read_b64 v[20:21], v20
	ds_read_b64 v[24:25], v23
	v_add_u32_e32 v23, 1, v19
	s_waitcnt lgkmcnt(0)
	v_cmp_lt_i64_e64 s[10:11], v[24:25], v[20:21]
	s_nop 1
	v_cndmask_b32_e64 v18, v18, v19, s[10:11]
	v_cndmask_b32_e64 v22, v23, v22, s[10:11]
	v_cmp_ge_i32_e64 s[10:11], v22, v18
	s_or_b64 s[14:15], s[10:11], s[14:15]
	s_andn2_b64 exec, exec, s[14:15]
	s_cbranch_execnz .LBB129_100
; %bb.101:                              ;   in Loop: Header=BB129_2 Depth=1
	s_or_b64 exec, exec, s[14:15]
.LBB129_102:                            ;   in Loop: Header=BB129_2 Depth=1
	s_or_b64 exec, exec, s[12:13]
	v_sub_u32_e32 v50, v85, v22
	v_lshl_add_u32 v24, v22, 3, v75
	v_lshlrev_b32_e32 v26, 3, v50
	ds_read_b64 v[18:19], v24
	ds_read_b64 v[20:21], v26
	v_add_u32_e32 v51, v22, v60
	v_cmp_le_i32_e64 s[12:13], v73, v51
	v_cmp_gt_i32_e64 s[10:11], v74, v50
                                        ; implicit-def: $vgpr22_vgpr23
	s_waitcnt lgkmcnt(0)
	v_cmp_lt_i64_e64 s[14:15], v[20:21], v[18:19]
	s_or_b64 s[12:13], s[12:13], s[14:15]
	s_and_b64 s[10:11], s[10:11], s[12:13]
	s_xor_b64 s[12:13], s[10:11], -1
	s_and_saveexec_b64 s[14:15], s[12:13]
	s_xor_b64 s[12:13], exec, s[14:15]
	s_cbranch_execz .LBB129_104
; %bb.103:                              ;   in Loop: Header=BB129_2 Depth=1
	ds_read_b64 v[22:23], v24 offset:8
                                        ; implicit-def: $vgpr26
.LBB129_104:                            ;   in Loop: Header=BB129_2 Depth=1
	s_or_saveexec_b64 s[12:13], s[12:13]
	v_mov_b64_e32 v[24:25], v[20:21]
	s_xor_b64 exec, exec, s[12:13]
	s_cbranch_execz .LBB129_106
; %bb.105:                              ;   in Loop: Header=BB129_2 Depth=1
	ds_read_b64 v[24:25], v26 offset:8
	s_waitcnt lgkmcnt(1)
	v_mov_b64_e32 v[22:23], v[18:19]
.LBB129_106:                            ;   in Loop: Header=BB129_2 Depth=1
	s_or_b64 exec, exec, s[12:13]
	v_add_u32_e32 v27, 1, v51
	v_add_u32_e32 v26, 1, v50
	v_cndmask_b32_e64 v104, v27, v51, s[10:11]
	v_cndmask_b32_e64 v103, v50, v26, s[10:11]
	v_cmp_ge_i32_e64 s[14:15], v104, v73
	s_waitcnt lgkmcnt(0)
	v_cmp_lt_i64_e64 s[16:17], v[24:25], v[22:23]
	v_cmp_lt_i32_e64 s[12:13], v103, v74
	s_or_b64 s[14:15], s[14:15], s[16:17]
	s_and_b64 s[12:13], s[12:13], s[14:15]
	s_xor_b64 s[14:15], s[12:13], -1
                                        ; implicit-def: $vgpr26_vgpr27
	s_and_saveexec_b64 s[16:17], s[14:15]
	s_xor_b64 s[14:15], exec, s[16:17]
	s_cbranch_execz .LBB129_108
; %bb.107:                              ;   in Loop: Header=BB129_2 Depth=1
	v_lshlrev_b32_e32 v26, 3, v104
	ds_read_b64 v[26:27], v26 offset:8
.LBB129_108:                            ;   in Loop: Header=BB129_2 Depth=1
	s_or_saveexec_b64 s[14:15], s[14:15]
	v_mov_b64_e32 v[28:29], v[24:25]
	s_xor_b64 exec, exec, s[14:15]
	s_cbranch_execz .LBB129_110
; %bb.109:                              ;   in Loop: Header=BB129_2 Depth=1
	s_waitcnt lgkmcnt(0)
	v_lshlrev_b32_e32 v26, 3, v103
	ds_read_b64 v[28:29], v26 offset:8
	v_mov_b64_e32 v[26:27], v[22:23]
.LBB129_110:                            ;   in Loop: Header=BB129_2 Depth=1
	s_or_b64 exec, exec, s[14:15]
	v_add_u32_e32 v31, 1, v104
	v_add_u32_e32 v30, 1, v103
	v_cndmask_b32_e64 v106, v31, v104, s[12:13]
	v_cndmask_b32_e64 v105, v103, v30, s[12:13]
	v_cmp_ge_i32_e64 s[16:17], v106, v73
	s_waitcnt lgkmcnt(0)
	v_cmp_lt_i64_e64 s[18:19], v[28:29], v[26:27]
	v_cmp_lt_i32_e64 s[14:15], v105, v74
	s_or_b64 s[16:17], s[16:17], s[18:19]
	s_and_b64 s[14:15], s[14:15], s[16:17]
	s_xor_b64 s[16:17], s[14:15], -1
                                        ; implicit-def: $vgpr30_vgpr31
	s_and_saveexec_b64 s[18:19], s[16:17]
	s_xor_b64 s[16:17], exec, s[18:19]
	s_cbranch_execz .LBB129_112
; %bb.111:                              ;   in Loop: Header=BB129_2 Depth=1
	v_lshlrev_b32_e32 v30, 3, v106
	ds_read_b64 v[30:31], v30 offset:8
.LBB129_112:                            ;   in Loop: Header=BB129_2 Depth=1
	s_or_saveexec_b64 s[16:17], s[16:17]
	v_mov_b64_e32 v[32:33], v[28:29]
	s_xor_b64 exec, exec, s[16:17]
	s_cbranch_execz .LBB129_114
; %bb.113:                              ;   in Loop: Header=BB129_2 Depth=1
	s_waitcnt lgkmcnt(0)
	v_lshlrev_b32_e32 v30, 3, v105
	ds_read_b64 v[32:33], v30 offset:8
	v_mov_b64_e32 v[30:31], v[26:27]
.LBB129_114:                            ;   in Loop: Header=BB129_2 Depth=1
	s_or_b64 exec, exec, s[16:17]
	v_add_u32_e32 v35, 1, v106
	v_add_u32_e32 v34, 1, v105
	v_cndmask_b32_e64 v108, v35, v106, s[14:15]
	v_cndmask_b32_e64 v107, v105, v34, s[14:15]
	v_cmp_ge_i32_e64 s[18:19], v108, v73
	s_waitcnt lgkmcnt(0)
	v_cmp_lt_i64_e64 s[20:21], v[32:33], v[30:31]
	v_cmp_lt_i32_e64 s[16:17], v107, v74
	s_or_b64 s[18:19], s[18:19], s[20:21]
	s_and_b64 s[16:17], s[16:17], s[18:19]
	s_xor_b64 s[18:19], s[16:17], -1
                                        ; implicit-def: $vgpr34_vgpr35
	s_and_saveexec_b64 s[20:21], s[18:19]
	s_xor_b64 s[18:19], exec, s[20:21]
	s_cbranch_execz .LBB129_116
; %bb.115:                              ;   in Loop: Header=BB129_2 Depth=1
	v_lshlrev_b32_e32 v34, 3, v108
	ds_read_b64 v[34:35], v34 offset:8
.LBB129_116:                            ;   in Loop: Header=BB129_2 Depth=1
	s_or_saveexec_b64 s[18:19], s[18:19]
	v_mov_b64_e32 v[36:37], v[32:33]
	s_xor_b64 exec, exec, s[18:19]
	s_cbranch_execz .LBB129_118
; %bb.117:                              ;   in Loop: Header=BB129_2 Depth=1
	s_waitcnt lgkmcnt(0)
	v_lshlrev_b32_e32 v34, 3, v107
	ds_read_b64 v[36:37], v34 offset:8
	v_mov_b64_e32 v[34:35], v[30:31]
.LBB129_118:                            ;   in Loop: Header=BB129_2 Depth=1
	s_or_b64 exec, exec, s[18:19]
	v_add_u32_e32 v39, 1, v108
	v_add_u32_e32 v38, 1, v107
	v_cndmask_b32_e64 v110, v39, v108, s[16:17]
	v_cndmask_b32_e64 v109, v107, v38, s[16:17]
	v_cmp_ge_i32_e64 s[20:21], v110, v73
	s_waitcnt lgkmcnt(0)
	v_cmp_lt_i64_e64 s[22:23], v[36:37], v[34:35]
	v_cmp_lt_i32_e64 s[18:19], v109, v74
	s_or_b64 s[20:21], s[20:21], s[22:23]
	s_and_b64 s[18:19], s[18:19], s[20:21]
	s_xor_b64 s[20:21], s[18:19], -1
                                        ; implicit-def: $vgpr38_vgpr39
	s_and_saveexec_b64 s[22:23], s[20:21]
	s_xor_b64 s[20:21], exec, s[22:23]
	s_cbranch_execz .LBB129_120
; %bb.119:                              ;   in Loop: Header=BB129_2 Depth=1
	v_lshlrev_b32_e32 v38, 3, v110
	ds_read_b64 v[38:39], v38 offset:8
.LBB129_120:                            ;   in Loop: Header=BB129_2 Depth=1
	s_or_saveexec_b64 s[20:21], s[20:21]
	v_mov_b64_e32 v[40:41], v[36:37]
	s_xor_b64 exec, exec, s[20:21]
	s_cbranch_execz .LBB129_122
; %bb.121:                              ;   in Loop: Header=BB129_2 Depth=1
	s_waitcnt lgkmcnt(0)
	v_lshlrev_b32_e32 v38, 3, v109
	ds_read_b64 v[40:41], v38 offset:8
	v_mov_b64_e32 v[38:39], v[34:35]
.LBB129_122:                            ;   in Loop: Header=BB129_2 Depth=1
	s_or_b64 exec, exec, s[20:21]
	v_add_u32_e32 v43, 1, v110
	v_add_u32_e32 v42, 1, v109
	v_cndmask_b32_e64 v112, v43, v110, s[18:19]
	v_cndmask_b32_e64 v111, v109, v42, s[18:19]
	v_cmp_ge_i32_e64 s[22:23], v112, v73
	s_waitcnt lgkmcnt(0)
	v_cmp_lt_i64_e64 s[24:25], v[40:41], v[38:39]
	v_cmp_lt_i32_e64 s[20:21], v111, v74
	s_or_b64 s[22:23], s[22:23], s[24:25]
	s_and_b64 s[20:21], s[20:21], s[22:23]
	s_xor_b64 s[22:23], s[20:21], -1
                                        ; implicit-def: $vgpr42_vgpr43
	s_and_saveexec_b64 s[24:25], s[22:23]
	s_xor_b64 s[22:23], exec, s[24:25]
	s_cbranch_execz .LBB129_124
; %bb.123:                              ;   in Loop: Header=BB129_2 Depth=1
	v_lshlrev_b32_e32 v42, 3, v112
	ds_read_b64 v[42:43], v42 offset:8
.LBB129_124:                            ;   in Loop: Header=BB129_2 Depth=1
	s_or_saveexec_b64 s[22:23], s[22:23]
	v_mov_b64_e32 v[46:47], v[40:41]
	s_xor_b64 exec, exec, s[22:23]
	s_cbranch_execz .LBB129_126
; %bb.125:                              ;   in Loop: Header=BB129_2 Depth=1
	s_waitcnt lgkmcnt(0)
	v_lshlrev_b32_e32 v42, 3, v111
	ds_read_b64 v[46:47], v42 offset:8
	v_mov_b64_e32 v[42:43], v[38:39]
.LBB129_126:                            ;   in Loop: Header=BB129_2 Depth=1
	s_or_b64 exec, exec, s[22:23]
	v_add_u32_e32 v45, 1, v112
	v_add_u32_e32 v44, 1, v111
	v_cndmask_b32_e64 v114, v45, v112, s[20:21]
	v_cndmask_b32_e64 v113, v111, v44, s[20:21]
	v_cmp_ge_i32_e64 s[24:25], v114, v73
	s_waitcnt lgkmcnt(0)
	v_cmp_lt_i64_e64 s[26:27], v[46:47], v[42:43]
	v_cmp_lt_i32_e64 s[22:23], v113, v74
	s_or_b64 s[24:25], s[24:25], s[26:27]
	s_and_b64 s[22:23], s[22:23], s[24:25]
	s_xor_b64 s[24:25], s[22:23], -1
                                        ; implicit-def: $vgpr44_vgpr45
	s_and_saveexec_b64 s[26:27], s[24:25]
	s_xor_b64 s[24:25], exec, s[26:27]
	s_cbranch_execz .LBB129_128
; %bb.127:                              ;   in Loop: Header=BB129_2 Depth=1
	v_lshlrev_b32_e32 v44, 3, v114
	ds_read_b64 v[44:45], v44 offset:8
.LBB129_128:                            ;   in Loop: Header=BB129_2 Depth=1
	s_or_saveexec_b64 s[24:25], s[24:25]
	v_mov_b64_e32 v[48:49], v[46:47]
	s_xor_b64 exec, exec, s[24:25]
	s_cbranch_execz .LBB129_130
; %bb.129:                              ;   in Loop: Header=BB129_2 Depth=1
	s_waitcnt lgkmcnt(0)
	v_lshlrev_b32_e32 v44, 3, v113
	ds_read_b64 v[48:49], v44 offset:8
	v_mov_b64_e32 v[44:45], v[42:43]
.LBB129_130:                            ;   in Loop: Header=BB129_2 Depth=1
	s_or_b64 exec, exec, s[24:25]
	v_cndmask_b32_e64 v43, v43, v47, s[22:23]
	v_add_u32_e32 v47, 1, v114
	v_cndmask_b32_e64 v42, v42, v46, s[22:23]
	v_add_u32_e32 v46, 1, v113
	v_cndmask_b32_e64 v47, v47, v114, s[22:23]
	v_cndmask_b32_e64 v46, v113, v46, s[22:23]
	;; [unrolled: 1-line block ×8, first 2 shown]
	v_cmp_ge_i32_e64 s[12:13], v47, v73
	s_waitcnt lgkmcnt(0)
	v_cmp_lt_i64_e64 s[14:15], v[48:49], v[44:45]
	v_cndmask_b32_e64 v19, v19, v21, s[10:11]
	v_cndmask_b32_e64 v18, v18, v20, s[10:11]
	;; [unrolled: 1-line block ×3, first 2 shown]
	v_cmp_lt_i32_e64 s[10:11], v46, v74
	s_or_b64 s[12:13], s[12:13], s[14:15]
	v_cndmask_b32_e64 v30, v30, v32, s[16:17]
	v_cndmask_b32_e64 v32, v108, v107, s[16:17]
	s_and_b64 s[10:11], s[10:11], s[12:13]
	v_cndmask_b32_e64 v113, v114, v113, s[22:23]
	v_cndmask_b32_e64 v38, v38, v40, s[20:21]
	;; [unrolled: 1-line block ×6, first 2 shown]
	s_waitcnt lgkmcnt(0)
	; wave barrier
	ds_write2_b64 v53, v[14:15], v[16:17] offset1:1
	ds_write2_b64 v53, v[8:9], v[12:13] offset0:2 offset1:3
	ds_write2_b64 v53, v[6:7], v[10:11] offset0:4 offset1:5
	;; [unrolled: 1-line block ×3, first 2 shown]
	v_lshlrev_b32_e32 v2, 3, v25
	v_lshlrev_b32_e32 v3, 3, v24
	;; [unrolled: 1-line block ×4, first 2 shown]
	s_waitcnt lgkmcnt(0)
	; wave barrier
	s_waitcnt lgkmcnt(0)
	ds_read_b64 v[14:15], v2
	ds_read_b64 v[16:17], v3
	;; [unrolled: 1-line block ×4, first 2 shown]
	v_lshlrev_b32_e32 v2, 3, v36
	v_lshlrev_b32_e32 v3, 3, v40
	;; [unrolled: 1-line block ×4, first 2 shown]
	ds_read_b64 v[6:7], v2
	ds_read_b64 v[10:11], v3
	ds_read_b64 v[2:3], v4
	ds_read_b64 v[4:5], v5
	v_cndmask_b32_e64 v39, v39, v41, s[20:21]
	v_cndmask_b32_e64 v35, v35, v37, s[18:19]
	v_cndmask_b32_e64 v31, v31, v33, s[16:17]
	v_cndmask_b32_e64 v21, v45, v49, s[10:11]
	v_cndmask_b32_e64 v20, v44, v48, s[10:11]
	s_waitcnt lgkmcnt(0)
	; wave barrier
	s_waitcnt lgkmcnt(0)
	ds_write2_b64 v53, v[18:19], v[22:23] offset1:1
	ds_write2_b64 v53, v[26:27], v[30:31] offset0:2 offset1:3
	ds_write2_b64 v53, v[34:35], v[38:39] offset0:4 offset1:5
	;; [unrolled: 1-line block ×3, first 2 shown]
	v_mov_b32_e32 v22, v96
	s_waitcnt lgkmcnt(0)
	; wave barrier
	s_waitcnt lgkmcnt(0)
	s_and_saveexec_b64 s[12:13], s[6:7]
	s_cbranch_execz .LBB129_134
; %bb.131:                              ;   in Loop: Header=BB129_2 Depth=1
	s_mov_b64 s[14:15], 0
	v_mov_b32_e32 v22, v96
	v_mov_b32_e32 v18, v97
.LBB129_132:                            ;   Parent Loop BB129_2 Depth=1
                                        ; =>  This Inner Loop Header: Depth=2
	v_sub_u32_e32 v19, v18, v22
	v_lshrrev_b32_e32 v20, 31, v19
	v_add_u32_e32 v19, v19, v20
	v_ashrrev_i32_e32 v19, 1, v19
	v_add_u32_e32 v19, v19, v22
	v_lshl_add_u32 v20, v19, 3, v94
	v_xad_u32 v21, v19, -1, v63
	v_lshl_add_u32 v23, v21, 3, v95
	ds_read_b64 v[20:21], v20
	ds_read_b64 v[24:25], v23
	v_add_u32_e32 v23, 1, v19
	s_waitcnt lgkmcnt(0)
	v_cmp_lt_i64_e64 s[10:11], v[24:25], v[20:21]
	s_nop 1
	v_cndmask_b32_e64 v18, v18, v19, s[10:11]
	v_cndmask_b32_e64 v22, v23, v22, s[10:11]
	v_cmp_ge_i32_e64 s[10:11], v22, v18
	s_or_b64 s[14:15], s[10:11], s[14:15]
	s_andn2_b64 exec, exec, s[14:15]
	s_cbranch_execnz .LBB129_132
; %bb.133:                              ;   in Loop: Header=BB129_2 Depth=1
	s_or_b64 exec, exec, s[14:15]
.LBB129_134:                            ;   in Loop: Header=BB129_2 Depth=1
	s_or_b64 exec, exec, s[12:13]
	v_sub_u32_e32 v50, v98, v22
	v_lshl_add_u32 v24, v22, 3, v94
	v_lshlrev_b32_e32 v26, 3, v50
	ds_read_b64 v[18:19], v24
	ds_read_b64 v[20:21], v26
	v_add_u32_e32 v51, v22, v62
	v_cmp_le_i32_e64 s[12:13], v76, v51
	v_cmp_gt_i32_e64 s[10:11], v77, v50
                                        ; implicit-def: $vgpr22_vgpr23
	s_waitcnt lgkmcnt(0)
	v_cmp_lt_i64_e64 s[14:15], v[20:21], v[18:19]
	s_or_b64 s[12:13], s[12:13], s[14:15]
	s_and_b64 s[10:11], s[10:11], s[12:13]
	s_xor_b64 s[12:13], s[10:11], -1
	s_and_saveexec_b64 s[14:15], s[12:13]
	s_xor_b64 s[12:13], exec, s[14:15]
	s_cbranch_execz .LBB129_136
; %bb.135:                              ;   in Loop: Header=BB129_2 Depth=1
	ds_read_b64 v[22:23], v24 offset:8
                                        ; implicit-def: $vgpr26
.LBB129_136:                            ;   in Loop: Header=BB129_2 Depth=1
	s_or_saveexec_b64 s[12:13], s[12:13]
	v_mov_b64_e32 v[24:25], v[20:21]
	s_xor_b64 exec, exec, s[12:13]
	s_cbranch_execz .LBB129_138
; %bb.137:                              ;   in Loop: Header=BB129_2 Depth=1
	ds_read_b64 v[24:25], v26 offset:8
	s_waitcnt lgkmcnt(1)
	v_mov_b64_e32 v[22:23], v[18:19]
.LBB129_138:                            ;   in Loop: Header=BB129_2 Depth=1
	s_or_b64 exec, exec, s[12:13]
	v_add_u32_e32 v27, 1, v51
	v_add_u32_e32 v26, 1, v50
	v_cndmask_b32_e64 v104, v27, v51, s[10:11]
	v_cndmask_b32_e64 v103, v50, v26, s[10:11]
	v_cmp_ge_i32_e64 s[14:15], v104, v76
	s_waitcnt lgkmcnt(0)
	v_cmp_lt_i64_e64 s[16:17], v[24:25], v[22:23]
	v_cmp_lt_i32_e64 s[12:13], v103, v77
	s_or_b64 s[14:15], s[14:15], s[16:17]
	s_and_b64 s[12:13], s[12:13], s[14:15]
	s_xor_b64 s[14:15], s[12:13], -1
                                        ; implicit-def: $vgpr26_vgpr27
	s_and_saveexec_b64 s[16:17], s[14:15]
	s_xor_b64 s[14:15], exec, s[16:17]
	s_cbranch_execz .LBB129_140
; %bb.139:                              ;   in Loop: Header=BB129_2 Depth=1
	v_lshlrev_b32_e32 v26, 3, v104
	ds_read_b64 v[26:27], v26 offset:8
.LBB129_140:                            ;   in Loop: Header=BB129_2 Depth=1
	s_or_saveexec_b64 s[14:15], s[14:15]
	v_mov_b64_e32 v[28:29], v[24:25]
	s_xor_b64 exec, exec, s[14:15]
	s_cbranch_execz .LBB129_142
; %bb.141:                              ;   in Loop: Header=BB129_2 Depth=1
	s_waitcnt lgkmcnt(0)
	v_lshlrev_b32_e32 v26, 3, v103
	ds_read_b64 v[28:29], v26 offset:8
	v_mov_b64_e32 v[26:27], v[22:23]
.LBB129_142:                            ;   in Loop: Header=BB129_2 Depth=1
	s_or_b64 exec, exec, s[14:15]
	v_add_u32_e32 v31, 1, v104
	v_add_u32_e32 v30, 1, v103
	v_cndmask_b32_e64 v106, v31, v104, s[12:13]
	v_cndmask_b32_e64 v105, v103, v30, s[12:13]
	v_cmp_ge_i32_e64 s[16:17], v106, v76
	s_waitcnt lgkmcnt(0)
	v_cmp_lt_i64_e64 s[18:19], v[28:29], v[26:27]
	v_cmp_lt_i32_e64 s[14:15], v105, v77
	s_or_b64 s[16:17], s[16:17], s[18:19]
	s_and_b64 s[14:15], s[14:15], s[16:17]
	s_xor_b64 s[16:17], s[14:15], -1
                                        ; implicit-def: $vgpr30_vgpr31
	s_and_saveexec_b64 s[18:19], s[16:17]
	s_xor_b64 s[16:17], exec, s[18:19]
	s_cbranch_execz .LBB129_144
; %bb.143:                              ;   in Loop: Header=BB129_2 Depth=1
	v_lshlrev_b32_e32 v30, 3, v106
	ds_read_b64 v[30:31], v30 offset:8
.LBB129_144:                            ;   in Loop: Header=BB129_2 Depth=1
	s_or_saveexec_b64 s[16:17], s[16:17]
	v_mov_b64_e32 v[32:33], v[28:29]
	s_xor_b64 exec, exec, s[16:17]
	s_cbranch_execz .LBB129_146
; %bb.145:                              ;   in Loop: Header=BB129_2 Depth=1
	s_waitcnt lgkmcnt(0)
	v_lshlrev_b32_e32 v30, 3, v105
	ds_read_b64 v[32:33], v30 offset:8
	v_mov_b64_e32 v[30:31], v[26:27]
.LBB129_146:                            ;   in Loop: Header=BB129_2 Depth=1
	s_or_b64 exec, exec, s[16:17]
	v_add_u32_e32 v35, 1, v106
	v_add_u32_e32 v34, 1, v105
	v_cndmask_b32_e64 v108, v35, v106, s[14:15]
	v_cndmask_b32_e64 v107, v105, v34, s[14:15]
	v_cmp_ge_i32_e64 s[18:19], v108, v76
	s_waitcnt lgkmcnt(0)
	v_cmp_lt_i64_e64 s[20:21], v[32:33], v[30:31]
	v_cmp_lt_i32_e64 s[16:17], v107, v77
	s_or_b64 s[18:19], s[18:19], s[20:21]
	s_and_b64 s[16:17], s[16:17], s[18:19]
	s_xor_b64 s[18:19], s[16:17], -1
                                        ; implicit-def: $vgpr34_vgpr35
	s_and_saveexec_b64 s[20:21], s[18:19]
	s_xor_b64 s[18:19], exec, s[20:21]
	s_cbranch_execz .LBB129_148
; %bb.147:                              ;   in Loop: Header=BB129_2 Depth=1
	v_lshlrev_b32_e32 v34, 3, v108
	ds_read_b64 v[34:35], v34 offset:8
.LBB129_148:                            ;   in Loop: Header=BB129_2 Depth=1
	s_or_saveexec_b64 s[18:19], s[18:19]
	v_mov_b64_e32 v[36:37], v[32:33]
	s_xor_b64 exec, exec, s[18:19]
	s_cbranch_execz .LBB129_150
; %bb.149:                              ;   in Loop: Header=BB129_2 Depth=1
	s_waitcnt lgkmcnt(0)
	v_lshlrev_b32_e32 v34, 3, v107
	ds_read_b64 v[36:37], v34 offset:8
	v_mov_b64_e32 v[34:35], v[30:31]
.LBB129_150:                            ;   in Loop: Header=BB129_2 Depth=1
	s_or_b64 exec, exec, s[18:19]
	v_add_u32_e32 v39, 1, v108
	v_add_u32_e32 v38, 1, v107
	v_cndmask_b32_e64 v110, v39, v108, s[16:17]
	v_cndmask_b32_e64 v109, v107, v38, s[16:17]
	v_cmp_ge_i32_e64 s[20:21], v110, v76
	s_waitcnt lgkmcnt(0)
	v_cmp_lt_i64_e64 s[22:23], v[36:37], v[34:35]
	v_cmp_lt_i32_e64 s[18:19], v109, v77
	s_or_b64 s[20:21], s[20:21], s[22:23]
	s_and_b64 s[18:19], s[18:19], s[20:21]
	s_xor_b64 s[20:21], s[18:19], -1
                                        ; implicit-def: $vgpr38_vgpr39
	s_and_saveexec_b64 s[22:23], s[20:21]
	s_xor_b64 s[20:21], exec, s[22:23]
	s_cbranch_execz .LBB129_152
; %bb.151:                              ;   in Loop: Header=BB129_2 Depth=1
	v_lshlrev_b32_e32 v38, 3, v110
	ds_read_b64 v[38:39], v38 offset:8
.LBB129_152:                            ;   in Loop: Header=BB129_2 Depth=1
	s_or_saveexec_b64 s[20:21], s[20:21]
	v_mov_b64_e32 v[40:41], v[36:37]
	s_xor_b64 exec, exec, s[20:21]
	s_cbranch_execz .LBB129_154
; %bb.153:                              ;   in Loop: Header=BB129_2 Depth=1
	s_waitcnt lgkmcnt(0)
	v_lshlrev_b32_e32 v38, 3, v109
	ds_read_b64 v[40:41], v38 offset:8
	v_mov_b64_e32 v[38:39], v[34:35]
.LBB129_154:                            ;   in Loop: Header=BB129_2 Depth=1
	s_or_b64 exec, exec, s[20:21]
	v_add_u32_e32 v43, 1, v110
	v_add_u32_e32 v42, 1, v109
	v_cndmask_b32_e64 v112, v43, v110, s[18:19]
	v_cndmask_b32_e64 v111, v109, v42, s[18:19]
	v_cmp_ge_i32_e64 s[22:23], v112, v76
	s_waitcnt lgkmcnt(0)
	v_cmp_lt_i64_e64 s[24:25], v[40:41], v[38:39]
	v_cmp_lt_i32_e64 s[20:21], v111, v77
	s_or_b64 s[22:23], s[22:23], s[24:25]
	s_and_b64 s[20:21], s[20:21], s[22:23]
	s_xor_b64 s[22:23], s[20:21], -1
                                        ; implicit-def: $vgpr42_vgpr43
	s_and_saveexec_b64 s[24:25], s[22:23]
	s_xor_b64 s[22:23], exec, s[24:25]
	s_cbranch_execz .LBB129_156
; %bb.155:                              ;   in Loop: Header=BB129_2 Depth=1
	v_lshlrev_b32_e32 v42, 3, v112
	ds_read_b64 v[42:43], v42 offset:8
.LBB129_156:                            ;   in Loop: Header=BB129_2 Depth=1
	s_or_saveexec_b64 s[22:23], s[22:23]
	v_mov_b64_e32 v[46:47], v[40:41]
	s_xor_b64 exec, exec, s[22:23]
	s_cbranch_execz .LBB129_158
; %bb.157:                              ;   in Loop: Header=BB129_2 Depth=1
	s_waitcnt lgkmcnt(0)
	v_lshlrev_b32_e32 v42, 3, v111
	ds_read_b64 v[46:47], v42 offset:8
	v_mov_b64_e32 v[42:43], v[38:39]
.LBB129_158:                            ;   in Loop: Header=BB129_2 Depth=1
	s_or_b64 exec, exec, s[22:23]
	v_add_u32_e32 v45, 1, v112
	v_add_u32_e32 v44, 1, v111
	v_cndmask_b32_e64 v114, v45, v112, s[20:21]
	v_cndmask_b32_e64 v113, v111, v44, s[20:21]
	v_cmp_ge_i32_e64 s[24:25], v114, v76
	s_waitcnt lgkmcnt(0)
	v_cmp_lt_i64_e64 s[26:27], v[46:47], v[42:43]
	v_cmp_lt_i32_e64 s[22:23], v113, v77
	s_or_b64 s[24:25], s[24:25], s[26:27]
	s_and_b64 s[22:23], s[22:23], s[24:25]
	s_xor_b64 s[24:25], s[22:23], -1
                                        ; implicit-def: $vgpr44_vgpr45
	s_and_saveexec_b64 s[26:27], s[24:25]
	s_xor_b64 s[24:25], exec, s[26:27]
	s_cbranch_execz .LBB129_160
; %bb.159:                              ;   in Loop: Header=BB129_2 Depth=1
	v_lshlrev_b32_e32 v44, 3, v114
	ds_read_b64 v[44:45], v44 offset:8
.LBB129_160:                            ;   in Loop: Header=BB129_2 Depth=1
	s_or_saveexec_b64 s[24:25], s[24:25]
	v_mov_b64_e32 v[48:49], v[46:47]
	s_xor_b64 exec, exec, s[24:25]
	s_cbranch_execz .LBB129_162
; %bb.161:                              ;   in Loop: Header=BB129_2 Depth=1
	s_waitcnt lgkmcnt(0)
	v_lshlrev_b32_e32 v44, 3, v113
	ds_read_b64 v[48:49], v44 offset:8
	v_mov_b64_e32 v[44:45], v[42:43]
.LBB129_162:                            ;   in Loop: Header=BB129_2 Depth=1
	s_or_b64 exec, exec, s[24:25]
	v_cndmask_b32_e64 v43, v43, v47, s[22:23]
	v_add_u32_e32 v47, 1, v114
	v_cndmask_b32_e64 v42, v42, v46, s[22:23]
	v_add_u32_e32 v46, 1, v113
	v_cndmask_b32_e64 v47, v47, v114, s[22:23]
	v_cndmask_b32_e64 v46, v113, v46, s[22:23]
	;; [unrolled: 1-line block ×8, first 2 shown]
	v_cmp_ge_i32_e64 s[12:13], v47, v76
	s_waitcnt lgkmcnt(0)
	v_cmp_lt_i64_e64 s[14:15], v[48:49], v[44:45]
	v_cndmask_b32_e64 v19, v19, v21, s[10:11]
	v_cndmask_b32_e64 v18, v18, v20, s[10:11]
	;; [unrolled: 1-line block ×3, first 2 shown]
	v_cmp_lt_i32_e64 s[10:11], v46, v77
	s_or_b64 s[12:13], s[12:13], s[14:15]
	v_cndmask_b32_e64 v30, v30, v32, s[16:17]
	v_cndmask_b32_e64 v32, v108, v107, s[16:17]
	s_and_b64 s[10:11], s[10:11], s[12:13]
	v_cndmask_b32_e64 v113, v114, v113, s[22:23]
	v_cndmask_b32_e64 v38, v38, v40, s[20:21]
	;; [unrolled: 1-line block ×6, first 2 shown]
	s_waitcnt lgkmcnt(0)
	; wave barrier
	ds_write2_b64 v53, v[14:15], v[16:17] offset1:1
	ds_write2_b64 v53, v[8:9], v[12:13] offset0:2 offset1:3
	ds_write2_b64 v53, v[6:7], v[10:11] offset0:4 offset1:5
	;; [unrolled: 1-line block ×3, first 2 shown]
	v_lshlrev_b32_e32 v2, 3, v25
	v_lshlrev_b32_e32 v3, 3, v24
	v_lshlrev_b32_e32 v4, 3, v28
	v_lshlrev_b32_e32 v5, 3, v32
	s_waitcnt lgkmcnt(0)
	; wave barrier
	s_waitcnt lgkmcnt(0)
	ds_read_b64 v[14:15], v2
	ds_read_b64 v[16:17], v3
	;; [unrolled: 1-line block ×4, first 2 shown]
	v_lshlrev_b32_e32 v2, 3, v36
	v_lshlrev_b32_e32 v3, 3, v40
	;; [unrolled: 1-line block ×4, first 2 shown]
	ds_read_b64 v[6:7], v2
	ds_read_b64 v[10:11], v3
	;; [unrolled: 1-line block ×4, first 2 shown]
	v_mov_b32_e32 v103, v100
	v_cndmask_b32_e64 v39, v39, v41, s[20:21]
	v_cndmask_b32_e64 v35, v35, v37, s[18:19]
	;; [unrolled: 1-line block ×5, first 2 shown]
	s_waitcnt lgkmcnt(0)
	; wave barrier
	s_waitcnt lgkmcnt(0)
	ds_write2_b64 v53, v[18:19], v[22:23] offset1:1
	ds_write2_b64 v53, v[26:27], v[30:31] offset0:2 offset1:3
	ds_write2_b64 v53, v[34:35], v[38:39] offset0:4 offset1:5
	;; [unrolled: 1-line block ×3, first 2 shown]
	s_waitcnt lgkmcnt(0)
	; wave barrier
	s_waitcnt lgkmcnt(0)
	s_and_saveexec_b64 s[12:13], s[8:9]
	s_cbranch_execz .LBB129_166
; %bb.163:                              ;   in Loop: Header=BB129_2 Depth=1
	s_mov_b64 s[14:15], 0
	v_mov_b32_e32 v103, v100
	v_mov_b32_e32 v18, v101
.LBB129_164:                            ;   Parent Loop BB129_2 Depth=1
                                        ; =>  This Inner Loop Header: Depth=2
	v_sub_u32_e32 v19, v18, v103
	v_lshrrev_b32_e32 v20, 31, v19
	v_add_u32_e32 v19, v19, v20
	v_ashrrev_i32_e32 v19, 1, v19
	v_add_u32_e32 v19, v19, v103
	v_xad_u32 v21, v19, -1, v1
	v_lshlrev_b32_e32 v20, 3, v19
	v_lshl_add_u32 v22, v21, 3, v99
	ds_read_b64 v[20:21], v20
	ds_read_b64 v[22:23], v22
	v_add_u32_e32 v24, 1, v19
	s_waitcnt lgkmcnt(0)
	v_cmp_lt_i64_e64 s[10:11], v[22:23], v[20:21]
	s_nop 1
	v_cndmask_b32_e64 v18, v18, v19, s[10:11]
	v_cndmask_b32_e64 v103, v24, v103, s[10:11]
	v_cmp_ge_i32_e64 s[10:11], v103, v18
	s_or_b64 s[14:15], s[10:11], s[14:15]
	s_andn2_b64 exec, exec, s[14:15]
	s_cbranch_execnz .LBB129_164
; %bb.165:                              ;   in Loop: Header=BB129_2 Depth=1
	s_or_b64 exec, exec, s[14:15]
.LBB129_166:                            ;   in Loop: Header=BB129_2 Depth=1
	s_or_b64 exec, exec, s[12:13]
	v_sub_u32_e32 v104, v102, v103
	v_lshlrev_b32_e32 v24, 3, v103
	v_lshlrev_b32_e32 v26, 3, v104
	ds_read_b64 v[18:19], v24
	ds_read_b64 v[20:21], v26
	v_cmp_le_i32_e64 s[12:13], v52, v103
	v_cmp_gt_i32_e64 s[10:11], s33, v104
                                        ; implicit-def: $vgpr22_vgpr23
	s_waitcnt lgkmcnt(0)
	v_cmp_lt_i64_e64 s[14:15], v[20:21], v[18:19]
	s_or_b64 s[12:13], s[12:13], s[14:15]
	s_and_b64 s[10:11], s[10:11], s[12:13]
	s_xor_b64 s[12:13], s[10:11], -1
	s_and_saveexec_b64 s[14:15], s[12:13]
	s_xor_b64 s[12:13], exec, s[14:15]
	s_cbranch_execz .LBB129_168
; %bb.167:                              ;   in Loop: Header=BB129_2 Depth=1
	ds_read_b64 v[22:23], v24 offset:8
                                        ; implicit-def: $vgpr26
.LBB129_168:                            ;   in Loop: Header=BB129_2 Depth=1
	s_or_saveexec_b64 s[12:13], s[12:13]
	v_mov_b64_e32 v[24:25], v[20:21]
	s_xor_b64 exec, exec, s[12:13]
	s_cbranch_execz .LBB129_170
; %bb.169:                              ;   in Loop: Header=BB129_2 Depth=1
	ds_read_b64 v[24:25], v26 offset:8
	s_waitcnt lgkmcnt(1)
	v_mov_b64_e32 v[22:23], v[18:19]
.LBB129_170:                            ;   in Loop: Header=BB129_2 Depth=1
	s_or_b64 exec, exec, s[12:13]
	v_add_u32_e32 v27, 1, v103
	v_add_u32_e32 v26, 1, v104
	v_cndmask_b32_e64 v106, v27, v103, s[10:11]
	v_cndmask_b32_e64 v105, v104, v26, s[10:11]
	v_cmp_ge_i32_e64 s[14:15], v106, v52
	s_waitcnt lgkmcnt(0)
	v_cmp_lt_i64_e64 s[16:17], v[24:25], v[22:23]
	v_cmp_gt_i32_e64 s[12:13], s33, v105
	s_or_b64 s[14:15], s[14:15], s[16:17]
	s_and_b64 s[12:13], s[12:13], s[14:15]
	s_xor_b64 s[14:15], s[12:13], -1
                                        ; implicit-def: $vgpr28_vgpr29
	s_and_saveexec_b64 s[16:17], s[14:15]
	s_xor_b64 s[14:15], exec, s[16:17]
	s_cbranch_execz .LBB129_172
; %bb.171:                              ;   in Loop: Header=BB129_2 Depth=1
	v_lshlrev_b32_e32 v26, 3, v106
	ds_read_b64 v[28:29], v26 offset:8
.LBB129_172:                            ;   in Loop: Header=BB129_2 Depth=1
	s_or_saveexec_b64 s[14:15], s[14:15]
	v_mov_b64_e32 v[30:31], v[24:25]
	s_xor_b64 exec, exec, s[14:15]
	s_cbranch_execz .LBB129_174
; %bb.173:                              ;   in Loop: Header=BB129_2 Depth=1
	v_lshlrev_b32_e32 v26, 3, v105
	ds_read_b64 v[30:31], v26 offset:8
	s_waitcnt lgkmcnt(1)
	v_mov_b64_e32 v[28:29], v[22:23]
.LBB129_174:                            ;   in Loop: Header=BB129_2 Depth=1
	s_or_b64 exec, exec, s[14:15]
	v_add_u32_e32 v27, 1, v106
	v_add_u32_e32 v26, 1, v105
	v_cndmask_b32_e64 v108, v27, v106, s[12:13]
	v_cndmask_b32_e64 v107, v105, v26, s[12:13]
	v_cmp_ge_i32_e64 s[16:17], v108, v52
	s_waitcnt lgkmcnt(0)
	v_cmp_lt_i64_e64 s[18:19], v[30:31], v[28:29]
	v_cmp_gt_i32_e64 s[14:15], s33, v107
	s_or_b64 s[16:17], s[16:17], s[18:19]
	s_and_b64 s[14:15], s[14:15], s[16:17]
	s_xor_b64 s[16:17], s[14:15], -1
                                        ; implicit-def: $vgpr32_vgpr33
	s_and_saveexec_b64 s[18:19], s[16:17]
	s_xor_b64 s[16:17], exec, s[18:19]
	s_cbranch_execz .LBB129_176
; %bb.175:                              ;   in Loop: Header=BB129_2 Depth=1
	v_lshlrev_b32_e32 v26, 3, v108
	ds_read_b64 v[32:33], v26 offset:8
.LBB129_176:                            ;   in Loop: Header=BB129_2 Depth=1
	s_or_saveexec_b64 s[16:17], s[16:17]
	v_mov_b64_e32 v[34:35], v[30:31]
	s_xor_b64 exec, exec, s[16:17]
	s_cbranch_execz .LBB129_178
; %bb.177:                              ;   in Loop: Header=BB129_2 Depth=1
	v_lshlrev_b32_e32 v26, 3, v107
	ds_read_b64 v[34:35], v26 offset:8
	s_waitcnt lgkmcnt(1)
	v_mov_b64_e32 v[32:33], v[28:29]
.LBB129_178:                            ;   in Loop: Header=BB129_2 Depth=1
	s_or_b64 exec, exec, s[16:17]
	v_add_u32_e32 v27, 1, v108
	v_add_u32_e32 v26, 1, v107
	v_cndmask_b32_e64 v110, v27, v108, s[14:15]
	v_cndmask_b32_e64 v109, v107, v26, s[14:15]
	v_cmp_ge_i32_e64 s[18:19], v110, v52
	s_waitcnt lgkmcnt(0)
	v_cmp_lt_i64_e64 s[20:21], v[34:35], v[32:33]
	v_cmp_gt_i32_e64 s[16:17], s33, v109
	s_or_b64 s[18:19], s[18:19], s[20:21]
	s_and_b64 s[16:17], s[16:17], s[18:19]
	s_xor_b64 s[18:19], s[16:17], -1
                                        ; implicit-def: $vgpr38_vgpr39
	s_and_saveexec_b64 s[20:21], s[18:19]
	s_xor_b64 s[18:19], exec, s[20:21]
	s_cbranch_execz .LBB129_180
; %bb.179:                              ;   in Loop: Header=BB129_2 Depth=1
	v_lshlrev_b32_e32 v26, 3, v110
	ds_read_b64 v[38:39], v26 offset:8
.LBB129_180:                            ;   in Loop: Header=BB129_2 Depth=1
	s_or_saveexec_b64 s[18:19], s[18:19]
	v_mov_b64_e32 v[42:43], v[34:35]
	s_xor_b64 exec, exec, s[18:19]
	s_cbranch_execz .LBB129_182
; %bb.181:                              ;   in Loop: Header=BB129_2 Depth=1
	v_lshlrev_b32_e32 v26, 3, v109
	ds_read_b64 v[42:43], v26 offset:8
	s_waitcnt lgkmcnt(1)
	v_mov_b64_e32 v[38:39], v[32:33]
.LBB129_182:                            ;   in Loop: Header=BB129_2 Depth=1
	s_or_b64 exec, exec, s[18:19]
	v_add_u32_e32 v27, 1, v110
	v_add_u32_e32 v26, 1, v109
	v_cndmask_b32_e64 v112, v27, v110, s[16:17]
	v_cndmask_b32_e64 v111, v109, v26, s[16:17]
	v_cmp_ge_i32_e64 s[20:21], v112, v52
	s_waitcnt lgkmcnt(0)
	v_cmp_lt_i64_e64 s[22:23], v[42:43], v[38:39]
	v_cmp_gt_i32_e64 s[18:19], s33, v111
	s_or_b64 s[20:21], s[20:21], s[22:23]
	s_and_b64 s[18:19], s[18:19], s[20:21]
	s_xor_b64 s[20:21], s[18:19], -1
                                        ; implicit-def: $vgpr46_vgpr47
	s_and_saveexec_b64 s[22:23], s[20:21]
	s_xor_b64 s[20:21], exec, s[22:23]
	s_cbranch_execz .LBB129_184
; %bb.183:                              ;   in Loop: Header=BB129_2 Depth=1
	v_lshlrev_b32_e32 v26, 3, v112
	ds_read_b64 v[46:47], v26 offset:8
.LBB129_184:                            ;   in Loop: Header=BB129_2 Depth=1
	s_or_saveexec_b64 s[20:21], s[20:21]
	v_mov_b64_e32 v[48:49], v[42:43]
	s_xor_b64 exec, exec, s[20:21]
	s_cbranch_execz .LBB129_186
; %bb.185:                              ;   in Loop: Header=BB129_2 Depth=1
	v_lshlrev_b32_e32 v26, 3, v111
	ds_read_b64 v[48:49], v26 offset:8
	s_waitcnt lgkmcnt(1)
	v_mov_b64_e32 v[46:47], v[38:39]
.LBB129_186:                            ;   in Loop: Header=BB129_2 Depth=1
	s_or_b64 exec, exec, s[20:21]
	v_add_u32_e32 v27, 1, v112
	v_add_u32_e32 v26, 1, v111
	v_cndmask_b32_e64 v114, v27, v112, s[18:19]
	v_cndmask_b32_e64 v113, v111, v26, s[18:19]
	v_cmp_ge_i32_e64 s[22:23], v114, v52
	s_waitcnt lgkmcnt(0)
	v_cmp_lt_i64_e64 s[24:25], v[48:49], v[46:47]
	v_cmp_gt_i32_e64 s[20:21], s33, v113
	s_or_b64 s[22:23], s[22:23], s[24:25]
	s_and_b64 s[22:23], s[20:21], s[22:23]
	s_xor_b64 s[20:21], s[22:23], -1
                                        ; implicit-def: $vgpr36_vgpr37
	s_and_saveexec_b64 s[24:25], s[20:21]
	s_xor_b64 s[20:21], exec, s[24:25]
	s_cbranch_execz .LBB129_188
; %bb.187:                              ;   in Loop: Header=BB129_2 Depth=1
	v_lshlrev_b32_e32 v26, 3, v114
	ds_read_b64 v[36:37], v26 offset:8
.LBB129_188:                            ;   in Loop: Header=BB129_2 Depth=1
	s_or_saveexec_b64 s[20:21], s[20:21]
	v_mov_b64_e32 v[40:41], v[48:49]
	s_xor_b64 exec, exec, s[20:21]
	s_cbranch_execz .LBB129_190
; %bb.189:                              ;   in Loop: Header=BB129_2 Depth=1
	v_lshlrev_b32_e32 v26, 3, v113
	ds_read_b64 v[40:41], v26 offset:8
	s_waitcnt lgkmcnt(1)
	v_mov_b64_e32 v[36:37], v[46:47]
.LBB129_190:                            ;   in Loop: Header=BB129_2 Depth=1
	s_or_b64 exec, exec, s[20:21]
	v_add_u32_e32 v26, 1, v113
	v_add_u32_e32 v27, 1, v114
	v_cndmask_b32_e64 v116, v113, v26, s[22:23]
	v_cndmask_b32_e64 v26, v27, v114, s[22:23]
	v_cmp_ge_i32_e64 s[24:25], v26, v52
	s_waitcnt lgkmcnt(0)
	v_cmp_lt_i64_e64 s[26:27], v[40:41], v[36:37]
	v_cmp_gt_i32_e64 s[20:21], s33, v116
	s_or_b64 s[24:25], s[24:25], s[26:27]
	s_and_b64 s[20:21], s[20:21], s[24:25]
	s_xor_b64 s[24:25], s[20:21], -1
                                        ; implicit-def: $vgpr44_vgpr45
                                        ; implicit-def: $vgpr117
	s_and_saveexec_b64 s[26:27], s[24:25]
	s_xor_b64 s[24:25], exec, s[26:27]
	s_cbranch_execz .LBB129_192
; %bb.191:                              ;   in Loop: Header=BB129_2 Depth=1
	v_lshlrev_b32_e32 v27, 3, v26
	ds_read_b64 v[44:45], v27 offset:8
	v_add_u32_e32 v117, 1, v26
.LBB129_192:                            ;   in Loop: Header=BB129_2 Depth=1
	s_or_saveexec_b64 s[24:25], s[24:25]
	v_mov_b32_e32 v115, v26
	v_mov_b64_e32 v[50:51], v[40:41]
	s_xor_b64 exec, exec, s[24:25]
	s_cbranch_execz .LBB129_1
; %bb.193:                              ;   in Loop: Header=BB129_2 Depth=1
	s_waitcnt lgkmcnt(0)
	v_lshlrev_b32_e32 v44, 3, v116
	ds_read_b64 v[50:51], v44 offset:8
	v_add_u32_e32 v27, 1, v116
	v_mov_b32_e32 v115, v116
	v_mov_b32_e32 v117, v26
	;; [unrolled: 1-line block ×3, first 2 shown]
	v_mov_b64_e32 v[44:45], v[36:37]
	s_branch .LBB129_1
.LBB129_194:
	s_add_u32 s0, s86, s88
	s_waitcnt lgkmcnt(7)
	v_lshl_add_u64 v[6:7], v[18:19], 0, v[6:7]
	s_addc_u32 s1, s87, s89
	v_lshlrev_b32_e32 v0, 3, v0
	s_waitcnt lgkmcnt(6)
	v_lshl_add_u64 v[8:9], v[26:27], 0, v[8:9]
	s_waitcnt lgkmcnt(5)
	v_lshl_add_u64 v[2:3], v[20:21], 0, v[2:3]
	s_waitcnt lgkmcnt(4)
	v_lshl_add_u64 v[4:5], v[28:29], 0, v[4:5]
	s_waitcnt lgkmcnt(3)
	v_lshl_add_u64 v[14:15], v[22:23], 0, v[14:15]
	s_waitcnt lgkmcnt(2)
	v_lshl_add_u64 v[16:17], v[30:31], 0, v[16:17]
	s_waitcnt lgkmcnt(1)
	v_lshl_add_u64 v[10:11], v[24:25], 0, v[10:11]
	s_waitcnt lgkmcnt(0)
	v_lshl_add_u64 v[12:13], v[32:33], 0, v[12:13]
	global_store_dwordx2 v0, v[6:7], s[0:1]
	global_store_dwordx2 v0, v[8:9], s[0:1] offset:512
	global_store_dwordx2 v0, v[2:3], s[0:1] offset:1024
	;; [unrolled: 1-line block ×7, first 2 shown]
	s_endpgm
	.section	.rodata,"a",@progbits
	.p2align	6, 0x0
	.amdhsa_kernel _Z17sort_pairs_kernelIxLj64ELj8EN10test_utils4lessELj10EEvPKT_PS2_T2_
		.amdhsa_group_segment_fixed_size 4104
		.amdhsa_private_segment_fixed_size 0
		.amdhsa_kernarg_size 20
		.amdhsa_user_sgpr_count 2
		.amdhsa_user_sgpr_dispatch_ptr 0
		.amdhsa_user_sgpr_queue_ptr 0
		.amdhsa_user_sgpr_kernarg_segment_ptr 1
		.amdhsa_user_sgpr_dispatch_id 0
		.amdhsa_user_sgpr_kernarg_preload_length 0
		.amdhsa_user_sgpr_kernarg_preload_offset 0
		.amdhsa_user_sgpr_private_segment_size 0
		.amdhsa_uses_dynamic_stack 0
		.amdhsa_enable_private_segment 0
		.amdhsa_system_sgpr_workgroup_id_x 1
		.amdhsa_system_sgpr_workgroup_id_y 0
		.amdhsa_system_sgpr_workgroup_id_z 0
		.amdhsa_system_sgpr_workgroup_info 0
		.amdhsa_system_vgpr_workitem_id 0
		.amdhsa_next_free_vgpr 118
		.amdhsa_next_free_sgpr 92
		.amdhsa_accum_offset 120
		.amdhsa_reserve_vcc 1
		.amdhsa_float_round_mode_32 0
		.amdhsa_float_round_mode_16_64 0
		.amdhsa_float_denorm_mode_32 3
		.amdhsa_float_denorm_mode_16_64 3
		.amdhsa_dx10_clamp 1
		.amdhsa_ieee_mode 1
		.amdhsa_fp16_overflow 0
		.amdhsa_tg_split 0
		.amdhsa_exception_fp_ieee_invalid_op 0
		.amdhsa_exception_fp_denorm_src 0
		.amdhsa_exception_fp_ieee_div_zero 0
		.amdhsa_exception_fp_ieee_overflow 0
		.amdhsa_exception_fp_ieee_underflow 0
		.amdhsa_exception_fp_ieee_inexact 0
		.amdhsa_exception_int_div_zero 0
	.end_amdhsa_kernel
	.section	.text._Z17sort_pairs_kernelIxLj64ELj8EN10test_utils4lessELj10EEvPKT_PS2_T2_,"axG",@progbits,_Z17sort_pairs_kernelIxLj64ELj8EN10test_utils4lessELj10EEvPKT_PS2_T2_,comdat
.Lfunc_end129:
	.size	_Z17sort_pairs_kernelIxLj64ELj8EN10test_utils4lessELj10EEvPKT_PS2_T2_, .Lfunc_end129-_Z17sort_pairs_kernelIxLj64ELj8EN10test_utils4lessELj10EEvPKT_PS2_T2_
                                        ; -- End function
	.section	.AMDGPU.csdata,"",@progbits
; Kernel info:
; codeLenInByte = 11712
; NumSgprs: 98
; NumVgprs: 118
; NumAgprs: 0
; TotalNumVgprs: 118
; ScratchSize: 0
; MemoryBound: 0
; FloatMode: 240
; IeeeMode: 1
; LDSByteSize: 4104 bytes/workgroup (compile time only)
; SGPRBlocks: 12
; VGPRBlocks: 14
; NumSGPRsForWavesPerEU: 98
; NumVGPRsForWavesPerEU: 118
; AccumOffset: 120
; Occupancy: 4
; WaveLimiterHint : 1
; COMPUTE_PGM_RSRC2:SCRATCH_EN: 0
; COMPUTE_PGM_RSRC2:USER_SGPR: 2
; COMPUTE_PGM_RSRC2:TRAP_HANDLER: 0
; COMPUTE_PGM_RSRC2:TGID_X_EN: 1
; COMPUTE_PGM_RSRC2:TGID_Y_EN: 0
; COMPUTE_PGM_RSRC2:TGID_Z_EN: 0
; COMPUTE_PGM_RSRC2:TIDIG_COMP_CNT: 0
; COMPUTE_PGM_RSRC3_GFX90A:ACCUM_OFFSET: 29
; COMPUTE_PGM_RSRC3_GFX90A:TG_SPLIT: 0
	.section	.text._Z16sort_keys_kernelIxLj128ELj1EN10test_utils4lessELj10EEvPKT_PS2_T2_,"axG",@progbits,_Z16sort_keys_kernelIxLj128ELj1EN10test_utils4lessELj10EEvPKT_PS2_T2_,comdat
	.protected	_Z16sort_keys_kernelIxLj128ELj1EN10test_utils4lessELj10EEvPKT_PS2_T2_ ; -- Begin function _Z16sort_keys_kernelIxLj128ELj1EN10test_utils4lessELj10EEvPKT_PS2_T2_
	.globl	_Z16sort_keys_kernelIxLj128ELj1EN10test_utils4lessELj10EEvPKT_PS2_T2_
	.p2align	8
	.type	_Z16sort_keys_kernelIxLj128ELj1EN10test_utils4lessELj10EEvPKT_PS2_T2_,@function
_Z16sort_keys_kernelIxLj128ELj1EN10test_utils4lessELj10EEvPKT_PS2_T2_: ; @_Z16sort_keys_kernelIxLj128ELj1EN10test_utils4lessELj10EEvPKT_PS2_T2_
; %bb.0:
	s_load_dwordx4 s[16:19], s[0:1], 0x0
	s_lshl_b32 s20, s2, 7
	s_mov_b32 s21, 0
	s_lshl_b64 s[22:23], s[20:21], 3
	v_lshlrev_b32_e32 v1, 3, v0
	s_waitcnt lgkmcnt(0)
	s_add_u32 s0, s16, s22
	s_addc_u32 s1, s17, s23
	global_load_dwordx2 v[2:3], v1, s[0:1]
	v_and_b32_e32 v15, 0x7c, v0
	v_and_b32_e32 v23, 0x78, v0
	;; [unrolled: 1-line block ×6, first 2 shown]
	v_or_b32_e32 v19, 2, v15
	v_add_u32_e32 v13, 4, v15
	v_or_b32_e32 v27, 4, v23
	v_add_u32_e32 v21, 8, v23
	;; [unrolled: 2-line block ×5, first 2 shown]
	v_and_b32_e32 v4, 1, v0
	v_or_b32_e32 v5, 1, v7
	v_and_b32_e32 v12, 3, v0
	v_sub_u32_e32 v17, v13, v19
	v_and_b32_e32 v20, 7, v0
	v_sub_u32_e32 v25, v21, v27
	v_and_b32_e32 v28, 15, v0
	v_sub_u32_e32 v33, v29, v35
	v_and_b32_e32 v36, 31, v0
	v_sub_u32_e32 v41, v37, v43
	v_and_b32_e32 v44, 63, v0
	v_sub_u32_e32 v49, v45, v51
	v_sub_u32_e32 v6, v5, v7
	v_add_u32_e32 v9, -1, v4
	v_cmp_lt_i32_e32 vcc, 0, v4
	v_sub_u32_e32 v14, v19, v15
	v_sub_u32_e32 v18, v12, v17
	v_cmp_ge_i32_e64 s[0:1], v12, v17
	v_sub_u32_e32 v22, v27, v23
	v_sub_u32_e32 v26, v20, v25
	v_cmp_ge_i32_e64 s[2:3], v20, v25
	;; [unrolled: 3-line block ×5, first 2 shown]
	v_cndmask_b32_e32 v9, 0, v9, vcc
	v_min_i32_e32 v10, v4, v6
	v_cndmask_b32_e64 v17, 0, v18, s[0:1]
	v_min_i32_e32 v18, v12, v14
	v_cndmask_b32_e64 v25, 0, v26, s[2:3]
	;; [unrolled: 2-line block ×5, first 2 shown]
	v_min_i32_e32 v50, v44, v46
	v_sub_u32_e64 v53, v0, 64 clamp
	v_min_i32_e32 v54, 64, v0
	v_lshlrev_b32_e32 v7, 3, v7
	v_lshlrev_b32_e32 v8, 3, v5
	v_cmp_lt_i32_e32 vcc, v9, v10
	v_add_u32_e32 v11, v5, v4
	v_lshlrev_b32_e32 v15, 3, v15
	v_lshlrev_b32_e32 v16, 3, v19
	v_cmp_lt_i32_e64 s[0:1], v17, v18
	v_add_u32_e32 v19, v19, v12
	v_lshlrev_b32_e32 v23, 3, v23
	v_lshlrev_b32_e32 v24, 3, v27
	v_cmp_lt_i32_e64 s[2:3], v25, v26
	;; [unrolled: 4-line block ×5, first 2 shown]
	v_add_u32_e32 v51, v51, v44
	v_mov_b32_e32 v52, 0x200
	v_cmp_lt_i32_e64 s[10:11], v53, v54
	v_add_u32_e32 v55, 64, v0
	s_movk_i32 s20, 0x80
	s_branch .LBB130_2
.LBB130_1:                              ;   in Loop: Header=BB130_2 Depth=1
	s_or_b64 exec, exec, s[14:15]
	v_sub_u32_e32 v3, v55, v2
	v_lshlrev_b32_e32 v56, 3, v2
	v_lshlrev_b32_e32 v58, 3, v3
	ds_read_b64 v[56:57], v56
	ds_read_b64 v[58:59], v58
	v_cmp_le_i32_e64 s[12:13], 64, v2
	v_cmp_gt_i32_e64 s[14:15], s20, v3
	s_add_i32 s21, s21, 1
	s_waitcnt lgkmcnt(0)
	v_cmp_lt_i64_e64 s[16:17], v[58:59], v[56:57]
	s_or_b64 s[12:13], s[12:13], s[16:17]
	s_and_b64 s[12:13], s[14:15], s[12:13]
	v_cndmask_b32_e64 v3, v57, v59, s[12:13]
	s_cmp_eq_u32 s21, 10
	v_cndmask_b32_e64 v2, v56, v58, s[12:13]
	s_cbranch_scc1 .LBB130_30
.LBB130_2:                              ; =>This Loop Header: Depth=1
                                        ;     Child Loop BB130_4 Depth 2
                                        ;     Child Loop BB130_8 Depth 2
                                        ;     Child Loop BB130_12 Depth 2
                                        ;     Child Loop BB130_16 Depth 2
                                        ;     Child Loop BB130_20 Depth 2
                                        ;     Child Loop BB130_24 Depth 2
                                        ;     Child Loop BB130_28 Depth 2
	s_barrier
	s_waitcnt vmcnt(0)
	ds_write_b64 v1, v[2:3]
	v_mov_b32_e32 v2, v9
	s_waitcnt lgkmcnt(0)
	s_barrier
	s_and_saveexec_b64 s[14:15], vcc
	s_cbranch_execz .LBB130_6
; %bb.3:                                ;   in Loop: Header=BB130_2 Depth=1
	s_mov_b64 s[16:17], 0
	v_mov_b32_e32 v2, v9
	v_mov_b32_e32 v3, v10
.LBB130_4:                              ;   Parent Loop BB130_2 Depth=1
                                        ; =>  This Inner Loop Header: Depth=2
	v_sub_u32_e32 v56, v3, v2
	v_lshrrev_b32_e32 v57, 31, v56
	v_add_u32_e32 v56, v56, v57
	v_ashrrev_i32_e32 v56, 1, v56
	v_add_u32_e32 v60, v56, v2
	v_xad_u32 v57, v60, -1, v4
	v_lshl_add_u32 v56, v60, 3, v7
	v_lshl_add_u32 v58, v57, 3, v8
	ds_read_b64 v[56:57], v56
	ds_read_b64 v[58:59], v58
	v_add_u32_e32 v61, 1, v60
	s_waitcnt lgkmcnt(0)
	v_cmp_lt_i64_e64 s[12:13], v[58:59], v[56:57]
	s_nop 1
	v_cndmask_b32_e64 v3, v3, v60, s[12:13]
	v_cndmask_b32_e64 v2, v61, v2, s[12:13]
	v_cmp_ge_i32_e64 s[12:13], v2, v3
	s_or_b64 s[16:17], s[12:13], s[16:17]
	s_andn2_b64 exec, exec, s[16:17]
	s_cbranch_execnz .LBB130_4
; %bb.5:                                ;   in Loop: Header=BB130_2 Depth=1
	s_or_b64 exec, exec, s[16:17]
.LBB130_6:                              ;   in Loop: Header=BB130_2 Depth=1
	s_or_b64 exec, exec, s[14:15]
	v_sub_u32_e32 v3, v11, v2
	v_lshl_add_u32 v56, v2, 3, v7
	v_lshlrev_b32_e32 v58, 3, v3
	ds_read_b64 v[56:57], v56
	ds_read_b64 v[58:59], v58
	v_cmp_ge_i32_e64 s[12:13], v2, v6
	v_cmp_ge_i32_e64 s[14:15], v5, v3
	s_waitcnt lgkmcnt(0)
	s_barrier
	v_cmp_lt_i64_e64 s[16:17], v[58:59], v[56:57]
	s_or_b64 s[12:13], s[12:13], s[16:17]
	s_and_b64 s[12:13], s[14:15], s[12:13]
	v_cndmask_b32_e64 v3, v57, v59, s[12:13]
	v_cndmask_b32_e64 v2, v56, v58, s[12:13]
	ds_write_b64 v1, v[2:3]
	v_mov_b32_e32 v2, v17
	s_waitcnt lgkmcnt(0)
	s_barrier
	s_and_saveexec_b64 s[14:15], s[0:1]
	s_cbranch_execz .LBB130_10
; %bb.7:                                ;   in Loop: Header=BB130_2 Depth=1
	s_mov_b64 s[16:17], 0
	v_mov_b32_e32 v2, v17
	v_mov_b32_e32 v3, v18
.LBB130_8:                              ;   Parent Loop BB130_2 Depth=1
                                        ; =>  This Inner Loop Header: Depth=2
	v_sub_u32_e32 v56, v3, v2
	v_lshrrev_b32_e32 v57, 31, v56
	v_add_u32_e32 v56, v56, v57
	v_ashrrev_i32_e32 v56, 1, v56
	v_add_u32_e32 v60, v56, v2
	v_xad_u32 v57, v60, -1, v12
	v_lshl_add_u32 v56, v60, 3, v15
	v_lshl_add_u32 v58, v57, 3, v16
	ds_read_b64 v[56:57], v56
	ds_read_b64 v[58:59], v58
	v_add_u32_e32 v61, 1, v60
	s_waitcnt lgkmcnt(0)
	v_cmp_lt_i64_e64 s[12:13], v[58:59], v[56:57]
	s_nop 1
	v_cndmask_b32_e64 v3, v3, v60, s[12:13]
	v_cndmask_b32_e64 v2, v61, v2, s[12:13]
	v_cmp_ge_i32_e64 s[12:13], v2, v3
	s_or_b64 s[16:17], s[12:13], s[16:17]
	s_andn2_b64 exec, exec, s[16:17]
	s_cbranch_execnz .LBB130_8
; %bb.9:                                ;   in Loop: Header=BB130_2 Depth=1
	s_or_b64 exec, exec, s[16:17]
.LBB130_10:                             ;   in Loop: Header=BB130_2 Depth=1
	s_or_b64 exec, exec, s[14:15]
	v_sub_u32_e32 v3, v19, v2
	v_lshl_add_u32 v56, v2, 3, v15
	v_lshlrev_b32_e32 v58, 3, v3
	ds_read_b64 v[56:57], v56
	ds_read_b64 v[58:59], v58
	v_cmp_ge_i32_e64 s[12:13], v2, v14
	v_cmp_gt_i32_e64 s[14:15], v13, v3
	s_waitcnt lgkmcnt(0)
	s_barrier
	v_cmp_lt_i64_e64 s[16:17], v[58:59], v[56:57]
	s_or_b64 s[12:13], s[12:13], s[16:17]
	s_and_b64 s[12:13], s[14:15], s[12:13]
	v_cndmask_b32_e64 v3, v57, v59, s[12:13]
	v_cndmask_b32_e64 v2, v56, v58, s[12:13]
	ds_write_b64 v1, v[2:3]
	v_mov_b32_e32 v2, v25
	s_waitcnt lgkmcnt(0)
	s_barrier
	s_and_saveexec_b64 s[14:15], s[2:3]
	s_cbranch_execz .LBB130_14
; %bb.11:                               ;   in Loop: Header=BB130_2 Depth=1
	s_mov_b64 s[16:17], 0
	v_mov_b32_e32 v2, v25
	v_mov_b32_e32 v3, v26
.LBB130_12:                             ;   Parent Loop BB130_2 Depth=1
                                        ; =>  This Inner Loop Header: Depth=2
	v_sub_u32_e32 v56, v3, v2
	v_lshrrev_b32_e32 v57, 31, v56
	v_add_u32_e32 v56, v56, v57
	v_ashrrev_i32_e32 v56, 1, v56
	v_add_u32_e32 v60, v56, v2
	v_xad_u32 v57, v60, -1, v20
	v_lshl_add_u32 v56, v60, 3, v23
	v_lshl_add_u32 v58, v57, 3, v24
	ds_read_b64 v[56:57], v56
	ds_read_b64 v[58:59], v58
	v_add_u32_e32 v61, 1, v60
	s_waitcnt lgkmcnt(0)
	v_cmp_lt_i64_e64 s[12:13], v[58:59], v[56:57]
	s_nop 1
	v_cndmask_b32_e64 v3, v3, v60, s[12:13]
	v_cndmask_b32_e64 v2, v61, v2, s[12:13]
	v_cmp_ge_i32_e64 s[12:13], v2, v3
	s_or_b64 s[16:17], s[12:13], s[16:17]
	s_andn2_b64 exec, exec, s[16:17]
	s_cbranch_execnz .LBB130_12
; %bb.13:                               ;   in Loop: Header=BB130_2 Depth=1
	s_or_b64 exec, exec, s[16:17]
.LBB130_14:                             ;   in Loop: Header=BB130_2 Depth=1
	s_or_b64 exec, exec, s[14:15]
	v_sub_u32_e32 v3, v27, v2
	v_lshl_add_u32 v56, v2, 3, v23
	v_lshlrev_b32_e32 v58, 3, v3
	ds_read_b64 v[56:57], v56
	ds_read_b64 v[58:59], v58
	v_cmp_ge_i32_e64 s[12:13], v2, v22
	v_cmp_gt_i32_e64 s[14:15], v21, v3
	s_waitcnt lgkmcnt(0)
	s_barrier
	v_cmp_lt_i64_e64 s[16:17], v[58:59], v[56:57]
	s_or_b64 s[12:13], s[12:13], s[16:17]
	s_and_b64 s[12:13], s[14:15], s[12:13]
	v_cndmask_b32_e64 v3, v57, v59, s[12:13]
	v_cndmask_b32_e64 v2, v56, v58, s[12:13]
	ds_write_b64 v1, v[2:3]
	v_mov_b32_e32 v2, v33
	s_waitcnt lgkmcnt(0)
	s_barrier
	s_and_saveexec_b64 s[14:15], s[4:5]
	s_cbranch_execz .LBB130_18
; %bb.15:                               ;   in Loop: Header=BB130_2 Depth=1
	s_mov_b64 s[16:17], 0
	v_mov_b32_e32 v2, v33
	v_mov_b32_e32 v3, v34
.LBB130_16:                             ;   Parent Loop BB130_2 Depth=1
                                        ; =>  This Inner Loop Header: Depth=2
	v_sub_u32_e32 v56, v3, v2
	v_lshrrev_b32_e32 v57, 31, v56
	v_add_u32_e32 v56, v56, v57
	v_ashrrev_i32_e32 v56, 1, v56
	v_add_u32_e32 v60, v56, v2
	v_xad_u32 v57, v60, -1, v28
	v_lshl_add_u32 v56, v60, 3, v31
	v_lshl_add_u32 v58, v57, 3, v32
	ds_read_b64 v[56:57], v56
	ds_read_b64 v[58:59], v58
	v_add_u32_e32 v61, 1, v60
	s_waitcnt lgkmcnt(0)
	v_cmp_lt_i64_e64 s[12:13], v[58:59], v[56:57]
	s_nop 1
	v_cndmask_b32_e64 v3, v3, v60, s[12:13]
	v_cndmask_b32_e64 v2, v61, v2, s[12:13]
	v_cmp_ge_i32_e64 s[12:13], v2, v3
	s_or_b64 s[16:17], s[12:13], s[16:17]
	s_andn2_b64 exec, exec, s[16:17]
	s_cbranch_execnz .LBB130_16
; %bb.17:                               ;   in Loop: Header=BB130_2 Depth=1
	s_or_b64 exec, exec, s[16:17]
.LBB130_18:                             ;   in Loop: Header=BB130_2 Depth=1
	;; [unrolled: 50-line block ×4, first 2 shown]
	s_or_b64 exec, exec, s[14:15]
	v_sub_u32_e32 v3, v51, v2
	v_lshl_add_u32 v56, v2, 3, v47
	v_lshlrev_b32_e32 v58, 3, v3
	ds_read_b64 v[56:57], v56
	ds_read_b64 v[58:59], v58
	v_cmp_ge_i32_e64 s[12:13], v2, v46
	v_cmp_gt_i32_e64 s[14:15], v45, v3
	s_waitcnt lgkmcnt(0)
	s_barrier
	v_cmp_lt_i64_e64 s[16:17], v[58:59], v[56:57]
	s_or_b64 s[12:13], s[12:13], s[16:17]
	s_and_b64 s[12:13], s[14:15], s[12:13]
	v_cndmask_b32_e64 v3, v57, v59, s[12:13]
	v_cndmask_b32_e64 v2, v56, v58, s[12:13]
	ds_write_b64 v1, v[2:3]
	v_mov_b32_e32 v2, v53
	s_waitcnt lgkmcnt(0)
	s_barrier
	s_and_saveexec_b64 s[14:15], s[10:11]
	s_cbranch_execz .LBB130_1
; %bb.27:                               ;   in Loop: Header=BB130_2 Depth=1
	s_mov_b64 s[16:17], 0
	v_mov_b32_e32 v2, v53
	v_mov_b32_e32 v3, v54
.LBB130_28:                             ;   Parent Loop BB130_2 Depth=1
                                        ; =>  This Inner Loop Header: Depth=2
	v_sub_u32_e32 v56, v3, v2
	v_lshrrev_b32_e32 v57, 31, v56
	v_add_u32_e32 v56, v56, v57
	v_ashrrev_i32_e32 v56, 1, v56
	v_add_u32_e32 v60, v56, v2
	v_xad_u32 v57, v60, -1, v0
	v_lshlrev_b32_e32 v56, 3, v60
	v_lshl_add_u32 v58, v57, 3, v52
	ds_read_b64 v[56:57], v56
	ds_read_b64 v[58:59], v58
	v_add_u32_e32 v61, 1, v60
	s_waitcnt lgkmcnt(0)
	v_cmp_lt_i64_e64 s[12:13], v[58:59], v[56:57]
	s_nop 1
	v_cndmask_b32_e64 v3, v3, v60, s[12:13]
	v_cndmask_b32_e64 v2, v61, v2, s[12:13]
	v_cmp_ge_i32_e64 s[12:13], v2, v3
	s_or_b64 s[16:17], s[12:13], s[16:17]
	s_andn2_b64 exec, exec, s[16:17]
	s_cbranch_execnz .LBB130_28
; %bb.29:                               ;   in Loop: Header=BB130_2 Depth=1
	s_or_b64 exec, exec, s[16:17]
	s_branch .LBB130_1
.LBB130_30:
	s_add_u32 s0, s18, s22
	s_addc_u32 s1, s19, s23
	v_lshlrev_b32_e32 v0, 3, v0
	global_store_dwordx2 v0, v[2:3], s[0:1]
	s_endpgm
	.section	.rodata,"a",@progbits
	.p2align	6, 0x0
	.amdhsa_kernel _Z16sort_keys_kernelIxLj128ELj1EN10test_utils4lessELj10EEvPKT_PS2_T2_
		.amdhsa_group_segment_fixed_size 1032
		.amdhsa_private_segment_fixed_size 0
		.amdhsa_kernarg_size 20
		.amdhsa_user_sgpr_count 2
		.amdhsa_user_sgpr_dispatch_ptr 0
		.amdhsa_user_sgpr_queue_ptr 0
		.amdhsa_user_sgpr_kernarg_segment_ptr 1
		.amdhsa_user_sgpr_dispatch_id 0
		.amdhsa_user_sgpr_kernarg_preload_length 0
		.amdhsa_user_sgpr_kernarg_preload_offset 0
		.amdhsa_user_sgpr_private_segment_size 0
		.amdhsa_uses_dynamic_stack 0
		.amdhsa_enable_private_segment 0
		.amdhsa_system_sgpr_workgroup_id_x 1
		.amdhsa_system_sgpr_workgroup_id_y 0
		.amdhsa_system_sgpr_workgroup_id_z 0
		.amdhsa_system_sgpr_workgroup_info 0
		.amdhsa_system_vgpr_workitem_id 0
		.amdhsa_next_free_vgpr 62
		.amdhsa_next_free_sgpr 24
		.amdhsa_accum_offset 64
		.amdhsa_reserve_vcc 1
		.amdhsa_float_round_mode_32 0
		.amdhsa_float_round_mode_16_64 0
		.amdhsa_float_denorm_mode_32 3
		.amdhsa_float_denorm_mode_16_64 3
		.amdhsa_dx10_clamp 1
		.amdhsa_ieee_mode 1
		.amdhsa_fp16_overflow 0
		.amdhsa_tg_split 0
		.amdhsa_exception_fp_ieee_invalid_op 0
		.amdhsa_exception_fp_denorm_src 0
		.amdhsa_exception_fp_ieee_div_zero 0
		.amdhsa_exception_fp_ieee_overflow 0
		.amdhsa_exception_fp_ieee_underflow 0
		.amdhsa_exception_fp_ieee_inexact 0
		.amdhsa_exception_int_div_zero 0
	.end_amdhsa_kernel
	.section	.text._Z16sort_keys_kernelIxLj128ELj1EN10test_utils4lessELj10EEvPKT_PS2_T2_,"axG",@progbits,_Z16sort_keys_kernelIxLj128ELj1EN10test_utils4lessELj10EEvPKT_PS2_T2_,comdat
.Lfunc_end130:
	.size	_Z16sort_keys_kernelIxLj128ELj1EN10test_utils4lessELj10EEvPKT_PS2_T2_, .Lfunc_end130-_Z16sort_keys_kernelIxLj128ELj1EN10test_utils4lessELj10EEvPKT_PS2_T2_
                                        ; -- End function
	.section	.AMDGPU.csdata,"",@progbits
; Kernel info:
; codeLenInByte = 2292
; NumSgprs: 30
; NumVgprs: 62
; NumAgprs: 0
; TotalNumVgprs: 62
; ScratchSize: 0
; MemoryBound: 0
; FloatMode: 240
; IeeeMode: 1
; LDSByteSize: 1032 bytes/workgroup (compile time only)
; SGPRBlocks: 3
; VGPRBlocks: 7
; NumSGPRsForWavesPerEU: 30
; NumVGPRsForWavesPerEU: 62
; AccumOffset: 64
; Occupancy: 8
; WaveLimiterHint : 0
; COMPUTE_PGM_RSRC2:SCRATCH_EN: 0
; COMPUTE_PGM_RSRC2:USER_SGPR: 2
; COMPUTE_PGM_RSRC2:TRAP_HANDLER: 0
; COMPUTE_PGM_RSRC2:TGID_X_EN: 1
; COMPUTE_PGM_RSRC2:TGID_Y_EN: 0
; COMPUTE_PGM_RSRC2:TGID_Z_EN: 0
; COMPUTE_PGM_RSRC2:TIDIG_COMP_CNT: 0
; COMPUTE_PGM_RSRC3_GFX90A:ACCUM_OFFSET: 15
; COMPUTE_PGM_RSRC3_GFX90A:TG_SPLIT: 0
	.section	.text._Z17sort_pairs_kernelIxLj128ELj1EN10test_utils4lessELj10EEvPKT_PS2_T2_,"axG",@progbits,_Z17sort_pairs_kernelIxLj128ELj1EN10test_utils4lessELj10EEvPKT_PS2_T2_,comdat
	.protected	_Z17sort_pairs_kernelIxLj128ELj1EN10test_utils4lessELj10EEvPKT_PS2_T2_ ; -- Begin function _Z17sort_pairs_kernelIxLj128ELj1EN10test_utils4lessELj10EEvPKT_PS2_T2_
	.globl	_Z17sort_pairs_kernelIxLj128ELj1EN10test_utils4lessELj10EEvPKT_PS2_T2_
	.p2align	8
	.type	_Z17sort_pairs_kernelIxLj128ELj1EN10test_utils4lessELj10EEvPKT_PS2_T2_,@function
_Z17sort_pairs_kernelIxLj128ELj1EN10test_utils4lessELj10EEvPKT_PS2_T2_: ; @_Z17sort_pairs_kernelIxLj128ELj1EN10test_utils4lessELj10EEvPKT_PS2_T2_
; %bb.0:
	s_load_dwordx4 s[16:19], s[0:1], 0x0
	s_lshl_b32 s20, s2, 7
	s_mov_b32 s21, 0
	s_lshl_b64 s[22:23], s[20:21], 3
	v_and_b32_e32 v7, 1, v0
	s_waitcnt lgkmcnt(0)
	s_add_u32 s0, s16, s22
	s_addc_u32 s1, s17, s23
	v_lshlrev_b32_e32 v1, 3, v0
	v_add_u32_e32 v2, -1, v7
	v_cmp_lt_i32_e32 vcc, 0, v7
	v_and_b32_e32 v6, 0x7e, v0
	v_and_b32_e32 v14, 0x7c, v0
	v_cndmask_b32_e32 v11, 0, v2, vcc
	global_load_dwordx2 v[2:3], v1, s[0:1]
	v_or_b32_e32 v8, 1, v6
	v_or_b32_e32 v16, 2, v14
	v_add_u32_e32 v17, 4, v14
	v_and_b32_e32 v23, 0x78, v0
	v_sub_u32_e32 v4, v8, v6
	v_and_b32_e32 v15, 3, v0
	v_sub_u32_e32 v5, v17, v16
	v_or_b32_e32 v25, 4, v23
	v_add_u32_e32 v26, 8, v23
	v_and_b32_e32 v32, 0x70, v0
	v_min_i32_e32 v12, v7, v4
	v_sub_u32_e32 v4, v16, v14
	v_sub_u32_e32 v20, v15, v5
	v_cmp_ge_i32_e64 s[0:1], v15, v5
	v_and_b32_e32 v24, 7, v0
	v_sub_u32_e32 v5, v26, v25
	v_or_b32_e32 v34, 8, v32
	v_add_u32_e32 v35, 16, v32
	v_and_b32_e32 v41, 0x60, v0
	v_min_i32_e32 v21, v15, v4
	v_sub_u32_e32 v4, v25, v23
	v_sub_u32_e32 v29, v24, v5
	v_cmp_ge_i32_e64 s[2:3], v24, v5
	;; [unrolled: 9-line block ×3, first 2 shown]
	v_and_b32_e32 v42, 31, v0
	v_sub_u32_e32 v5, v44, v43
	v_or_b32_e32 v52, 32, v50
	v_add_u32_e32 v53, 64, v50
	v_min_i32_e32 v39, v33, v4
	v_sub_u32_e32 v4, v43, v41
	v_sub_u32_e32 v47, v42, v5
	v_cmp_ge_i32_e64 s[6:7], v42, v5
	v_and_b32_e32 v51, 63, v0
	v_sub_u32_e32 v5, v53, v52
	v_min_i32_e32 v48, v42, v4
	v_sub_u32_e32 v4, v52, v50
	v_sub_u32_e32 v56, v51, v5
	v_cmp_ge_i32_e64 s[8:9], v51, v5
	v_cndmask_b32_e64 v20, 0, v20, s[0:1]
	v_cndmask_b32_e64 v29, 0, v29, s[2:3]
	;; [unrolled: 1-line block ×5, first 2 shown]
	v_min_i32_e32 v57, v51, v4
	v_sub_u32_e64 v60, v0, 64 clamp
	v_min_i32_e32 v61, 64, v0
	v_lshlrev_b32_e32 v9, 3, v6
	v_lshlrev_b32_e32 v10, 3, v8
	v_cmp_lt_i32_e32 vcc, v11, v12
	v_add_u32_e32 v13, v8, v7
	v_lshlrev_b32_e32 v18, 3, v14
	v_lshlrev_b32_e32 v19, 3, v16
	v_cmp_lt_i32_e64 s[0:1], v20, v21
	v_add_u32_e32 v22, v16, v15
	v_lshlrev_b32_e32 v27, 3, v23
	v_lshlrev_b32_e32 v28, 3, v25
	v_cmp_lt_i32_e64 s[2:3], v29, v30
	;; [unrolled: 4-line block ×5, first 2 shown]
	v_add_u32_e32 v58, v52, v51
	v_mov_b32_e32 v59, 0x200
	v_cmp_lt_i32_e64 s[10:11], v60, v61
	v_add_u32_e32 v62, 64, v0
	s_movk_i32 s20, 0x80
	s_waitcnt vmcnt(0)
	v_lshl_add_u64 v[4:5], v[2:3], 0, 1
	s_branch .LBB131_2
.LBB131_1:                              ;   in Loop: Header=BB131_2 Depth=1
	s_or_b64 exec, exec, s[14:15]
	v_sub_u32_e32 v63, v62, v2
	v_lshlrev_b32_e32 v3, 3, v2
	v_lshlrev_b32_e32 v66, 3, v63
	ds_read_b64 v[64:65], v3
	ds_read_b64 v[66:67], v66
	v_cmp_le_i32_e64 s[12:13], 64, v2
	v_cmp_gt_i32_e64 s[14:15], s20, v63
	s_waitcnt lgkmcnt(0)
	s_barrier
	v_cmp_lt_i64_e64 s[16:17], v[66:67], v[64:65]
	s_or_b64 s[12:13], s[12:13], s[16:17]
	s_and_b64 s[12:13], s[14:15], s[12:13]
	v_cndmask_b32_e64 v2, v2, v63, s[12:13]
	v_lshlrev_b32_e32 v2, 3, v2
	ds_write_b64 v1, v[4:5]
	s_waitcnt lgkmcnt(0)
	s_barrier
	ds_read_b64 v[4:5], v2
	s_add_i32 s21, s21, 1
	v_cndmask_b32_e64 v3, v65, v67, s[12:13]
	s_cmp_lg_u32 s21, 10
	v_cndmask_b32_e64 v2, v64, v66, s[12:13]
	s_cbranch_scc0 .LBB131_30
.LBB131_2:                              ; =>This Loop Header: Depth=1
                                        ;     Child Loop BB131_4 Depth 2
                                        ;     Child Loop BB131_8 Depth 2
	;; [unrolled: 1-line block ×7, first 2 shown]
	s_barrier
	ds_write_b64 v1, v[2:3]
	v_mov_b32_e32 v2, v11
	s_waitcnt lgkmcnt(0)
	s_barrier
	s_and_saveexec_b64 s[14:15], vcc
	s_cbranch_execz .LBB131_6
; %bb.3:                                ;   in Loop: Header=BB131_2 Depth=1
	s_mov_b64 s[16:17], 0
	v_mov_b32_e32 v2, v11
	v_mov_b32_e32 v3, v12
.LBB131_4:                              ;   Parent Loop BB131_2 Depth=1
                                        ; =>  This Inner Loop Header: Depth=2
	v_sub_u32_e32 v63, v3, v2
	v_lshrrev_b32_e32 v64, 31, v63
	v_add_u32_e32 v63, v63, v64
	v_ashrrev_i32_e32 v63, 1, v63
	v_add_u32_e32 v63, v63, v2
	v_xad_u32 v65, v63, -1, v7
	v_lshl_add_u32 v64, v63, 3, v9
	v_lshl_add_u32 v66, v65, 3, v10
	ds_read_b64 v[64:65], v64
	ds_read_b64 v[66:67], v66
	v_add_u32_e32 v68, 1, v63
	s_waitcnt lgkmcnt(0)
	v_cmp_lt_i64_e64 s[12:13], v[66:67], v[64:65]
	s_nop 1
	v_cndmask_b32_e64 v3, v3, v63, s[12:13]
	v_cndmask_b32_e64 v2, v68, v2, s[12:13]
	v_cmp_ge_i32_e64 s[12:13], v2, v3
	s_or_b64 s[16:17], s[12:13], s[16:17]
	s_andn2_b64 exec, exec, s[16:17]
	s_cbranch_execnz .LBB131_4
; %bb.5:                                ;   in Loop: Header=BB131_2 Depth=1
	s_or_b64 exec, exec, s[16:17]
.LBB131_6:                              ;   in Loop: Header=BB131_2 Depth=1
	s_or_b64 exec, exec, s[14:15]
	v_sub_u32_e32 v3, v13, v2
	v_lshl_add_u32 v63, v2, 3, v9
	v_lshlrev_b32_e32 v66, 3, v3
	ds_read_b64 v[64:65], v63
	ds_read_b64 v[66:67], v66
	v_add_u32_e32 v2, v2, v6
	v_cmp_le_i32_e64 s[14:15], v8, v2
	v_cmp_ge_i32_e64 s[12:13], v8, v3
	s_waitcnt lgkmcnt(0)
	v_cmp_lt_i64_e64 s[16:17], v[66:67], v[64:65]
	s_or_b64 s[14:15], s[14:15], s[16:17]
	s_and_b64 s[12:13], s[12:13], s[14:15]
	v_cndmask_b32_e64 v2, v2, v3, s[12:13]
	v_lshlrev_b32_e32 v2, 3, v2
	s_barrier
	ds_write_b64 v1, v[4:5]
	s_waitcnt lgkmcnt(0)
	s_barrier
	ds_read_b64 v[2:3], v2
	v_cndmask_b32_e64 v65, v65, v67, s[12:13]
	v_cndmask_b32_e64 v64, v64, v66, s[12:13]
	v_mov_b32_e32 v4, v20
	s_waitcnt lgkmcnt(0)
	s_barrier
	ds_write_b64 v1, v[64:65]
	s_waitcnt lgkmcnt(0)
	s_barrier
	s_and_saveexec_b64 s[14:15], s[0:1]
	s_cbranch_execz .LBB131_10
; %bb.7:                                ;   in Loop: Header=BB131_2 Depth=1
	s_mov_b64 s[16:17], 0
	v_mov_b32_e32 v4, v20
	v_mov_b32_e32 v5, v21
.LBB131_8:                              ;   Parent Loop BB131_2 Depth=1
                                        ; =>  This Inner Loop Header: Depth=2
	v_sub_u32_e32 v63, v5, v4
	v_lshrrev_b32_e32 v64, 31, v63
	v_add_u32_e32 v63, v63, v64
	v_ashrrev_i32_e32 v63, 1, v63
	v_add_u32_e32 v63, v63, v4
	v_xad_u32 v65, v63, -1, v15
	v_lshl_add_u32 v64, v63, 3, v18
	v_lshl_add_u32 v66, v65, 3, v19
	ds_read_b64 v[64:65], v64
	ds_read_b64 v[66:67], v66
	v_add_u32_e32 v68, 1, v63
	s_waitcnt lgkmcnt(0)
	v_cmp_lt_i64_e64 s[12:13], v[66:67], v[64:65]
	s_nop 1
	v_cndmask_b32_e64 v5, v5, v63, s[12:13]
	v_cndmask_b32_e64 v4, v68, v4, s[12:13]
	v_cmp_ge_i32_e64 s[12:13], v4, v5
	s_or_b64 s[16:17], s[12:13], s[16:17]
	s_andn2_b64 exec, exec, s[16:17]
	s_cbranch_execnz .LBB131_8
; %bb.9:                                ;   in Loop: Header=BB131_2 Depth=1
	s_or_b64 exec, exec, s[16:17]
.LBB131_10:                             ;   in Loop: Header=BB131_2 Depth=1
	s_or_b64 exec, exec, s[14:15]
	v_sub_u32_e32 v63, v22, v4
	v_lshl_add_u32 v5, v4, 3, v18
	v_lshlrev_b32_e32 v66, 3, v63
	ds_read_b64 v[64:65], v5
	ds_read_b64 v[66:67], v66
	v_add_u32_e32 v68, v4, v14
	v_cmp_le_i32_e64 s[14:15], v16, v68
	v_cmp_gt_i32_e64 s[12:13], v17, v63
	s_waitcnt lgkmcnt(0)
	v_cmp_lt_i64_e64 s[16:17], v[66:67], v[64:65]
	s_or_b64 s[14:15], s[14:15], s[16:17]
	s_and_b64 s[12:13], s[12:13], s[14:15]
	v_cndmask_b32_e64 v63, v68, v63, s[12:13]
	s_barrier
	ds_write_b64 v1, v[2:3]
	v_lshlrev_b32_e32 v2, 3, v63
	s_waitcnt lgkmcnt(0)
	s_barrier
	ds_read_b64 v[2:3], v2
	v_cndmask_b32_e64 v5, v65, v67, s[12:13]
	v_cndmask_b32_e64 v4, v64, v66, s[12:13]
	s_waitcnt lgkmcnt(0)
	s_barrier
	ds_write_b64 v1, v[4:5]
	v_mov_b32_e32 v4, v29
	s_waitcnt lgkmcnt(0)
	s_barrier
	s_and_saveexec_b64 s[14:15], s[2:3]
	s_cbranch_execz .LBB131_14
; %bb.11:                               ;   in Loop: Header=BB131_2 Depth=1
	s_mov_b64 s[16:17], 0
	v_mov_b32_e32 v4, v29
	v_mov_b32_e32 v5, v30
.LBB131_12:                             ;   Parent Loop BB131_2 Depth=1
                                        ; =>  This Inner Loop Header: Depth=2
	v_sub_u32_e32 v63, v5, v4
	v_lshrrev_b32_e32 v64, 31, v63
	v_add_u32_e32 v63, v63, v64
	v_ashrrev_i32_e32 v63, 1, v63
	v_add_u32_e32 v63, v63, v4
	v_xad_u32 v65, v63, -1, v24
	v_lshl_add_u32 v64, v63, 3, v27
	v_lshl_add_u32 v66, v65, 3, v28
	ds_read_b64 v[64:65], v64
	ds_read_b64 v[66:67], v66
	v_add_u32_e32 v68, 1, v63
	s_waitcnt lgkmcnt(0)
	v_cmp_lt_i64_e64 s[12:13], v[66:67], v[64:65]
	s_nop 1
	v_cndmask_b32_e64 v5, v5, v63, s[12:13]
	v_cndmask_b32_e64 v4, v68, v4, s[12:13]
	v_cmp_ge_i32_e64 s[12:13], v4, v5
	s_or_b64 s[16:17], s[12:13], s[16:17]
	s_andn2_b64 exec, exec, s[16:17]
	s_cbranch_execnz .LBB131_12
; %bb.13:                               ;   in Loop: Header=BB131_2 Depth=1
	s_or_b64 exec, exec, s[16:17]
.LBB131_14:                             ;   in Loop: Header=BB131_2 Depth=1
	s_or_b64 exec, exec, s[14:15]
	v_sub_u32_e32 v63, v31, v4
	v_lshl_add_u32 v5, v4, 3, v27
	v_lshlrev_b32_e32 v66, 3, v63
	ds_read_b64 v[64:65], v5
	ds_read_b64 v[66:67], v66
	v_add_u32_e32 v68, v4, v23
	v_cmp_le_i32_e64 s[14:15], v25, v68
	v_cmp_gt_i32_e64 s[12:13], v26, v63
	s_waitcnt lgkmcnt(0)
	v_cmp_lt_i64_e64 s[16:17], v[66:67], v[64:65]
	s_or_b64 s[14:15], s[14:15], s[16:17]
	s_and_b64 s[12:13], s[12:13], s[14:15]
	v_cndmask_b32_e64 v63, v68, v63, s[12:13]
	s_barrier
	ds_write_b64 v1, v[2:3]
	v_lshlrev_b32_e32 v2, 3, v63
	s_waitcnt lgkmcnt(0)
	s_barrier
	ds_read_b64 v[2:3], v2
	v_cndmask_b32_e64 v5, v65, v67, s[12:13]
	v_cndmask_b32_e64 v4, v64, v66, s[12:13]
	s_waitcnt lgkmcnt(0)
	s_barrier
	ds_write_b64 v1, v[4:5]
	v_mov_b32_e32 v4, v38
	s_waitcnt lgkmcnt(0)
	s_barrier
	s_and_saveexec_b64 s[14:15], s[4:5]
	s_cbranch_execz .LBB131_18
; %bb.15:                               ;   in Loop: Header=BB131_2 Depth=1
	s_mov_b64 s[16:17], 0
	v_mov_b32_e32 v4, v38
	v_mov_b32_e32 v5, v39
.LBB131_16:                             ;   Parent Loop BB131_2 Depth=1
                                        ; =>  This Inner Loop Header: Depth=2
	v_sub_u32_e32 v63, v5, v4
	v_lshrrev_b32_e32 v64, 31, v63
	v_add_u32_e32 v63, v63, v64
	v_ashrrev_i32_e32 v63, 1, v63
	v_add_u32_e32 v63, v63, v4
	v_xad_u32 v65, v63, -1, v33
	v_lshl_add_u32 v64, v63, 3, v36
	v_lshl_add_u32 v66, v65, 3, v37
	ds_read_b64 v[64:65], v64
	ds_read_b64 v[66:67], v66
	v_add_u32_e32 v68, 1, v63
	s_waitcnt lgkmcnt(0)
	v_cmp_lt_i64_e64 s[12:13], v[66:67], v[64:65]
	s_nop 1
	v_cndmask_b32_e64 v5, v5, v63, s[12:13]
	v_cndmask_b32_e64 v4, v68, v4, s[12:13]
	v_cmp_ge_i32_e64 s[12:13], v4, v5
	s_or_b64 s[16:17], s[12:13], s[16:17]
	s_andn2_b64 exec, exec, s[16:17]
	s_cbranch_execnz .LBB131_16
; %bb.17:                               ;   in Loop: Header=BB131_2 Depth=1
	s_or_b64 exec, exec, s[16:17]
.LBB131_18:                             ;   in Loop: Header=BB131_2 Depth=1
	;; [unrolled: 59-line block ×4, first 2 shown]
	s_or_b64 exec, exec, s[14:15]
	v_sub_u32_e32 v5, v58, v4
	v_lshl_add_u32 v63, v4, 3, v54
	v_lshlrev_b32_e32 v66, 3, v5
	ds_read_b64 v[64:65], v63
	ds_read_b64 v[66:67], v66
	v_add_u32_e32 v4, v4, v50
	v_cmp_le_i32_e64 s[14:15], v52, v4
	v_cmp_gt_i32_e64 s[12:13], v53, v5
	s_waitcnt lgkmcnt(0)
	v_cmp_lt_i64_e64 s[16:17], v[66:67], v[64:65]
	s_or_b64 s[14:15], s[14:15], s[16:17]
	s_and_b64 s[12:13], s[12:13], s[14:15]
	v_cndmask_b32_e64 v4, v4, v5, s[12:13]
	s_barrier
	ds_write_b64 v1, v[2:3]
	v_lshlrev_b32_e32 v2, 3, v4
	s_waitcnt lgkmcnt(0)
	s_barrier
	ds_read_b64 v[4:5], v2
	v_cndmask_b32_e64 v65, v65, v67, s[12:13]
	v_cndmask_b32_e64 v64, v64, v66, s[12:13]
	v_mov_b32_e32 v2, v60
	s_waitcnt lgkmcnt(0)
	s_barrier
	ds_write_b64 v1, v[64:65]
	s_waitcnt lgkmcnt(0)
	s_barrier
	s_and_saveexec_b64 s[14:15], s[10:11]
	s_cbranch_execz .LBB131_1
; %bb.27:                               ;   in Loop: Header=BB131_2 Depth=1
	s_mov_b64 s[16:17], 0
	v_mov_b32_e32 v2, v60
	v_mov_b32_e32 v3, v61
.LBB131_28:                             ;   Parent Loop BB131_2 Depth=1
                                        ; =>  This Inner Loop Header: Depth=2
	v_sub_u32_e32 v63, v3, v2
	v_lshrrev_b32_e32 v64, 31, v63
	v_add_u32_e32 v63, v63, v64
	v_ashrrev_i32_e32 v63, 1, v63
	v_add_u32_e32 v63, v63, v2
	v_xad_u32 v65, v63, -1, v0
	v_lshlrev_b32_e32 v64, 3, v63
	v_lshl_add_u32 v66, v65, 3, v59
	ds_read_b64 v[64:65], v64
	ds_read_b64 v[66:67], v66
	v_add_u32_e32 v68, 1, v63
	s_waitcnt lgkmcnt(0)
	v_cmp_lt_i64_e64 s[12:13], v[66:67], v[64:65]
	s_nop 1
	v_cndmask_b32_e64 v3, v3, v63, s[12:13]
	v_cndmask_b32_e64 v2, v68, v2, s[12:13]
	v_cmp_ge_i32_e64 s[12:13], v2, v3
	s_or_b64 s[16:17], s[12:13], s[16:17]
	s_andn2_b64 exec, exec, s[16:17]
	s_cbranch_execnz .LBB131_28
; %bb.29:                               ;   in Loop: Header=BB131_2 Depth=1
	s_or_b64 exec, exec, s[16:17]
	s_branch .LBB131_1
.LBB131_30:
	s_add_u32 s0, s18, s22
	s_waitcnt lgkmcnt(0)
	v_lshl_add_u64 v[2:3], v[2:3], 0, v[4:5]
	s_addc_u32 s1, s19, s23
	v_lshlrev_b32_e32 v0, 3, v0
	global_store_dwordx2 v0, v[2:3], s[0:1]
	s_endpgm
	.section	.rodata,"a",@progbits
	.p2align	6, 0x0
	.amdhsa_kernel _Z17sort_pairs_kernelIxLj128ELj1EN10test_utils4lessELj10EEvPKT_PS2_T2_
		.amdhsa_group_segment_fixed_size 1032
		.amdhsa_private_segment_fixed_size 0
		.amdhsa_kernarg_size 20
		.amdhsa_user_sgpr_count 2
		.amdhsa_user_sgpr_dispatch_ptr 0
		.amdhsa_user_sgpr_queue_ptr 0
		.amdhsa_user_sgpr_kernarg_segment_ptr 1
		.amdhsa_user_sgpr_dispatch_id 0
		.amdhsa_user_sgpr_kernarg_preload_length 0
		.amdhsa_user_sgpr_kernarg_preload_offset 0
		.amdhsa_user_sgpr_private_segment_size 0
		.amdhsa_uses_dynamic_stack 0
		.amdhsa_enable_private_segment 0
		.amdhsa_system_sgpr_workgroup_id_x 1
		.amdhsa_system_sgpr_workgroup_id_y 0
		.amdhsa_system_sgpr_workgroup_id_z 0
		.amdhsa_system_sgpr_workgroup_info 0
		.amdhsa_system_vgpr_workitem_id 0
		.amdhsa_next_free_vgpr 69
		.amdhsa_next_free_sgpr 24
		.amdhsa_accum_offset 72
		.amdhsa_reserve_vcc 1
		.amdhsa_float_round_mode_32 0
		.amdhsa_float_round_mode_16_64 0
		.amdhsa_float_denorm_mode_32 3
		.amdhsa_float_denorm_mode_16_64 3
		.amdhsa_dx10_clamp 1
		.amdhsa_ieee_mode 1
		.amdhsa_fp16_overflow 0
		.amdhsa_tg_split 0
		.amdhsa_exception_fp_ieee_invalid_op 0
		.amdhsa_exception_fp_denorm_src 0
		.amdhsa_exception_fp_ieee_div_zero 0
		.amdhsa_exception_fp_ieee_overflow 0
		.amdhsa_exception_fp_ieee_underflow 0
		.amdhsa_exception_fp_ieee_inexact 0
		.amdhsa_exception_int_div_zero 0
	.end_amdhsa_kernel
	.section	.text._Z17sort_pairs_kernelIxLj128ELj1EN10test_utils4lessELj10EEvPKT_PS2_T2_,"axG",@progbits,_Z17sort_pairs_kernelIxLj128ELj1EN10test_utils4lessELj10EEvPKT_PS2_T2_,comdat
.Lfunc_end131:
	.size	_Z17sort_pairs_kernelIxLj128ELj1EN10test_utils4lessELj10EEvPKT_PS2_T2_, .Lfunc_end131-_Z17sort_pairs_kernelIxLj128ELj1EN10test_utils4lessELj10EEvPKT_PS2_T2_
                                        ; -- End function
	.section	.AMDGPU.csdata,"",@progbits
; Kernel info:
; codeLenInByte = 2640
; NumSgprs: 30
; NumVgprs: 69
; NumAgprs: 0
; TotalNumVgprs: 69
; ScratchSize: 0
; MemoryBound: 0
; FloatMode: 240
; IeeeMode: 1
; LDSByteSize: 1032 bytes/workgroup (compile time only)
; SGPRBlocks: 3
; VGPRBlocks: 8
; NumSGPRsForWavesPerEU: 30
; NumVGPRsForWavesPerEU: 69
; AccumOffset: 72
; Occupancy: 7
; WaveLimiterHint : 0
; COMPUTE_PGM_RSRC2:SCRATCH_EN: 0
; COMPUTE_PGM_RSRC2:USER_SGPR: 2
; COMPUTE_PGM_RSRC2:TRAP_HANDLER: 0
; COMPUTE_PGM_RSRC2:TGID_X_EN: 1
; COMPUTE_PGM_RSRC2:TGID_Y_EN: 0
; COMPUTE_PGM_RSRC2:TGID_Z_EN: 0
; COMPUTE_PGM_RSRC2:TIDIG_COMP_CNT: 0
; COMPUTE_PGM_RSRC3_GFX90A:ACCUM_OFFSET: 17
; COMPUTE_PGM_RSRC3_GFX90A:TG_SPLIT: 0
	.section	.text._Z16sort_keys_kernelIxLj128ELj2EN10test_utils4lessELj10EEvPKT_PS2_T2_,"axG",@progbits,_Z16sort_keys_kernelIxLj128ELj2EN10test_utils4lessELj10EEvPKT_PS2_T2_,comdat
	.protected	_Z16sort_keys_kernelIxLj128ELj2EN10test_utils4lessELj10EEvPKT_PS2_T2_ ; -- Begin function _Z16sort_keys_kernelIxLj128ELj2EN10test_utils4lessELj10EEvPKT_PS2_T2_
	.globl	_Z16sort_keys_kernelIxLj128ELj2EN10test_utils4lessELj10EEvPKT_PS2_T2_
	.p2align	8
	.type	_Z16sort_keys_kernelIxLj128ELj2EN10test_utils4lessELj10EEvPKT_PS2_T2_,@function
_Z16sort_keys_kernelIxLj128ELj2EN10test_utils4lessELj10EEvPKT_PS2_T2_: ; @_Z16sort_keys_kernelIxLj128ELj2EN10test_utils4lessELj10EEvPKT_PS2_T2_
; %bb.0:
	s_load_dwordx4 s[16:19], s[0:1], 0x0
	s_lshl_b32 s20, s2, 8
	s_mov_b32 s21, 0
	s_lshl_b64 s[22:23], s[20:21], 3
	v_lshlrev_b32_e32 v1, 3, v0
	s_waitcnt lgkmcnt(0)
	s_add_u32 s0, s16, s22
	s_addc_u32 s1, s17, s23
	global_load_dwordx2 v[2:3], v1, s[0:1]
	global_load_dwordx2 v[4:5], v1, s[0:1] offset:1024
	v_lshlrev_b32_e32 v1, 1, v0
	v_and_b32_e32 v11, 0xfc, v1
	v_or_b32_e32 v13, 2, v11
	v_add_u32_e32 v14, 4, v11
	v_and_b32_e32 v20, 0xf8, v1
	v_and_b32_e32 v12, 2, v1
	v_sub_u32_e32 v7, v14, v13
	v_or_b32_e32 v22, 4, v20
	v_add_u32_e32 v23, 8, v20
	v_and_b32_e32 v29, 0xf0, v1
	v_sub_u32_e32 v6, v13, v11
	v_sub_u32_e32 v8, v12, v7
	v_cmp_ge_i32_e32 vcc, v12, v7
	v_and_b32_e32 v21, 6, v1
	v_sub_u32_e32 v7, v23, v22
	v_or_b32_e32 v31, 8, v29
	v_add_u32_e32 v32, 16, v29
	v_and_b32_e32 v38, 0xe0, v1
	v_cndmask_b32_e32 v17, 0, v8, vcc
	v_min_i32_e32 v18, v12, v6
	v_sub_u32_e32 v6, v22, v20
	v_sub_u32_e32 v8, v21, v7
	v_cmp_ge_i32_e64 s[0:1], v21, v7
	v_and_b32_e32 v30, 14, v1
	v_sub_u32_e32 v7, v32, v31
	v_or_b32_e32 v40, 16, v38
	v_add_u32_e32 v41, 32, v38
	v_and_b32_e32 v47, 0xc0, v1
	v_cndmask_b32_e64 v26, 0, v8, s[0:1]
	v_min_i32_e32 v27, v21, v6
	v_sub_u32_e32 v6, v31, v29
	v_sub_u32_e32 v8, v30, v7
	v_cmp_ge_i32_e64 s[2:3], v30, v7
	v_and_b32_e32 v39, 30, v1
	v_sub_u32_e32 v7, v41, v40
	v_or_b32_e32 v49, 32, v47
	v_add_u32_e32 v50, 64, v47
	v_and_b32_e32 v55, 0x80, v1
	v_cndmask_b32_e64 v35, 0, v8, s[2:3]
	v_min_i32_e32 v36, v30, v6
	v_sub_u32_e32 v6, v40, v38
	v_sub_u32_e32 v8, v39, v7
	v_cmp_ge_i32_e64 s[4:5], v39, v7
	v_and_b32_e32 v48, 62, v1
	v_sub_u32_e32 v7, v50, v49
	v_or_b32_e32 v57, 64, v55
	v_add_u32_e32 v58, 0x80, v55
	v_cndmask_b32_e64 v44, 0, v8, s[4:5]
	v_min_i32_e32 v45, v39, v6
	v_sub_u32_e32 v6, v49, v47
	v_sub_u32_e32 v8, v48, v7
	v_cmp_ge_i32_e64 s[6:7], v48, v7
	v_and_b32_e32 v56, 0x7e, v1
	v_sub_u32_e32 v7, v58, v57
	v_cndmask_b32_e64 v52, 0, v8, s[6:7]
	v_min_i32_e32 v53, v48, v6
	v_mov_b32_e32 v54, 0x80
	v_sub_u32_e32 v6, v57, v55
	v_sub_u32_e32 v8, v56, v7
	v_cmp_ge_i32_e64 s[8:9], v56, v7
	v_min_i32_e32 v60, v56, v6
	v_sub_u32_e64 v61, v1, v54 clamp
	v_cndmask_b32_e64 v59, 0, v8, s[8:9]
	v_min_i32_e32 v62, 0x80, v1
	v_lshlrev_b32_e32 v10, 4, v0
	v_lshlrev_b32_e32 v15, 3, v11
	;; [unrolled: 1-line block ×3, first 2 shown]
	v_cmp_lt_i32_e32 vcc, v17, v18
	v_add_u32_e32 v19, v13, v12
	v_lshlrev_b32_e32 v24, 3, v20
	v_lshlrev_b32_e32 v25, 3, v22
	v_cmp_lt_i32_e64 s[0:1], v26, v27
	v_add_u32_e32 v28, v22, v21
	v_lshlrev_b32_e32 v33, 3, v29
	v_lshlrev_b32_e32 v34, 3, v31
	v_cmp_lt_i32_e64 s[2:3], v35, v36
	;; [unrolled: 4-line block ×3, first 2 shown]
	v_add_u32_e32 v46, v40, v39
	v_lshlrev_b32_e32 v51, 3, v47
	v_cmp_lt_i32_e64 s[6:7], v52, v53
	v_cmp_lt_i32_e64 s[8:9], v59, v60
	;; [unrolled: 1-line block ×3, first 2 shown]
	s_movk_i32 s20, 0x100
	v_lshlrev_b32_e32 v63, 3, v49
	v_add_u32_e32 v64, v49, v48
	v_lshlrev_b32_e32 v65, 3, v55
	v_lshlrev_b32_e32 v66, 3, v57
	v_add_u32_e32 v67, v57, v56
	v_add_u32_e32 v68, 0x80, v1
	s_branch .LBB132_2
.LBB132_1:                              ;   in Loop: Header=BB132_2 Depth=1
	s_or_b64 exec, exec, s[14:15]
	v_cmp_ge_i32_e64 s[14:15], v69, v54
	s_waitcnt lgkmcnt(0)
	v_cmp_lt_i64_e64 s[16:17], v[8:9], v[6:7]
	v_cndmask_b32_e64 v3, v3, v5, s[12:13]
	v_cndmask_b32_e64 v2, v2, v4, s[12:13]
	v_cmp_gt_i32_e64 s[12:13], s20, v70
	s_or_b64 s[14:15], s[14:15], s[16:17]
	s_and_b64 s[12:13], s[12:13], s[14:15]
	s_add_i32 s21, s21, 1
	v_cndmask_b32_e64 v5, v7, v9, s[12:13]
	s_cmp_eq_u32 s21, 10
	v_cndmask_b32_e64 v4, v6, v8, s[12:13]
	s_cbranch_scc1 .LBB132_58
.LBB132_2:                              ; =>This Loop Header: Depth=1
                                        ;     Child Loop BB132_4 Depth 2
                                        ;     Child Loop BB132_12 Depth 2
                                        ;     Child Loop BB132_20 Depth 2
                                        ;     Child Loop BB132_28 Depth 2
                                        ;     Child Loop BB132_36 Depth 2
                                        ;     Child Loop BB132_44 Depth 2
                                        ;     Child Loop BB132_52 Depth 2
	s_waitcnt vmcnt(0)
	v_cmp_lt_i64_e64 s[12:13], v[4:5], v[2:3]
	s_barrier
	s_nop 0
	v_cndmask_b32_e64 v7, v5, v3, s[12:13]
	v_cndmask_b32_e64 v6, v4, v2, s[12:13]
	v_cndmask_b32_e64 v3, v3, v5, s[12:13]
	v_cndmask_b32_e64 v2, v2, v4, s[12:13]
	ds_write2_b64 v10, v[2:3], v[6:7] offset1:1
	v_mov_b32_e32 v6, v17
	s_waitcnt lgkmcnt(0)
	s_barrier
	s_and_saveexec_b64 s[14:15], vcc
	s_cbranch_execz .LBB132_6
; %bb.3:                                ;   in Loop: Header=BB132_2 Depth=1
	s_mov_b64 s[16:17], 0
	v_mov_b32_e32 v6, v17
	v_mov_b32_e32 v2, v18
.LBB132_4:                              ;   Parent Loop BB132_2 Depth=1
                                        ; =>  This Inner Loop Header: Depth=2
	v_sub_u32_e32 v3, v2, v6
	v_lshrrev_b32_e32 v4, 31, v3
	v_add_u32_e32 v3, v3, v4
	v_ashrrev_i32_e32 v3, 1, v3
	v_add_u32_e32 v3, v3, v6
	v_lshl_add_u32 v4, v3, 3, v15
	v_xad_u32 v5, v3, -1, v12
	v_lshl_add_u32 v7, v5, 3, v16
	ds_read_b64 v[4:5], v4
	ds_read_b64 v[8:9], v7
	v_add_u32_e32 v7, 1, v3
	s_waitcnt lgkmcnt(0)
	v_cmp_lt_i64_e64 s[12:13], v[8:9], v[4:5]
	s_nop 1
	v_cndmask_b32_e64 v2, v2, v3, s[12:13]
	v_cndmask_b32_e64 v6, v7, v6, s[12:13]
	v_cmp_ge_i32_e64 s[12:13], v6, v2
	s_or_b64 s[16:17], s[12:13], s[16:17]
	s_andn2_b64 exec, exec, s[16:17]
	s_cbranch_execnz .LBB132_4
; %bb.5:                                ;   in Loop: Header=BB132_2 Depth=1
	s_or_b64 exec, exec, s[16:17]
.LBB132_6:                              ;   in Loop: Header=BB132_2 Depth=1
	s_or_b64 exec, exec, s[14:15]
	v_sub_u32_e32 v69, v19, v6
	v_lshl_add_u32 v8, v6, 3, v15
	v_lshlrev_b32_e32 v71, 3, v69
	ds_read_b64 v[2:3], v8
	ds_read_b64 v[4:5], v71
	v_add_u32_e32 v70, v6, v11
	v_cmp_le_i32_e64 s[14:15], v13, v70
	v_cmp_gt_i32_e64 s[12:13], v14, v69
                                        ; implicit-def: $vgpr6_vgpr7
	s_waitcnt lgkmcnt(0)
	v_cmp_lt_i64_e64 s[16:17], v[4:5], v[2:3]
	s_or_b64 s[14:15], s[14:15], s[16:17]
	s_and_b64 s[12:13], s[12:13], s[14:15]
	s_xor_b64 s[14:15], s[12:13], -1
	s_and_saveexec_b64 s[16:17], s[14:15]
	s_xor_b64 s[14:15], exec, s[16:17]
	s_cbranch_execz .LBB132_8
; %bb.7:                                ;   in Loop: Header=BB132_2 Depth=1
	ds_read_b64 v[6:7], v8 offset:8
                                        ; implicit-def: $vgpr71
.LBB132_8:                              ;   in Loop: Header=BB132_2 Depth=1
	s_or_saveexec_b64 s[14:15], s[14:15]
	v_mov_b64_e32 v[8:9], v[4:5]
	s_xor_b64 exec, exec, s[14:15]
	s_cbranch_execz .LBB132_10
; %bb.9:                                ;   in Loop: Header=BB132_2 Depth=1
	ds_read_b64 v[8:9], v71 offset:8
	s_waitcnt lgkmcnt(1)
	v_mov_b64_e32 v[6:7], v[2:3]
.LBB132_10:                             ;   in Loop: Header=BB132_2 Depth=1
	s_or_b64 exec, exec, s[14:15]
	v_cndmask_b32_e64 v3, v3, v5, s[12:13]
	v_add_u32_e32 v5, 1, v70
	v_cndmask_b32_e64 v2, v2, v4, s[12:13]
	v_add_u32_e32 v4, 1, v69
	v_cndmask_b32_e64 v5, v5, v70, s[12:13]
	v_cndmask_b32_e64 v4, v69, v4, s[12:13]
	v_cmp_ge_i32_e64 s[14:15], v5, v13
	s_waitcnt lgkmcnt(0)
	v_cmp_lt_i64_e64 s[16:17], v[8:9], v[6:7]
	v_cmp_lt_i32_e64 s[12:13], v4, v14
	s_or_b64 s[14:15], s[14:15], s[16:17]
	s_and_b64 s[12:13], s[12:13], s[14:15]
	v_cndmask_b32_e64 v5, v7, v9, s[12:13]
	v_cndmask_b32_e64 v4, v6, v8, s[12:13]
	v_mov_b32_e32 v6, v26
	s_barrier
	ds_write2_b64 v10, v[2:3], v[4:5] offset1:1
	s_waitcnt lgkmcnt(0)
	s_barrier
	s_and_saveexec_b64 s[14:15], s[0:1]
	s_cbranch_execz .LBB132_14
; %bb.11:                               ;   in Loop: Header=BB132_2 Depth=1
	s_mov_b64 s[16:17], 0
	v_mov_b32_e32 v6, v26
	v_mov_b32_e32 v2, v27
.LBB132_12:                             ;   Parent Loop BB132_2 Depth=1
                                        ; =>  This Inner Loop Header: Depth=2
	v_sub_u32_e32 v3, v2, v6
	v_lshrrev_b32_e32 v4, 31, v3
	v_add_u32_e32 v3, v3, v4
	v_ashrrev_i32_e32 v3, 1, v3
	v_add_u32_e32 v3, v3, v6
	v_lshl_add_u32 v4, v3, 3, v24
	v_xad_u32 v5, v3, -1, v21
	v_lshl_add_u32 v7, v5, 3, v25
	ds_read_b64 v[4:5], v4
	ds_read_b64 v[8:9], v7
	v_add_u32_e32 v7, 1, v3
	s_waitcnt lgkmcnt(0)
	v_cmp_lt_i64_e64 s[12:13], v[8:9], v[4:5]
	s_nop 1
	v_cndmask_b32_e64 v2, v2, v3, s[12:13]
	v_cndmask_b32_e64 v6, v7, v6, s[12:13]
	v_cmp_ge_i32_e64 s[12:13], v6, v2
	s_or_b64 s[16:17], s[12:13], s[16:17]
	s_andn2_b64 exec, exec, s[16:17]
	s_cbranch_execnz .LBB132_12
; %bb.13:                               ;   in Loop: Header=BB132_2 Depth=1
	s_or_b64 exec, exec, s[16:17]
.LBB132_14:                             ;   in Loop: Header=BB132_2 Depth=1
	s_or_b64 exec, exec, s[14:15]
	v_sub_u32_e32 v69, v28, v6
	v_lshl_add_u32 v8, v6, 3, v24
	v_lshlrev_b32_e32 v71, 3, v69
	ds_read_b64 v[2:3], v8
	ds_read_b64 v[4:5], v71
	v_add_u32_e32 v70, v6, v20
	v_cmp_le_i32_e64 s[14:15], v22, v70
	v_cmp_gt_i32_e64 s[12:13], v23, v69
                                        ; implicit-def: $vgpr6_vgpr7
	s_waitcnt lgkmcnt(0)
	v_cmp_lt_i64_e64 s[16:17], v[4:5], v[2:3]
	s_or_b64 s[14:15], s[14:15], s[16:17]
	s_and_b64 s[12:13], s[12:13], s[14:15]
	s_xor_b64 s[14:15], s[12:13], -1
	s_and_saveexec_b64 s[16:17], s[14:15]
	s_xor_b64 s[14:15], exec, s[16:17]
	s_cbranch_execz .LBB132_16
; %bb.15:                               ;   in Loop: Header=BB132_2 Depth=1
	ds_read_b64 v[6:7], v8 offset:8
                                        ; implicit-def: $vgpr71
.LBB132_16:                             ;   in Loop: Header=BB132_2 Depth=1
	s_or_saveexec_b64 s[14:15], s[14:15]
	v_mov_b64_e32 v[8:9], v[4:5]
	s_xor_b64 exec, exec, s[14:15]
	s_cbranch_execz .LBB132_18
; %bb.17:                               ;   in Loop: Header=BB132_2 Depth=1
	ds_read_b64 v[8:9], v71 offset:8
	s_waitcnt lgkmcnt(1)
	v_mov_b64_e32 v[6:7], v[2:3]
.LBB132_18:                             ;   in Loop: Header=BB132_2 Depth=1
	s_or_b64 exec, exec, s[14:15]
	v_cndmask_b32_e64 v3, v3, v5, s[12:13]
	v_add_u32_e32 v5, 1, v70
	v_cndmask_b32_e64 v2, v2, v4, s[12:13]
	v_add_u32_e32 v4, 1, v69
	v_cndmask_b32_e64 v5, v5, v70, s[12:13]
	v_cndmask_b32_e64 v4, v69, v4, s[12:13]
	v_cmp_ge_i32_e64 s[14:15], v5, v22
	s_waitcnt lgkmcnt(0)
	v_cmp_lt_i64_e64 s[16:17], v[8:9], v[6:7]
	v_cmp_lt_i32_e64 s[12:13], v4, v23
	s_or_b64 s[14:15], s[14:15], s[16:17]
	s_and_b64 s[12:13], s[12:13], s[14:15]
	v_cndmask_b32_e64 v5, v7, v9, s[12:13]
	v_cndmask_b32_e64 v4, v6, v8, s[12:13]
	v_mov_b32_e32 v6, v35
	s_barrier
	ds_write2_b64 v10, v[2:3], v[4:5] offset1:1
	s_waitcnt lgkmcnt(0)
	s_barrier
	s_and_saveexec_b64 s[14:15], s[2:3]
	s_cbranch_execz .LBB132_22
; %bb.19:                               ;   in Loop: Header=BB132_2 Depth=1
	s_mov_b64 s[16:17], 0
	v_mov_b32_e32 v6, v35
	v_mov_b32_e32 v2, v36
.LBB132_20:                             ;   Parent Loop BB132_2 Depth=1
                                        ; =>  This Inner Loop Header: Depth=2
	v_sub_u32_e32 v3, v2, v6
	v_lshrrev_b32_e32 v4, 31, v3
	v_add_u32_e32 v3, v3, v4
	v_ashrrev_i32_e32 v3, 1, v3
	v_add_u32_e32 v3, v3, v6
	v_lshl_add_u32 v4, v3, 3, v33
	v_xad_u32 v5, v3, -1, v30
	v_lshl_add_u32 v7, v5, 3, v34
	ds_read_b64 v[4:5], v4
	ds_read_b64 v[8:9], v7
	v_add_u32_e32 v7, 1, v3
	s_waitcnt lgkmcnt(0)
	v_cmp_lt_i64_e64 s[12:13], v[8:9], v[4:5]
	s_nop 1
	v_cndmask_b32_e64 v2, v2, v3, s[12:13]
	v_cndmask_b32_e64 v6, v7, v6, s[12:13]
	v_cmp_ge_i32_e64 s[12:13], v6, v2
	s_or_b64 s[16:17], s[12:13], s[16:17]
	s_andn2_b64 exec, exec, s[16:17]
	s_cbranch_execnz .LBB132_20
; %bb.21:                               ;   in Loop: Header=BB132_2 Depth=1
	s_or_b64 exec, exec, s[16:17]
.LBB132_22:                             ;   in Loop: Header=BB132_2 Depth=1
	s_or_b64 exec, exec, s[14:15]
	v_sub_u32_e32 v69, v37, v6
	v_lshl_add_u32 v8, v6, 3, v33
	v_lshlrev_b32_e32 v71, 3, v69
	ds_read_b64 v[2:3], v8
	ds_read_b64 v[4:5], v71
	v_add_u32_e32 v70, v6, v29
	v_cmp_le_i32_e64 s[14:15], v31, v70
	v_cmp_gt_i32_e64 s[12:13], v32, v69
                                        ; implicit-def: $vgpr6_vgpr7
	s_waitcnt lgkmcnt(0)
	v_cmp_lt_i64_e64 s[16:17], v[4:5], v[2:3]
	s_or_b64 s[14:15], s[14:15], s[16:17]
	s_and_b64 s[12:13], s[12:13], s[14:15]
	s_xor_b64 s[14:15], s[12:13], -1
	s_and_saveexec_b64 s[16:17], s[14:15]
	s_xor_b64 s[14:15], exec, s[16:17]
	s_cbranch_execz .LBB132_24
; %bb.23:                               ;   in Loop: Header=BB132_2 Depth=1
	ds_read_b64 v[6:7], v8 offset:8
                                        ; implicit-def: $vgpr71
.LBB132_24:                             ;   in Loop: Header=BB132_2 Depth=1
	s_or_saveexec_b64 s[14:15], s[14:15]
	v_mov_b64_e32 v[8:9], v[4:5]
	s_xor_b64 exec, exec, s[14:15]
	s_cbranch_execz .LBB132_26
; %bb.25:                               ;   in Loop: Header=BB132_2 Depth=1
	ds_read_b64 v[8:9], v71 offset:8
	s_waitcnt lgkmcnt(1)
	v_mov_b64_e32 v[6:7], v[2:3]
.LBB132_26:                             ;   in Loop: Header=BB132_2 Depth=1
	s_or_b64 exec, exec, s[14:15]
	v_cndmask_b32_e64 v3, v3, v5, s[12:13]
	v_add_u32_e32 v5, 1, v70
	v_cndmask_b32_e64 v2, v2, v4, s[12:13]
	v_add_u32_e32 v4, 1, v69
	v_cndmask_b32_e64 v5, v5, v70, s[12:13]
	v_cndmask_b32_e64 v4, v69, v4, s[12:13]
	v_cmp_ge_i32_e64 s[14:15], v5, v31
	s_waitcnt lgkmcnt(0)
	v_cmp_lt_i64_e64 s[16:17], v[8:9], v[6:7]
	v_cmp_lt_i32_e64 s[12:13], v4, v32
	s_or_b64 s[14:15], s[14:15], s[16:17]
	s_and_b64 s[12:13], s[12:13], s[14:15]
	v_cndmask_b32_e64 v5, v7, v9, s[12:13]
	v_cndmask_b32_e64 v4, v6, v8, s[12:13]
	v_mov_b32_e32 v6, v44
	s_barrier
	ds_write2_b64 v10, v[2:3], v[4:5] offset1:1
	s_waitcnt lgkmcnt(0)
	s_barrier
	s_and_saveexec_b64 s[14:15], s[4:5]
	s_cbranch_execz .LBB132_30
; %bb.27:                               ;   in Loop: Header=BB132_2 Depth=1
	s_mov_b64 s[16:17], 0
	v_mov_b32_e32 v6, v44
	v_mov_b32_e32 v2, v45
.LBB132_28:                             ;   Parent Loop BB132_2 Depth=1
                                        ; =>  This Inner Loop Header: Depth=2
	v_sub_u32_e32 v3, v2, v6
	v_lshrrev_b32_e32 v4, 31, v3
	v_add_u32_e32 v3, v3, v4
	v_ashrrev_i32_e32 v3, 1, v3
	v_add_u32_e32 v3, v3, v6
	v_lshl_add_u32 v4, v3, 3, v42
	v_xad_u32 v5, v3, -1, v39
	v_lshl_add_u32 v7, v5, 3, v43
	ds_read_b64 v[4:5], v4
	ds_read_b64 v[8:9], v7
	v_add_u32_e32 v7, 1, v3
	s_waitcnt lgkmcnt(0)
	v_cmp_lt_i64_e64 s[12:13], v[8:9], v[4:5]
	s_nop 1
	v_cndmask_b32_e64 v2, v2, v3, s[12:13]
	v_cndmask_b32_e64 v6, v7, v6, s[12:13]
	v_cmp_ge_i32_e64 s[12:13], v6, v2
	s_or_b64 s[16:17], s[12:13], s[16:17]
	s_andn2_b64 exec, exec, s[16:17]
	s_cbranch_execnz .LBB132_28
; %bb.29:                               ;   in Loop: Header=BB132_2 Depth=1
	s_or_b64 exec, exec, s[16:17]
.LBB132_30:                             ;   in Loop: Header=BB132_2 Depth=1
	s_or_b64 exec, exec, s[14:15]
	v_sub_u32_e32 v69, v46, v6
	v_lshl_add_u32 v8, v6, 3, v42
	v_lshlrev_b32_e32 v71, 3, v69
	ds_read_b64 v[2:3], v8
	ds_read_b64 v[4:5], v71
	v_add_u32_e32 v70, v6, v38
	v_cmp_le_i32_e64 s[14:15], v40, v70
	v_cmp_gt_i32_e64 s[12:13], v41, v69
                                        ; implicit-def: $vgpr6_vgpr7
	s_waitcnt lgkmcnt(0)
	v_cmp_lt_i64_e64 s[16:17], v[4:5], v[2:3]
	s_or_b64 s[14:15], s[14:15], s[16:17]
	s_and_b64 s[12:13], s[12:13], s[14:15]
	s_xor_b64 s[14:15], s[12:13], -1
	s_and_saveexec_b64 s[16:17], s[14:15]
	s_xor_b64 s[14:15], exec, s[16:17]
	s_cbranch_execz .LBB132_32
; %bb.31:                               ;   in Loop: Header=BB132_2 Depth=1
	ds_read_b64 v[6:7], v8 offset:8
                                        ; implicit-def: $vgpr71
.LBB132_32:                             ;   in Loop: Header=BB132_2 Depth=1
	s_or_saveexec_b64 s[14:15], s[14:15]
	v_mov_b64_e32 v[8:9], v[4:5]
	s_xor_b64 exec, exec, s[14:15]
	s_cbranch_execz .LBB132_34
; %bb.33:                               ;   in Loop: Header=BB132_2 Depth=1
	ds_read_b64 v[8:9], v71 offset:8
	s_waitcnt lgkmcnt(1)
	v_mov_b64_e32 v[6:7], v[2:3]
.LBB132_34:                             ;   in Loop: Header=BB132_2 Depth=1
	s_or_b64 exec, exec, s[14:15]
	v_cndmask_b32_e64 v3, v3, v5, s[12:13]
	v_add_u32_e32 v5, 1, v70
	v_cndmask_b32_e64 v2, v2, v4, s[12:13]
	v_add_u32_e32 v4, 1, v69
	v_cndmask_b32_e64 v5, v5, v70, s[12:13]
	v_cndmask_b32_e64 v4, v69, v4, s[12:13]
	v_cmp_ge_i32_e64 s[14:15], v5, v40
	s_waitcnt lgkmcnt(0)
	v_cmp_lt_i64_e64 s[16:17], v[8:9], v[6:7]
	v_cmp_lt_i32_e64 s[12:13], v4, v41
	s_or_b64 s[14:15], s[14:15], s[16:17]
	s_and_b64 s[12:13], s[12:13], s[14:15]
	v_cndmask_b32_e64 v5, v7, v9, s[12:13]
	v_cndmask_b32_e64 v4, v6, v8, s[12:13]
	v_mov_b32_e32 v6, v52
	s_barrier
	ds_write2_b64 v10, v[2:3], v[4:5] offset1:1
	s_waitcnt lgkmcnt(0)
	s_barrier
	s_and_saveexec_b64 s[14:15], s[6:7]
	s_cbranch_execz .LBB132_38
; %bb.35:                               ;   in Loop: Header=BB132_2 Depth=1
	s_mov_b64 s[16:17], 0
	v_mov_b32_e32 v6, v52
	v_mov_b32_e32 v2, v53
.LBB132_36:                             ;   Parent Loop BB132_2 Depth=1
                                        ; =>  This Inner Loop Header: Depth=2
	v_sub_u32_e32 v3, v2, v6
	v_lshrrev_b32_e32 v4, 31, v3
	v_add_u32_e32 v3, v3, v4
	v_ashrrev_i32_e32 v3, 1, v3
	v_add_u32_e32 v3, v3, v6
	v_lshl_add_u32 v4, v3, 3, v51
	v_xad_u32 v5, v3, -1, v48
	v_lshl_add_u32 v7, v5, 3, v63
	ds_read_b64 v[4:5], v4
	ds_read_b64 v[8:9], v7
	v_add_u32_e32 v7, 1, v3
	s_waitcnt lgkmcnt(0)
	v_cmp_lt_i64_e64 s[12:13], v[8:9], v[4:5]
	s_nop 1
	v_cndmask_b32_e64 v2, v2, v3, s[12:13]
	v_cndmask_b32_e64 v6, v7, v6, s[12:13]
	v_cmp_ge_i32_e64 s[12:13], v6, v2
	s_or_b64 s[16:17], s[12:13], s[16:17]
	s_andn2_b64 exec, exec, s[16:17]
	s_cbranch_execnz .LBB132_36
; %bb.37:                               ;   in Loop: Header=BB132_2 Depth=1
	s_or_b64 exec, exec, s[16:17]
.LBB132_38:                             ;   in Loop: Header=BB132_2 Depth=1
	s_or_b64 exec, exec, s[14:15]
	v_sub_u32_e32 v69, v64, v6
	v_lshl_add_u32 v8, v6, 3, v51
	v_lshlrev_b32_e32 v71, 3, v69
	ds_read_b64 v[2:3], v8
	ds_read_b64 v[4:5], v71
	v_add_u32_e32 v70, v6, v47
	v_cmp_le_i32_e64 s[14:15], v49, v70
	v_cmp_gt_i32_e64 s[12:13], v50, v69
                                        ; implicit-def: $vgpr6_vgpr7
	s_waitcnt lgkmcnt(0)
	v_cmp_lt_i64_e64 s[16:17], v[4:5], v[2:3]
	s_or_b64 s[14:15], s[14:15], s[16:17]
	s_and_b64 s[12:13], s[12:13], s[14:15]
	s_xor_b64 s[14:15], s[12:13], -1
	s_and_saveexec_b64 s[16:17], s[14:15]
	s_xor_b64 s[14:15], exec, s[16:17]
	s_cbranch_execz .LBB132_40
; %bb.39:                               ;   in Loop: Header=BB132_2 Depth=1
	ds_read_b64 v[6:7], v8 offset:8
                                        ; implicit-def: $vgpr71
.LBB132_40:                             ;   in Loop: Header=BB132_2 Depth=1
	s_or_saveexec_b64 s[14:15], s[14:15]
	v_mov_b64_e32 v[8:9], v[4:5]
	s_xor_b64 exec, exec, s[14:15]
	s_cbranch_execz .LBB132_42
; %bb.41:                               ;   in Loop: Header=BB132_2 Depth=1
	ds_read_b64 v[8:9], v71 offset:8
	s_waitcnt lgkmcnt(1)
	v_mov_b64_e32 v[6:7], v[2:3]
.LBB132_42:                             ;   in Loop: Header=BB132_2 Depth=1
	s_or_b64 exec, exec, s[14:15]
	v_cndmask_b32_e64 v3, v3, v5, s[12:13]
	v_add_u32_e32 v5, 1, v70
	v_cndmask_b32_e64 v2, v2, v4, s[12:13]
	v_add_u32_e32 v4, 1, v69
	v_cndmask_b32_e64 v5, v5, v70, s[12:13]
	v_cndmask_b32_e64 v4, v69, v4, s[12:13]
	v_cmp_ge_i32_e64 s[14:15], v5, v49
	s_waitcnt lgkmcnt(0)
	v_cmp_lt_i64_e64 s[16:17], v[8:9], v[6:7]
	v_cmp_lt_i32_e64 s[12:13], v4, v50
	s_or_b64 s[14:15], s[14:15], s[16:17]
	s_and_b64 s[12:13], s[12:13], s[14:15]
	v_cndmask_b32_e64 v5, v7, v9, s[12:13]
	v_cndmask_b32_e64 v4, v6, v8, s[12:13]
	v_mov_b32_e32 v6, v59
	s_barrier
	ds_write2_b64 v10, v[2:3], v[4:5] offset1:1
	s_waitcnt lgkmcnt(0)
	s_barrier
	s_and_saveexec_b64 s[14:15], s[8:9]
	s_cbranch_execz .LBB132_46
; %bb.43:                               ;   in Loop: Header=BB132_2 Depth=1
	s_mov_b64 s[16:17], 0
	v_mov_b32_e32 v6, v59
	v_mov_b32_e32 v2, v60
.LBB132_44:                             ;   Parent Loop BB132_2 Depth=1
                                        ; =>  This Inner Loop Header: Depth=2
	v_sub_u32_e32 v3, v2, v6
	v_lshrrev_b32_e32 v4, 31, v3
	v_add_u32_e32 v3, v3, v4
	v_ashrrev_i32_e32 v3, 1, v3
	v_add_u32_e32 v3, v3, v6
	v_lshl_add_u32 v4, v3, 3, v65
	v_xad_u32 v5, v3, -1, v56
	v_lshl_add_u32 v7, v5, 3, v66
	ds_read_b64 v[4:5], v4
	ds_read_b64 v[8:9], v7
	v_add_u32_e32 v7, 1, v3
	s_waitcnt lgkmcnt(0)
	v_cmp_lt_i64_e64 s[12:13], v[8:9], v[4:5]
	s_nop 1
	v_cndmask_b32_e64 v2, v2, v3, s[12:13]
	v_cndmask_b32_e64 v6, v7, v6, s[12:13]
	v_cmp_ge_i32_e64 s[12:13], v6, v2
	s_or_b64 s[16:17], s[12:13], s[16:17]
	s_andn2_b64 exec, exec, s[16:17]
	s_cbranch_execnz .LBB132_44
; %bb.45:                               ;   in Loop: Header=BB132_2 Depth=1
	s_or_b64 exec, exec, s[16:17]
.LBB132_46:                             ;   in Loop: Header=BB132_2 Depth=1
	s_or_b64 exec, exec, s[14:15]
	v_sub_u32_e32 v69, v67, v6
	v_lshl_add_u32 v8, v6, 3, v65
	v_lshlrev_b32_e32 v71, 3, v69
	ds_read_b64 v[2:3], v8
	ds_read_b64 v[4:5], v71
	v_add_u32_e32 v70, v6, v55
	v_cmp_le_i32_e64 s[14:15], v57, v70
	v_cmp_gt_i32_e64 s[12:13], v58, v69
                                        ; implicit-def: $vgpr6_vgpr7
	s_waitcnt lgkmcnt(0)
	v_cmp_lt_i64_e64 s[16:17], v[4:5], v[2:3]
	s_or_b64 s[14:15], s[14:15], s[16:17]
	s_and_b64 s[12:13], s[12:13], s[14:15]
	s_xor_b64 s[14:15], s[12:13], -1
	s_and_saveexec_b64 s[16:17], s[14:15]
	s_xor_b64 s[14:15], exec, s[16:17]
	s_cbranch_execz .LBB132_48
; %bb.47:                               ;   in Loop: Header=BB132_2 Depth=1
	ds_read_b64 v[6:7], v8 offset:8
                                        ; implicit-def: $vgpr71
.LBB132_48:                             ;   in Loop: Header=BB132_2 Depth=1
	s_or_saveexec_b64 s[14:15], s[14:15]
	v_mov_b64_e32 v[8:9], v[4:5]
	s_xor_b64 exec, exec, s[14:15]
	s_cbranch_execz .LBB132_50
; %bb.49:                               ;   in Loop: Header=BB132_2 Depth=1
	ds_read_b64 v[8:9], v71 offset:8
	s_waitcnt lgkmcnt(1)
	v_mov_b64_e32 v[6:7], v[2:3]
.LBB132_50:                             ;   in Loop: Header=BB132_2 Depth=1
	s_or_b64 exec, exec, s[14:15]
	v_cndmask_b32_e64 v3, v3, v5, s[12:13]
	v_add_u32_e32 v5, 1, v70
	v_cndmask_b32_e64 v2, v2, v4, s[12:13]
	v_add_u32_e32 v4, 1, v69
	v_cndmask_b32_e64 v5, v5, v70, s[12:13]
	v_cndmask_b32_e64 v4, v69, v4, s[12:13]
	v_cmp_ge_i32_e64 s[14:15], v5, v57
	s_waitcnt lgkmcnt(0)
	v_cmp_lt_i64_e64 s[16:17], v[8:9], v[6:7]
	v_cmp_lt_i32_e64 s[12:13], v4, v58
	s_or_b64 s[14:15], s[14:15], s[16:17]
	s_and_b64 s[12:13], s[12:13], s[14:15]
	v_cndmask_b32_e64 v5, v7, v9, s[12:13]
	v_cndmask_b32_e64 v4, v6, v8, s[12:13]
	v_mov_b32_e32 v69, v61
	s_barrier
	ds_write2_b64 v10, v[2:3], v[4:5] offset1:1
	s_waitcnt lgkmcnt(0)
	s_barrier
	s_and_saveexec_b64 s[14:15], s[10:11]
	s_cbranch_execz .LBB132_54
; %bb.51:                               ;   in Loop: Header=BB132_2 Depth=1
	s_mov_b64 s[16:17], 0
	v_mov_b32_e32 v69, v61
	v_mov_b32_e32 v2, v62
.LBB132_52:                             ;   Parent Loop BB132_2 Depth=1
                                        ; =>  This Inner Loop Header: Depth=2
	v_sub_u32_e32 v3, v2, v69
	v_lshrrev_b32_e32 v4, 31, v3
	v_add_u32_e32 v3, v3, v4
	v_ashrrev_i32_e32 v3, 1, v3
	v_add_u32_e32 v3, v3, v69
	v_xad_u32 v5, v3, -1, v1
	v_mov_b32_e32 v6, 0x400
	v_lshlrev_b32_e32 v4, 3, v3
	v_lshl_add_u32 v6, v5, 3, v6
	ds_read_b64 v[4:5], v4
	ds_read_b64 v[6:7], v6
	v_add_u32_e32 v8, 1, v3
	s_waitcnt lgkmcnt(0)
	v_cmp_lt_i64_e64 s[12:13], v[6:7], v[4:5]
	s_nop 1
	v_cndmask_b32_e64 v2, v2, v3, s[12:13]
	v_cndmask_b32_e64 v69, v8, v69, s[12:13]
	v_cmp_ge_i32_e64 s[12:13], v69, v2
	s_or_b64 s[16:17], s[12:13], s[16:17]
	s_andn2_b64 exec, exec, s[16:17]
	s_cbranch_execnz .LBB132_52
; %bb.53:                               ;   in Loop: Header=BB132_2 Depth=1
	s_or_b64 exec, exec, s[16:17]
.LBB132_54:                             ;   in Loop: Header=BB132_2 Depth=1
	s_or_b64 exec, exec, s[14:15]
	v_sub_u32_e32 v70, v68, v69
	v_lshlrev_b32_e32 v8, 3, v69
	v_lshlrev_b32_e32 v71, 3, v70
	ds_read_b64 v[2:3], v8
	ds_read_b64 v[4:5], v71
	v_cmp_le_i32_e64 s[14:15], v54, v69
	v_cmp_gt_i32_e64 s[12:13], s20, v70
                                        ; implicit-def: $vgpr6_vgpr7
	s_waitcnt lgkmcnt(0)
	v_cmp_lt_i64_e64 s[16:17], v[4:5], v[2:3]
	s_or_b64 s[14:15], s[14:15], s[16:17]
	s_and_b64 s[12:13], s[12:13], s[14:15]
	s_xor_b64 s[14:15], s[12:13], -1
	s_and_saveexec_b64 s[16:17], s[14:15]
	s_xor_b64 s[14:15], exec, s[16:17]
	s_cbranch_execz .LBB132_56
; %bb.55:                               ;   in Loop: Header=BB132_2 Depth=1
	ds_read_b64 v[6:7], v8 offset:8
	v_add_u32_e32 v69, 1, v69
                                        ; implicit-def: $vgpr71
.LBB132_56:                             ;   in Loop: Header=BB132_2 Depth=1
	s_or_saveexec_b64 s[14:15], s[14:15]
	v_mov_b64_e32 v[8:9], v[4:5]
	s_xor_b64 exec, exec, s[14:15]
	s_cbranch_execz .LBB132_1
; %bb.57:                               ;   in Loop: Header=BB132_2 Depth=1
	ds_read_b64 v[8:9], v71 offset:8
	v_add_u32_e32 v70, 1, v70
	s_waitcnt lgkmcnt(1)
	v_mov_b64_e32 v[6:7], v[2:3]
	s_branch .LBB132_1
.LBB132_58:
	s_add_u32 s0, s18, s22
	s_addc_u32 s1, s19, s23
	v_lshlrev_b32_e32 v0, 3, v0
	global_store_dwordx2 v0, v[2:3], s[0:1]
	global_store_dwordx2 v0, v[4:5], s[0:1] offset:1024
	s_endpgm
	.section	.rodata,"a",@progbits
	.p2align	6, 0x0
	.amdhsa_kernel _Z16sort_keys_kernelIxLj128ELj2EN10test_utils4lessELj10EEvPKT_PS2_T2_
		.amdhsa_group_segment_fixed_size 2056
		.amdhsa_private_segment_fixed_size 0
		.amdhsa_kernarg_size 20
		.amdhsa_user_sgpr_count 2
		.amdhsa_user_sgpr_dispatch_ptr 0
		.amdhsa_user_sgpr_queue_ptr 0
		.amdhsa_user_sgpr_kernarg_segment_ptr 1
		.amdhsa_user_sgpr_dispatch_id 0
		.amdhsa_user_sgpr_kernarg_preload_length 0
		.amdhsa_user_sgpr_kernarg_preload_offset 0
		.amdhsa_user_sgpr_private_segment_size 0
		.amdhsa_uses_dynamic_stack 0
		.amdhsa_enable_private_segment 0
		.amdhsa_system_sgpr_workgroup_id_x 1
		.amdhsa_system_sgpr_workgroup_id_y 0
		.amdhsa_system_sgpr_workgroup_id_z 0
		.amdhsa_system_sgpr_workgroup_info 0
		.amdhsa_system_vgpr_workitem_id 0
		.amdhsa_next_free_vgpr 72
		.amdhsa_next_free_sgpr 24
		.amdhsa_accum_offset 72
		.amdhsa_reserve_vcc 1
		.amdhsa_float_round_mode_32 0
		.amdhsa_float_round_mode_16_64 0
		.amdhsa_float_denorm_mode_32 3
		.amdhsa_float_denorm_mode_16_64 3
		.amdhsa_dx10_clamp 1
		.amdhsa_ieee_mode 1
		.amdhsa_fp16_overflow 0
		.amdhsa_tg_split 0
		.amdhsa_exception_fp_ieee_invalid_op 0
		.amdhsa_exception_fp_denorm_src 0
		.amdhsa_exception_fp_ieee_div_zero 0
		.amdhsa_exception_fp_ieee_overflow 0
		.amdhsa_exception_fp_ieee_underflow 0
		.amdhsa_exception_fp_ieee_inexact 0
		.amdhsa_exception_int_div_zero 0
	.end_amdhsa_kernel
	.section	.text._Z16sort_keys_kernelIxLj128ELj2EN10test_utils4lessELj10EEvPKT_PS2_T2_,"axG",@progbits,_Z16sort_keys_kernelIxLj128ELj2EN10test_utils4lessELj10EEvPKT_PS2_T2_,comdat
.Lfunc_end132:
	.size	_Z16sort_keys_kernelIxLj128ELj2EN10test_utils4lessELj10EEvPKT_PS2_T2_, .Lfunc_end132-_Z16sort_keys_kernelIxLj128ELj2EN10test_utils4lessELj10EEvPKT_PS2_T2_
                                        ; -- End function
	.section	.AMDGPU.csdata,"",@progbits
; Kernel info:
; codeLenInByte = 3356
; NumSgprs: 30
; NumVgprs: 72
; NumAgprs: 0
; TotalNumVgprs: 72
; ScratchSize: 0
; MemoryBound: 0
; FloatMode: 240
; IeeeMode: 1
; LDSByteSize: 2056 bytes/workgroup (compile time only)
; SGPRBlocks: 3
; VGPRBlocks: 8
; NumSGPRsForWavesPerEU: 30
; NumVGPRsForWavesPerEU: 72
; AccumOffset: 72
; Occupancy: 7
; WaveLimiterHint : 1
; COMPUTE_PGM_RSRC2:SCRATCH_EN: 0
; COMPUTE_PGM_RSRC2:USER_SGPR: 2
; COMPUTE_PGM_RSRC2:TRAP_HANDLER: 0
; COMPUTE_PGM_RSRC2:TGID_X_EN: 1
; COMPUTE_PGM_RSRC2:TGID_Y_EN: 0
; COMPUTE_PGM_RSRC2:TGID_Z_EN: 0
; COMPUTE_PGM_RSRC2:TIDIG_COMP_CNT: 0
; COMPUTE_PGM_RSRC3_GFX90A:ACCUM_OFFSET: 17
; COMPUTE_PGM_RSRC3_GFX90A:TG_SPLIT: 0
	.section	.text._Z17sort_pairs_kernelIxLj128ELj2EN10test_utils4lessELj10EEvPKT_PS2_T2_,"axG",@progbits,_Z17sort_pairs_kernelIxLj128ELj2EN10test_utils4lessELj10EEvPKT_PS2_T2_,comdat
	.protected	_Z17sort_pairs_kernelIxLj128ELj2EN10test_utils4lessELj10EEvPKT_PS2_T2_ ; -- Begin function _Z17sort_pairs_kernelIxLj128ELj2EN10test_utils4lessELj10EEvPKT_PS2_T2_
	.globl	_Z17sort_pairs_kernelIxLj128ELj2EN10test_utils4lessELj10EEvPKT_PS2_T2_
	.p2align	8
	.type	_Z17sort_pairs_kernelIxLj128ELj2EN10test_utils4lessELj10EEvPKT_PS2_T2_,@function
_Z17sort_pairs_kernelIxLj128ELj2EN10test_utils4lessELj10EEvPKT_PS2_T2_: ; @_Z17sort_pairs_kernelIxLj128ELj2EN10test_utils4lessELj10EEvPKT_PS2_T2_
; %bb.0:
	s_load_dwordx4 s[20:23], s[0:1], 0x0
	s_lshl_b32 s26, s2, 8
	s_mov_b32 s27, 0
	s_lshl_b64 s[24:25], s[26:27], 3
	v_lshlrev_b32_e32 v1, 3, v0
	s_waitcnt lgkmcnt(0)
	s_add_u32 s0, s20, s24
	s_addc_u32 s1, s21, s25
	global_load_dwordx2 v[2:3], v1, s[0:1]
	global_load_dwordx2 v[8:9], v1, s[0:1] offset:1024
	v_lshlrev_b32_e32 v1, 1, v0
	v_and_b32_e32 v19, 0xfc, v1
	v_or_b32_e32 v21, 2, v19
	v_add_u32_e32 v22, 4, v19
	v_and_b32_e32 v28, 0xf8, v1
	v_and_b32_e32 v20, 2, v1
	v_sub_u32_e32 v5, v22, v21
	v_or_b32_e32 v30, 4, v28
	v_add_u32_e32 v31, 8, v28
	v_and_b32_e32 v37, 0xf0, v1
	v_sub_u32_e32 v4, v21, v19
	v_sub_u32_e32 v6, v20, v5
	v_cmp_ge_i32_e32 vcc, v20, v5
	v_and_b32_e32 v29, 6, v1
	v_sub_u32_e32 v5, v31, v30
	v_or_b32_e32 v39, 8, v37
	v_add_u32_e32 v40, 16, v37
	v_and_b32_e32 v46, 0xe0, v1
	v_cndmask_b32_e32 v25, 0, v6, vcc
	v_min_i32_e32 v26, v20, v4
	v_sub_u32_e32 v4, v30, v28
	v_sub_u32_e32 v6, v29, v5
	v_cmp_ge_i32_e64 s[0:1], v29, v5
	v_and_b32_e32 v38, 14, v1
	v_sub_u32_e32 v5, v40, v39
	v_or_b32_e32 v48, 16, v46
	v_add_u32_e32 v49, 32, v46
	v_and_b32_e32 v55, 0xc0, v1
	v_cndmask_b32_e64 v34, 0, v6, s[0:1]
	v_min_i32_e32 v35, v29, v4
	v_sub_u32_e32 v4, v39, v37
	v_sub_u32_e32 v6, v38, v5
	v_cmp_ge_i32_e64 s[2:3], v38, v5
	v_and_b32_e32 v47, 30, v1
	v_sub_u32_e32 v5, v49, v48
	v_or_b32_e32 v57, 32, v55
	v_add_u32_e32 v58, 64, v55
	v_and_b32_e32 v63, 0x80, v1
	v_cndmask_b32_e64 v43, 0, v6, s[2:3]
	v_min_i32_e32 v44, v38, v4
	v_sub_u32_e32 v4, v48, v46
	v_sub_u32_e32 v6, v47, v5
	v_cmp_ge_i32_e64 s[4:5], v47, v5
	v_and_b32_e32 v56, 62, v1
	v_sub_u32_e32 v5, v58, v57
	v_or_b32_e32 v65, 64, v63
	v_add_u32_e32 v66, 0x80, v63
	v_cndmask_b32_e64 v52, 0, v6, s[4:5]
	v_min_i32_e32 v53, v47, v4
	v_sub_u32_e32 v4, v57, v55
	v_sub_u32_e32 v6, v56, v5
	v_cmp_ge_i32_e64 s[6:7], v56, v5
	v_and_b32_e32 v64, 0x7e, v1
	v_sub_u32_e32 v5, v66, v65
	v_cndmask_b32_e64 v60, 0, v6, s[6:7]
	v_min_i32_e32 v61, v56, v4
	v_mov_b32_e32 v62, 0x80
	v_sub_u32_e32 v4, v65, v63
	v_sub_u32_e32 v6, v64, v5
	v_cmp_ge_i32_e64 s[8:9], v64, v5
	v_min_i32_e32 v68, v64, v4
	v_sub_u32_e64 v69, v1, v62 clamp
	v_cndmask_b32_e64 v67, 0, v6, s[8:9]
	v_min_i32_e32 v70, 0x80, v1
	v_lshlrev_b32_e32 v18, 4, v0
	v_lshlrev_b32_e32 v23, 3, v19
	v_lshlrev_b32_e32 v24, 3, v21
	v_cmp_lt_i32_e32 vcc, v25, v26
	v_add_u32_e32 v27, v21, v20
	v_lshlrev_b32_e32 v32, 3, v28
	v_lshlrev_b32_e32 v33, 3, v30
	v_cmp_lt_i32_e64 s[0:1], v34, v35
	v_add_u32_e32 v36, v30, v29
	v_lshlrev_b32_e32 v41, 3, v37
	v_lshlrev_b32_e32 v42, 3, v39
	v_cmp_lt_i32_e64 s[2:3], v43, v44
	;; [unrolled: 4-line block ×3, first 2 shown]
	v_add_u32_e32 v54, v48, v47
	v_lshlrev_b32_e32 v59, 3, v55
	v_cmp_lt_i32_e64 s[6:7], v60, v61
	v_cmp_lt_i32_e64 s[8:9], v67, v68
	;; [unrolled: 1-line block ×3, first 2 shown]
	s_movk_i32 s20, 0x100
	v_lshlrev_b32_e32 v71, 3, v57
	v_add_u32_e32 v72, v57, v56
	v_lshlrev_b32_e32 v73, 3, v63
	v_lshlrev_b32_e32 v74, 3, v65
	v_add_u32_e32 v75, v65, v64
	v_add_u32_e32 v76, 0x80, v1
	s_waitcnt vmcnt(1)
	v_lshl_add_u64 v[4:5], v[2:3], 0, 1
	s_waitcnt vmcnt(0)
	v_lshl_add_u64 v[6:7], v[8:9], 0, 1
	s_branch .LBB133_2
.LBB133_1:                              ;   in Loop: Header=BB133_2 Depth=1
	s_or_b64 exec, exec, s[14:15]
	v_cmp_ge_i32_e64 s[16:17], v13, v62
	s_waitcnt lgkmcnt(0)
	v_cmp_lt_i64_e64 s[18:19], v[16:17], v[14:15]
	v_cmp_gt_i32_e64 s[14:15], s20, v12
	s_or_b64 s[16:17], s[16:17], s[18:19]
	s_and_b64 s[14:15], s[14:15], s[16:17]
	v_cndmask_b32_e64 v3, v9, v11, s[12:13]
	v_cndmask_b32_e64 v11, v13, v12, s[14:15]
	s_barrier
	ds_write2_b64 v18, v[4:5], v[6:7] offset1:1
	v_lshlrev_b32_e32 v2, 3, v2
	v_lshlrev_b32_e32 v6, 3, v11
	s_waitcnt lgkmcnt(0)
	s_barrier
	ds_read_b64 v[4:5], v2
	ds_read_b64 v[6:7], v6
	s_add_i32 s27, s27, 1
	v_cndmask_b32_e64 v9, v15, v17, s[14:15]
	v_cndmask_b32_e64 v2, v8, v10, s[12:13]
	s_cmp_eq_u32 s27, 10
	v_cndmask_b32_e64 v8, v14, v16, s[14:15]
	s_cbranch_scc1 .LBB133_58
.LBB133_2:                              ; =>This Loop Header: Depth=1
                                        ;     Child Loop BB133_4 Depth 2
                                        ;     Child Loop BB133_12 Depth 2
	;; [unrolled: 1-line block ×7, first 2 shown]
	v_cmp_lt_i64_e64 s[12:13], v[8:9], v[2:3]
	s_barrier
	s_nop 0
	v_cndmask_b32_e64 v11, v9, v3, s[12:13]
	v_cndmask_b32_e64 v10, v8, v2, s[12:13]
	;; [unrolled: 1-line block ×4, first 2 shown]
	ds_write2_b64 v18, v[2:3], v[10:11] offset1:1
	v_mov_b32_e32 v2, v25
	s_waitcnt lgkmcnt(0)
	s_barrier
	s_and_saveexec_b64 s[16:17], vcc
	s_cbranch_execz .LBB133_6
; %bb.3:                                ;   in Loop: Header=BB133_2 Depth=1
	s_mov_b64 s[18:19], 0
	v_mov_b32_e32 v2, v25
	v_mov_b32_e32 v3, v26
.LBB133_4:                              ;   Parent Loop BB133_2 Depth=1
                                        ; =>  This Inner Loop Header: Depth=2
	v_sub_u32_e32 v8, v3, v2
	v_lshrrev_b32_e32 v9, 31, v8
	v_add_u32_e32 v8, v8, v9
	v_ashrrev_i32_e32 v8, 1, v8
	v_add_u32_e32 v12, v8, v2
	v_xad_u32 v9, v12, -1, v20
	v_lshl_add_u32 v8, v12, 3, v23
	v_lshl_add_u32 v10, v9, 3, v24
	ds_read_b64 v[8:9], v8
	ds_read_b64 v[10:11], v10
	v_add_u32_e32 v13, 1, v12
	s_waitcnt lgkmcnt(0)
	v_cmp_lt_i64_e64 s[14:15], v[10:11], v[8:9]
	s_nop 1
	v_cndmask_b32_e64 v3, v3, v12, s[14:15]
	v_cndmask_b32_e64 v2, v13, v2, s[14:15]
	v_cmp_ge_i32_e64 s[14:15], v2, v3
	s_or_b64 s[18:19], s[14:15], s[18:19]
	s_andn2_b64 exec, exec, s[18:19]
	s_cbranch_execnz .LBB133_4
; %bb.5:                                ;   in Loop: Header=BB133_2 Depth=1
	s_or_b64 exec, exec, s[18:19]
.LBB133_6:                              ;   in Loop: Header=BB133_2 Depth=1
	s_or_b64 exec, exec, s[16:17]
	v_sub_u32_e32 v14, v27, v2
	v_lshl_add_u32 v12, v2, 3, v23
	v_lshlrev_b32_e32 v16, 3, v14
	ds_read_b64 v[8:9], v12
	ds_read_b64 v[10:11], v16
	v_add_u32_e32 v15, v2, v19
	v_cmp_le_i32_e64 s[16:17], v21, v15
	v_cmp_gt_i32_e64 s[14:15], v22, v14
                                        ; implicit-def: $vgpr2_vgpr3
	s_waitcnt lgkmcnt(0)
	v_cmp_lt_i64_e64 s[18:19], v[10:11], v[8:9]
	s_or_b64 s[16:17], s[16:17], s[18:19]
	s_and_b64 s[14:15], s[14:15], s[16:17]
	s_xor_b64 s[16:17], s[14:15], -1
	s_and_saveexec_b64 s[18:19], s[16:17]
	s_xor_b64 s[16:17], exec, s[18:19]
	s_cbranch_execz .LBB133_8
; %bb.7:                                ;   in Loop: Header=BB133_2 Depth=1
	ds_read_b64 v[2:3], v12 offset:8
                                        ; implicit-def: $vgpr16
.LBB133_8:                              ;   in Loop: Header=BB133_2 Depth=1
	s_or_saveexec_b64 s[16:17], s[16:17]
	v_mov_b64_e32 v[12:13], v[10:11]
	s_xor_b64 exec, exec, s[16:17]
	s_cbranch_execz .LBB133_10
; %bb.9:                                ;   in Loop: Header=BB133_2 Depth=1
	ds_read_b64 v[12:13], v16 offset:8
	s_waitcnt lgkmcnt(1)
	v_mov_b64_e32 v[2:3], v[8:9]
.LBB133_10:                             ;   in Loop: Header=BB133_2 Depth=1
	s_or_b64 exec, exec, s[16:17]
	v_cndmask_b32_e64 v9, v9, v11, s[14:15]
	v_add_u32_e32 v11, 1, v15
	v_cndmask_b32_e64 v8, v8, v10, s[14:15]
	v_add_u32_e32 v10, 1, v14
	v_cndmask_b32_e64 v17, v11, v15, s[14:15]
	v_cndmask_b32_e64 v16, v14, v10, s[14:15]
	;; [unrolled: 1-line block ×3, first 2 shown]
	v_cmp_ge_i32_e64 s[14:15], v17, v21
	s_waitcnt lgkmcnt(0)
	v_cmp_lt_i64_e64 s[16:17], v[12:13], v[2:3]
	v_cndmask_b32_e64 v11, v7, v5, s[12:13]
	v_cndmask_b32_e64 v10, v6, v4, s[12:13]
	;; [unrolled: 1-line block ×4, first 2 shown]
	v_cmp_lt_i32_e64 s[12:13], v16, v22
	s_or_b64 s[14:15], s[14:15], s[16:17]
	s_and_b64 s[12:13], s[12:13], s[14:15]
	v_cndmask_b32_e64 v6, v2, v12, s[12:13]
	v_cndmask_b32_e64 v2, v17, v16, s[12:13]
	;; [unrolled: 1-line block ×3, first 2 shown]
	s_barrier
	ds_write2_b64 v18, v[4:5], v[10:11] offset1:1
	v_lshlrev_b32_e32 v3, 3, v14
	v_lshlrev_b32_e32 v4, 3, v2
	s_waitcnt lgkmcnt(0)
	s_barrier
	ds_read_b64 v[2:3], v3
	ds_read_b64 v[4:5], v4
	v_mov_b32_e32 v10, v34
	s_waitcnt lgkmcnt(0)
	s_barrier
	ds_write2_b64 v18, v[8:9], v[6:7] offset1:1
	s_waitcnt lgkmcnt(0)
	s_barrier
	s_and_saveexec_b64 s[14:15], s[0:1]
	s_cbranch_execz .LBB133_14
; %bb.11:                               ;   in Loop: Header=BB133_2 Depth=1
	s_mov_b64 s[16:17], 0
	v_mov_b32_e32 v10, v34
	v_mov_b32_e32 v6, v35
.LBB133_12:                             ;   Parent Loop BB133_2 Depth=1
                                        ; =>  This Inner Loop Header: Depth=2
	v_sub_u32_e32 v7, v6, v10
	v_lshrrev_b32_e32 v8, 31, v7
	v_add_u32_e32 v7, v7, v8
	v_ashrrev_i32_e32 v7, 1, v7
	v_add_u32_e32 v7, v7, v10
	v_lshl_add_u32 v8, v7, 3, v32
	v_xad_u32 v9, v7, -1, v29
	v_lshl_add_u32 v11, v9, 3, v33
	ds_read_b64 v[8:9], v8
	ds_read_b64 v[12:13], v11
	v_add_u32_e32 v11, 1, v7
	s_waitcnt lgkmcnt(0)
	v_cmp_lt_i64_e64 s[12:13], v[12:13], v[8:9]
	s_nop 1
	v_cndmask_b32_e64 v6, v6, v7, s[12:13]
	v_cndmask_b32_e64 v10, v11, v10, s[12:13]
	v_cmp_ge_i32_e64 s[12:13], v10, v6
	s_or_b64 s[16:17], s[12:13], s[16:17]
	s_andn2_b64 exec, exec, s[16:17]
	s_cbranch_execnz .LBB133_12
; %bb.13:                               ;   in Loop: Header=BB133_2 Depth=1
	s_or_b64 exec, exec, s[16:17]
.LBB133_14:                             ;   in Loop: Header=BB133_2 Depth=1
	s_or_b64 exec, exec, s[14:15]
	v_sub_u32_e32 v14, v36, v10
	v_lshl_add_u32 v12, v10, 3, v32
	v_lshlrev_b32_e32 v16, 3, v14
	ds_read_b64 v[6:7], v12
	ds_read_b64 v[8:9], v16
	v_add_u32_e32 v15, v10, v28
	v_cmp_le_i32_e64 s[14:15], v30, v15
	v_cmp_gt_i32_e64 s[12:13], v31, v14
                                        ; implicit-def: $vgpr10_vgpr11
	s_waitcnt lgkmcnt(0)
	v_cmp_lt_i64_e64 s[16:17], v[8:9], v[6:7]
	s_or_b64 s[14:15], s[14:15], s[16:17]
	s_and_b64 s[12:13], s[12:13], s[14:15]
	s_xor_b64 s[14:15], s[12:13], -1
	s_and_saveexec_b64 s[16:17], s[14:15]
	s_xor_b64 s[14:15], exec, s[16:17]
	s_cbranch_execz .LBB133_16
; %bb.15:                               ;   in Loop: Header=BB133_2 Depth=1
	ds_read_b64 v[10:11], v12 offset:8
                                        ; implicit-def: $vgpr16
.LBB133_16:                             ;   in Loop: Header=BB133_2 Depth=1
	s_or_saveexec_b64 s[14:15], s[14:15]
	v_mov_b64_e32 v[12:13], v[8:9]
	s_xor_b64 exec, exec, s[14:15]
	s_cbranch_execz .LBB133_18
; %bb.17:                               ;   in Loop: Header=BB133_2 Depth=1
	ds_read_b64 v[12:13], v16 offset:8
	s_waitcnt lgkmcnt(1)
	v_mov_b64_e32 v[10:11], v[6:7]
.LBB133_18:                             ;   in Loop: Header=BB133_2 Depth=1
	s_or_b64 exec, exec, s[14:15]
	v_cndmask_b32_e64 v7, v7, v9, s[12:13]
	v_add_u32_e32 v9, 1, v15
	v_cndmask_b32_e64 v6, v6, v8, s[12:13]
	v_add_u32_e32 v8, 1, v14
	v_cndmask_b32_e64 v17, v9, v15, s[12:13]
	v_cndmask_b32_e64 v16, v14, v8, s[12:13]
	v_cmp_ge_i32_e64 s[14:15], v17, v30
	s_waitcnt lgkmcnt(0)
	v_cmp_lt_i64_e64 s[16:17], v[12:13], v[10:11]
	v_cndmask_b32_e64 v14, v15, v14, s[12:13]
	v_cmp_lt_i32_e64 s[12:13], v16, v31
	s_or_b64 s[14:15], s[14:15], s[16:17]
	s_and_b64 s[12:13], s[12:13], s[14:15]
	v_cndmask_b32_e64 v8, v10, v12, s[12:13]
	v_cndmask_b32_e64 v10, v17, v16, s[12:13]
	s_barrier
	ds_write2_b64 v18, v[2:3], v[4:5] offset1:1
	v_lshlrev_b32_e32 v2, 3, v14
	v_lshlrev_b32_e32 v4, 3, v10
	s_waitcnt lgkmcnt(0)
	s_barrier
	ds_read_b64 v[2:3], v2
	ds_read_b64 v[4:5], v4
	v_cndmask_b32_e64 v9, v11, v13, s[12:13]
	v_mov_b32_e32 v10, v43
	s_waitcnt lgkmcnt(0)
	s_barrier
	ds_write2_b64 v18, v[6:7], v[8:9] offset1:1
	s_waitcnt lgkmcnt(0)
	s_barrier
	s_and_saveexec_b64 s[14:15], s[2:3]
	s_cbranch_execz .LBB133_22
; %bb.19:                               ;   in Loop: Header=BB133_2 Depth=1
	s_mov_b64 s[16:17], 0
	v_mov_b32_e32 v10, v43
	v_mov_b32_e32 v6, v44
.LBB133_20:                             ;   Parent Loop BB133_2 Depth=1
                                        ; =>  This Inner Loop Header: Depth=2
	v_sub_u32_e32 v7, v6, v10
	v_lshrrev_b32_e32 v8, 31, v7
	v_add_u32_e32 v7, v7, v8
	v_ashrrev_i32_e32 v7, 1, v7
	v_add_u32_e32 v7, v7, v10
	v_lshl_add_u32 v8, v7, 3, v41
	v_xad_u32 v9, v7, -1, v38
	v_lshl_add_u32 v11, v9, 3, v42
	ds_read_b64 v[8:9], v8
	ds_read_b64 v[12:13], v11
	v_add_u32_e32 v11, 1, v7
	s_waitcnt lgkmcnt(0)
	v_cmp_lt_i64_e64 s[12:13], v[12:13], v[8:9]
	s_nop 1
	v_cndmask_b32_e64 v6, v6, v7, s[12:13]
	v_cndmask_b32_e64 v10, v11, v10, s[12:13]
	v_cmp_ge_i32_e64 s[12:13], v10, v6
	s_or_b64 s[16:17], s[12:13], s[16:17]
	s_andn2_b64 exec, exec, s[16:17]
	s_cbranch_execnz .LBB133_20
; %bb.21:                               ;   in Loop: Header=BB133_2 Depth=1
	s_or_b64 exec, exec, s[16:17]
.LBB133_22:                             ;   in Loop: Header=BB133_2 Depth=1
	s_or_b64 exec, exec, s[14:15]
	v_sub_u32_e32 v14, v45, v10
	v_lshl_add_u32 v12, v10, 3, v41
	v_lshlrev_b32_e32 v16, 3, v14
	ds_read_b64 v[6:7], v12
	ds_read_b64 v[8:9], v16
	v_add_u32_e32 v15, v10, v37
	v_cmp_le_i32_e64 s[14:15], v39, v15
	v_cmp_gt_i32_e64 s[12:13], v40, v14
                                        ; implicit-def: $vgpr10_vgpr11
	s_waitcnt lgkmcnt(0)
	v_cmp_lt_i64_e64 s[16:17], v[8:9], v[6:7]
	s_or_b64 s[14:15], s[14:15], s[16:17]
	s_and_b64 s[12:13], s[12:13], s[14:15]
	s_xor_b64 s[14:15], s[12:13], -1
	s_and_saveexec_b64 s[16:17], s[14:15]
	s_xor_b64 s[14:15], exec, s[16:17]
	s_cbranch_execz .LBB133_24
; %bb.23:                               ;   in Loop: Header=BB133_2 Depth=1
	ds_read_b64 v[10:11], v12 offset:8
                                        ; implicit-def: $vgpr16
.LBB133_24:                             ;   in Loop: Header=BB133_2 Depth=1
	s_or_saveexec_b64 s[14:15], s[14:15]
	v_mov_b64_e32 v[12:13], v[8:9]
	s_xor_b64 exec, exec, s[14:15]
	s_cbranch_execz .LBB133_26
; %bb.25:                               ;   in Loop: Header=BB133_2 Depth=1
	ds_read_b64 v[12:13], v16 offset:8
	s_waitcnt lgkmcnt(1)
	v_mov_b64_e32 v[10:11], v[6:7]
.LBB133_26:                             ;   in Loop: Header=BB133_2 Depth=1
	s_or_b64 exec, exec, s[14:15]
	v_cndmask_b32_e64 v7, v7, v9, s[12:13]
	v_add_u32_e32 v9, 1, v15
	v_cndmask_b32_e64 v6, v6, v8, s[12:13]
	v_add_u32_e32 v8, 1, v14
	v_cndmask_b32_e64 v17, v9, v15, s[12:13]
	v_cndmask_b32_e64 v16, v14, v8, s[12:13]
	v_cmp_ge_i32_e64 s[14:15], v17, v39
	s_waitcnt lgkmcnt(0)
	v_cmp_lt_i64_e64 s[16:17], v[12:13], v[10:11]
	v_cndmask_b32_e64 v14, v15, v14, s[12:13]
	v_cmp_lt_i32_e64 s[12:13], v16, v40
	s_or_b64 s[14:15], s[14:15], s[16:17]
	s_and_b64 s[12:13], s[12:13], s[14:15]
	v_cndmask_b32_e64 v8, v10, v12, s[12:13]
	v_cndmask_b32_e64 v10, v17, v16, s[12:13]
	s_barrier
	ds_write2_b64 v18, v[2:3], v[4:5] offset1:1
	v_lshlrev_b32_e32 v2, 3, v14
	v_lshlrev_b32_e32 v4, 3, v10
	s_waitcnt lgkmcnt(0)
	s_barrier
	ds_read_b64 v[2:3], v2
	ds_read_b64 v[4:5], v4
	v_cndmask_b32_e64 v9, v11, v13, s[12:13]
	v_mov_b32_e32 v10, v52
	s_waitcnt lgkmcnt(0)
	s_barrier
	ds_write2_b64 v18, v[6:7], v[8:9] offset1:1
	s_waitcnt lgkmcnt(0)
	s_barrier
	s_and_saveexec_b64 s[14:15], s[4:5]
	s_cbranch_execz .LBB133_30
; %bb.27:                               ;   in Loop: Header=BB133_2 Depth=1
	s_mov_b64 s[16:17], 0
	v_mov_b32_e32 v10, v52
	v_mov_b32_e32 v6, v53
.LBB133_28:                             ;   Parent Loop BB133_2 Depth=1
                                        ; =>  This Inner Loop Header: Depth=2
	v_sub_u32_e32 v7, v6, v10
	v_lshrrev_b32_e32 v8, 31, v7
	v_add_u32_e32 v7, v7, v8
	v_ashrrev_i32_e32 v7, 1, v7
	v_add_u32_e32 v7, v7, v10
	v_lshl_add_u32 v8, v7, 3, v50
	v_xad_u32 v9, v7, -1, v47
	v_lshl_add_u32 v11, v9, 3, v51
	ds_read_b64 v[8:9], v8
	ds_read_b64 v[12:13], v11
	v_add_u32_e32 v11, 1, v7
	s_waitcnt lgkmcnt(0)
	v_cmp_lt_i64_e64 s[12:13], v[12:13], v[8:9]
	s_nop 1
	v_cndmask_b32_e64 v6, v6, v7, s[12:13]
	v_cndmask_b32_e64 v10, v11, v10, s[12:13]
	v_cmp_ge_i32_e64 s[12:13], v10, v6
	s_or_b64 s[16:17], s[12:13], s[16:17]
	s_andn2_b64 exec, exec, s[16:17]
	s_cbranch_execnz .LBB133_28
; %bb.29:                               ;   in Loop: Header=BB133_2 Depth=1
	s_or_b64 exec, exec, s[16:17]
.LBB133_30:                             ;   in Loop: Header=BB133_2 Depth=1
	s_or_b64 exec, exec, s[14:15]
	v_sub_u32_e32 v14, v54, v10
	v_lshl_add_u32 v12, v10, 3, v50
	v_lshlrev_b32_e32 v16, 3, v14
	ds_read_b64 v[6:7], v12
	ds_read_b64 v[8:9], v16
	v_add_u32_e32 v15, v10, v46
	v_cmp_le_i32_e64 s[14:15], v48, v15
	v_cmp_gt_i32_e64 s[12:13], v49, v14
                                        ; implicit-def: $vgpr10_vgpr11
	s_waitcnt lgkmcnt(0)
	v_cmp_lt_i64_e64 s[16:17], v[8:9], v[6:7]
	s_or_b64 s[14:15], s[14:15], s[16:17]
	s_and_b64 s[12:13], s[12:13], s[14:15]
	s_xor_b64 s[14:15], s[12:13], -1
	s_and_saveexec_b64 s[16:17], s[14:15]
	s_xor_b64 s[14:15], exec, s[16:17]
	s_cbranch_execz .LBB133_32
; %bb.31:                               ;   in Loop: Header=BB133_2 Depth=1
	ds_read_b64 v[10:11], v12 offset:8
                                        ; implicit-def: $vgpr16
.LBB133_32:                             ;   in Loop: Header=BB133_2 Depth=1
	s_or_saveexec_b64 s[14:15], s[14:15]
	v_mov_b64_e32 v[12:13], v[8:9]
	s_xor_b64 exec, exec, s[14:15]
	s_cbranch_execz .LBB133_34
; %bb.33:                               ;   in Loop: Header=BB133_2 Depth=1
	ds_read_b64 v[12:13], v16 offset:8
	s_waitcnt lgkmcnt(1)
	v_mov_b64_e32 v[10:11], v[6:7]
.LBB133_34:                             ;   in Loop: Header=BB133_2 Depth=1
	s_or_b64 exec, exec, s[14:15]
	v_cndmask_b32_e64 v7, v7, v9, s[12:13]
	v_add_u32_e32 v9, 1, v15
	v_cndmask_b32_e64 v6, v6, v8, s[12:13]
	v_add_u32_e32 v8, 1, v14
	v_cndmask_b32_e64 v17, v9, v15, s[12:13]
	v_cndmask_b32_e64 v16, v14, v8, s[12:13]
	v_cmp_ge_i32_e64 s[14:15], v17, v48
	s_waitcnt lgkmcnt(0)
	v_cmp_lt_i64_e64 s[16:17], v[12:13], v[10:11]
	v_cndmask_b32_e64 v14, v15, v14, s[12:13]
	v_cmp_lt_i32_e64 s[12:13], v16, v49
	s_or_b64 s[14:15], s[14:15], s[16:17]
	s_and_b64 s[12:13], s[12:13], s[14:15]
	v_cndmask_b32_e64 v8, v10, v12, s[12:13]
	v_cndmask_b32_e64 v10, v17, v16, s[12:13]
	s_barrier
	ds_write2_b64 v18, v[2:3], v[4:5] offset1:1
	v_lshlrev_b32_e32 v2, 3, v14
	v_lshlrev_b32_e32 v4, 3, v10
	s_waitcnt lgkmcnt(0)
	s_barrier
	ds_read_b64 v[2:3], v2
	ds_read_b64 v[4:5], v4
	v_cndmask_b32_e64 v9, v11, v13, s[12:13]
	v_mov_b32_e32 v10, v60
	s_waitcnt lgkmcnt(0)
	s_barrier
	ds_write2_b64 v18, v[6:7], v[8:9] offset1:1
	s_waitcnt lgkmcnt(0)
	s_barrier
	s_and_saveexec_b64 s[14:15], s[6:7]
	s_cbranch_execz .LBB133_38
; %bb.35:                               ;   in Loop: Header=BB133_2 Depth=1
	s_mov_b64 s[16:17], 0
	v_mov_b32_e32 v10, v60
	v_mov_b32_e32 v6, v61
.LBB133_36:                             ;   Parent Loop BB133_2 Depth=1
                                        ; =>  This Inner Loop Header: Depth=2
	v_sub_u32_e32 v7, v6, v10
	v_lshrrev_b32_e32 v8, 31, v7
	v_add_u32_e32 v7, v7, v8
	v_ashrrev_i32_e32 v7, 1, v7
	v_add_u32_e32 v7, v7, v10
	v_lshl_add_u32 v8, v7, 3, v59
	v_xad_u32 v9, v7, -1, v56
	v_lshl_add_u32 v11, v9, 3, v71
	ds_read_b64 v[8:9], v8
	ds_read_b64 v[12:13], v11
	v_add_u32_e32 v11, 1, v7
	s_waitcnt lgkmcnt(0)
	v_cmp_lt_i64_e64 s[12:13], v[12:13], v[8:9]
	s_nop 1
	v_cndmask_b32_e64 v6, v6, v7, s[12:13]
	v_cndmask_b32_e64 v10, v11, v10, s[12:13]
	v_cmp_ge_i32_e64 s[12:13], v10, v6
	s_or_b64 s[16:17], s[12:13], s[16:17]
	s_andn2_b64 exec, exec, s[16:17]
	s_cbranch_execnz .LBB133_36
; %bb.37:                               ;   in Loop: Header=BB133_2 Depth=1
	s_or_b64 exec, exec, s[16:17]
.LBB133_38:                             ;   in Loop: Header=BB133_2 Depth=1
	s_or_b64 exec, exec, s[14:15]
	v_sub_u32_e32 v14, v72, v10
	v_lshl_add_u32 v12, v10, 3, v59
	v_lshlrev_b32_e32 v16, 3, v14
	ds_read_b64 v[6:7], v12
	ds_read_b64 v[8:9], v16
	v_add_u32_e32 v15, v10, v55
	v_cmp_le_i32_e64 s[14:15], v57, v15
	v_cmp_gt_i32_e64 s[12:13], v58, v14
                                        ; implicit-def: $vgpr10_vgpr11
	s_waitcnt lgkmcnt(0)
	v_cmp_lt_i64_e64 s[16:17], v[8:9], v[6:7]
	s_or_b64 s[14:15], s[14:15], s[16:17]
	s_and_b64 s[12:13], s[12:13], s[14:15]
	s_xor_b64 s[14:15], s[12:13], -1
	s_and_saveexec_b64 s[16:17], s[14:15]
	s_xor_b64 s[14:15], exec, s[16:17]
	s_cbranch_execz .LBB133_40
; %bb.39:                               ;   in Loop: Header=BB133_2 Depth=1
	ds_read_b64 v[10:11], v12 offset:8
                                        ; implicit-def: $vgpr16
.LBB133_40:                             ;   in Loop: Header=BB133_2 Depth=1
	s_or_saveexec_b64 s[14:15], s[14:15]
	v_mov_b64_e32 v[12:13], v[8:9]
	s_xor_b64 exec, exec, s[14:15]
	s_cbranch_execz .LBB133_42
; %bb.41:                               ;   in Loop: Header=BB133_2 Depth=1
	ds_read_b64 v[12:13], v16 offset:8
	s_waitcnt lgkmcnt(1)
	v_mov_b64_e32 v[10:11], v[6:7]
.LBB133_42:                             ;   in Loop: Header=BB133_2 Depth=1
	s_or_b64 exec, exec, s[14:15]
	v_cndmask_b32_e64 v7, v7, v9, s[12:13]
	v_add_u32_e32 v9, 1, v15
	v_cndmask_b32_e64 v6, v6, v8, s[12:13]
	v_add_u32_e32 v8, 1, v14
	v_cndmask_b32_e64 v17, v9, v15, s[12:13]
	v_cndmask_b32_e64 v16, v14, v8, s[12:13]
	v_cmp_ge_i32_e64 s[14:15], v17, v57
	s_waitcnt lgkmcnt(0)
	v_cmp_lt_i64_e64 s[16:17], v[12:13], v[10:11]
	v_cndmask_b32_e64 v14, v15, v14, s[12:13]
	v_cmp_lt_i32_e64 s[12:13], v16, v58
	s_or_b64 s[14:15], s[14:15], s[16:17]
	s_and_b64 s[12:13], s[12:13], s[14:15]
	v_cndmask_b32_e64 v8, v10, v12, s[12:13]
	v_cndmask_b32_e64 v10, v17, v16, s[12:13]
	s_barrier
	ds_write2_b64 v18, v[2:3], v[4:5] offset1:1
	v_lshlrev_b32_e32 v2, 3, v14
	v_lshlrev_b32_e32 v4, 3, v10
	s_waitcnt lgkmcnt(0)
	s_barrier
	ds_read_b64 v[2:3], v2
	ds_read_b64 v[4:5], v4
	v_cndmask_b32_e64 v9, v11, v13, s[12:13]
	v_mov_b32_e32 v10, v67
	s_waitcnt lgkmcnt(0)
	s_barrier
	ds_write2_b64 v18, v[6:7], v[8:9] offset1:1
	s_waitcnt lgkmcnt(0)
	s_barrier
	s_and_saveexec_b64 s[14:15], s[8:9]
	s_cbranch_execz .LBB133_46
; %bb.43:                               ;   in Loop: Header=BB133_2 Depth=1
	s_mov_b64 s[16:17], 0
	v_mov_b32_e32 v10, v67
	v_mov_b32_e32 v6, v68
.LBB133_44:                             ;   Parent Loop BB133_2 Depth=1
                                        ; =>  This Inner Loop Header: Depth=2
	v_sub_u32_e32 v7, v6, v10
	v_lshrrev_b32_e32 v8, 31, v7
	v_add_u32_e32 v7, v7, v8
	v_ashrrev_i32_e32 v7, 1, v7
	v_add_u32_e32 v7, v7, v10
	v_lshl_add_u32 v8, v7, 3, v73
	v_xad_u32 v9, v7, -1, v64
	v_lshl_add_u32 v11, v9, 3, v74
	ds_read_b64 v[8:9], v8
	ds_read_b64 v[12:13], v11
	v_add_u32_e32 v11, 1, v7
	s_waitcnt lgkmcnt(0)
	v_cmp_lt_i64_e64 s[12:13], v[12:13], v[8:9]
	s_nop 1
	v_cndmask_b32_e64 v6, v6, v7, s[12:13]
	v_cndmask_b32_e64 v10, v11, v10, s[12:13]
	v_cmp_ge_i32_e64 s[12:13], v10, v6
	s_or_b64 s[16:17], s[12:13], s[16:17]
	s_andn2_b64 exec, exec, s[16:17]
	s_cbranch_execnz .LBB133_44
; %bb.45:                               ;   in Loop: Header=BB133_2 Depth=1
	s_or_b64 exec, exec, s[16:17]
.LBB133_46:                             ;   in Loop: Header=BB133_2 Depth=1
	s_or_b64 exec, exec, s[14:15]
	v_sub_u32_e32 v14, v75, v10
	v_lshl_add_u32 v12, v10, 3, v73
	v_lshlrev_b32_e32 v16, 3, v14
	ds_read_b64 v[6:7], v12
	ds_read_b64 v[8:9], v16
	v_add_u32_e32 v15, v10, v63
	v_cmp_le_i32_e64 s[14:15], v65, v15
	v_cmp_gt_i32_e64 s[12:13], v66, v14
                                        ; implicit-def: $vgpr10_vgpr11
	s_waitcnt lgkmcnt(0)
	v_cmp_lt_i64_e64 s[16:17], v[8:9], v[6:7]
	s_or_b64 s[14:15], s[14:15], s[16:17]
	s_and_b64 s[12:13], s[12:13], s[14:15]
	s_xor_b64 s[14:15], s[12:13], -1
	s_and_saveexec_b64 s[16:17], s[14:15]
	s_xor_b64 s[14:15], exec, s[16:17]
	s_cbranch_execz .LBB133_48
; %bb.47:                               ;   in Loop: Header=BB133_2 Depth=1
	ds_read_b64 v[10:11], v12 offset:8
                                        ; implicit-def: $vgpr16
.LBB133_48:                             ;   in Loop: Header=BB133_2 Depth=1
	s_or_saveexec_b64 s[14:15], s[14:15]
	v_mov_b64_e32 v[12:13], v[8:9]
	s_xor_b64 exec, exec, s[14:15]
	s_cbranch_execz .LBB133_50
; %bb.49:                               ;   in Loop: Header=BB133_2 Depth=1
	ds_read_b64 v[12:13], v16 offset:8
	s_waitcnt lgkmcnt(1)
	v_mov_b64_e32 v[10:11], v[6:7]
.LBB133_50:                             ;   in Loop: Header=BB133_2 Depth=1
	s_or_b64 exec, exec, s[14:15]
	v_cndmask_b32_e64 v9, v7, v9, s[12:13]
	v_add_u32_e32 v7, 1, v15
	v_cndmask_b32_e64 v8, v6, v8, s[12:13]
	v_add_u32_e32 v6, 1, v14
	v_cndmask_b32_e64 v7, v7, v15, s[12:13]
	v_cndmask_b32_e64 v6, v14, v6, s[12:13]
	v_cmp_ge_i32_e64 s[14:15], v7, v65
	s_waitcnt lgkmcnt(0)
	v_cmp_lt_i64_e64 s[16:17], v[12:13], v[10:11]
	v_cndmask_b32_e64 v14, v15, v14, s[12:13]
	v_cmp_lt_i32_e64 s[12:13], v6, v66
	s_or_b64 s[14:15], s[14:15], s[16:17]
	s_and_b64 s[12:13], s[12:13], s[14:15]
	v_cndmask_b32_e64 v6, v7, v6, s[12:13]
	s_barrier
	ds_write2_b64 v18, v[2:3], v[4:5] offset1:1
	v_lshlrev_b32_e32 v2, 3, v14
	s_waitcnt lgkmcnt(0)
	s_barrier
	v_lshlrev_b32_e32 v3, 3, v6
	ds_read_b64 v[4:5], v2
	ds_read_b64 v[6:7], v3
	v_cndmask_b32_e64 v11, v11, v13, s[12:13]
	v_cndmask_b32_e64 v10, v10, v12, s[12:13]
	v_mov_b32_e32 v2, v69
	s_waitcnt lgkmcnt(0)
	s_barrier
	ds_write2_b64 v18, v[8:9], v[10:11] offset1:1
	s_waitcnt lgkmcnt(0)
	s_barrier
	s_and_saveexec_b64 s[14:15], s[10:11]
	s_cbranch_execz .LBB133_54
; %bb.51:                               ;   in Loop: Header=BB133_2 Depth=1
	s_mov_b64 s[16:17], 0
	v_mov_b32_e32 v2, v69
	v_mov_b32_e32 v3, v70
.LBB133_52:                             ;   Parent Loop BB133_2 Depth=1
                                        ; =>  This Inner Loop Header: Depth=2
	v_sub_u32_e32 v8, v3, v2
	v_lshrrev_b32_e32 v9, 31, v8
	v_add_u32_e32 v8, v8, v9
	v_ashrrev_i32_e32 v8, 1, v8
	v_add_u32_e32 v12, v8, v2
	v_xad_u32 v9, v12, -1, v1
	v_mov_b32_e32 v10, 0x400
	v_lshlrev_b32_e32 v8, 3, v12
	v_lshl_add_u32 v10, v9, 3, v10
	ds_read_b64 v[8:9], v8
	ds_read_b64 v[10:11], v10
	v_add_u32_e32 v13, 1, v12
	s_waitcnt lgkmcnt(0)
	v_cmp_lt_i64_e64 s[12:13], v[10:11], v[8:9]
	s_nop 1
	v_cndmask_b32_e64 v3, v3, v12, s[12:13]
	v_cndmask_b32_e64 v2, v13, v2, s[12:13]
	v_cmp_ge_i32_e64 s[12:13], v2, v3
	s_or_b64 s[16:17], s[12:13], s[16:17]
	s_andn2_b64 exec, exec, s[16:17]
	s_cbranch_execnz .LBB133_52
; %bb.53:                               ;   in Loop: Header=BB133_2 Depth=1
	s_or_b64 exec, exec, s[16:17]
.LBB133_54:                             ;   in Loop: Header=BB133_2 Depth=1
	s_or_b64 exec, exec, s[14:15]
	v_sub_u32_e32 v12, v76, v2
	v_lshlrev_b32_e32 v16, 3, v2
	v_lshlrev_b32_e32 v3, 3, v12
	ds_read_b64 v[8:9], v16
	ds_read_b64 v[10:11], v3
	v_cmp_le_i32_e64 s[14:15], v62, v2
	v_cmp_gt_i32_e64 s[12:13], s20, v12
                                        ; implicit-def: $vgpr14_vgpr15
                                        ; implicit-def: $vgpr13
	s_waitcnt lgkmcnt(0)
	v_cmp_lt_i64_e64 s[16:17], v[10:11], v[8:9]
	s_or_b64 s[14:15], s[14:15], s[16:17]
	s_and_b64 s[12:13], s[12:13], s[14:15]
	s_xor_b64 s[14:15], s[12:13], -1
	s_and_saveexec_b64 s[16:17], s[14:15]
	s_xor_b64 s[14:15], exec, s[16:17]
	s_cbranch_execz .LBB133_56
; %bb.55:                               ;   in Loop: Header=BB133_2 Depth=1
	ds_read_b64 v[14:15], v16 offset:8
	v_add_u32_e32 v13, 1, v2
                                        ; implicit-def: $vgpr3
.LBB133_56:                             ;   in Loop: Header=BB133_2 Depth=1
	s_or_saveexec_b64 s[14:15], s[14:15]
	v_mov_b64_e32 v[16:17], v[10:11]
	s_xor_b64 exec, exec, s[14:15]
	s_cbranch_execz .LBB133_1
; %bb.57:                               ;   in Loop: Header=BB133_2 Depth=1
	ds_read_b64 v[16:17], v3 offset:8
	v_mov_b32_e32 v13, v2
	s_waitcnt lgkmcnt(1)
	v_add_u32_e32 v14, 1, v12
	v_mov_b64_e32 v[2:3], v[12:13]
	v_mov_b32_e32 v12, v14
	v_mov_b64_e32 v[14:15], v[8:9]
	s_branch .LBB133_1
.LBB133_58:
	s_add_u32 s0, s22, s24
	s_waitcnt lgkmcnt(1)
	v_lshl_add_u64 v[2:3], v[2:3], 0, v[4:5]
	s_addc_u32 s1, s23, s25
	v_lshlrev_b32_e32 v0, 3, v0
	s_waitcnt lgkmcnt(0)
	v_lshl_add_u64 v[4:5], v[8:9], 0, v[6:7]
	global_store_dwordx2 v0, v[2:3], s[0:1]
	global_store_dwordx2 v0, v[4:5], s[0:1] offset:1024
	s_endpgm
	.section	.rodata,"a",@progbits
	.p2align	6, 0x0
	.amdhsa_kernel _Z17sort_pairs_kernelIxLj128ELj2EN10test_utils4lessELj10EEvPKT_PS2_T2_
		.amdhsa_group_segment_fixed_size 2056
		.amdhsa_private_segment_fixed_size 0
		.amdhsa_kernarg_size 20
		.amdhsa_user_sgpr_count 2
		.amdhsa_user_sgpr_dispatch_ptr 0
		.amdhsa_user_sgpr_queue_ptr 0
		.amdhsa_user_sgpr_kernarg_segment_ptr 1
		.amdhsa_user_sgpr_dispatch_id 0
		.amdhsa_user_sgpr_kernarg_preload_length 0
		.amdhsa_user_sgpr_kernarg_preload_offset 0
		.amdhsa_user_sgpr_private_segment_size 0
		.amdhsa_uses_dynamic_stack 0
		.amdhsa_enable_private_segment 0
		.amdhsa_system_sgpr_workgroup_id_x 1
		.amdhsa_system_sgpr_workgroup_id_y 0
		.amdhsa_system_sgpr_workgroup_id_z 0
		.amdhsa_system_sgpr_workgroup_info 0
		.amdhsa_system_vgpr_workitem_id 0
		.amdhsa_next_free_vgpr 77
		.amdhsa_next_free_sgpr 28
		.amdhsa_accum_offset 80
		.amdhsa_reserve_vcc 1
		.amdhsa_float_round_mode_32 0
		.amdhsa_float_round_mode_16_64 0
		.amdhsa_float_denorm_mode_32 3
		.amdhsa_float_denorm_mode_16_64 3
		.amdhsa_dx10_clamp 1
		.amdhsa_ieee_mode 1
		.amdhsa_fp16_overflow 0
		.amdhsa_tg_split 0
		.amdhsa_exception_fp_ieee_invalid_op 0
		.amdhsa_exception_fp_denorm_src 0
		.amdhsa_exception_fp_ieee_div_zero 0
		.amdhsa_exception_fp_ieee_overflow 0
		.amdhsa_exception_fp_ieee_underflow 0
		.amdhsa_exception_fp_ieee_inexact 0
		.amdhsa_exception_int_div_zero 0
	.end_amdhsa_kernel
	.section	.text._Z17sort_pairs_kernelIxLj128ELj2EN10test_utils4lessELj10EEvPKT_PS2_T2_,"axG",@progbits,_Z17sort_pairs_kernelIxLj128ELj2EN10test_utils4lessELj10EEvPKT_PS2_T2_,comdat
.Lfunc_end133:
	.size	_Z17sort_pairs_kernelIxLj128ELj2EN10test_utils4lessELj10EEvPKT_PS2_T2_, .Lfunc_end133-_Z17sort_pairs_kernelIxLj128ELj2EN10test_utils4lessELj10EEvPKT_PS2_T2_
                                        ; -- End function
	.section	.AMDGPU.csdata,"",@progbits
; Kernel info:
; codeLenInByte = 3880
; NumSgprs: 34
; NumVgprs: 77
; NumAgprs: 0
; TotalNumVgprs: 77
; ScratchSize: 0
; MemoryBound: 0
; FloatMode: 240
; IeeeMode: 1
; LDSByteSize: 2056 bytes/workgroup (compile time only)
; SGPRBlocks: 4
; VGPRBlocks: 9
; NumSGPRsForWavesPerEU: 34
; NumVGPRsForWavesPerEU: 77
; AccumOffset: 80
; Occupancy: 6
; WaveLimiterHint : 1
; COMPUTE_PGM_RSRC2:SCRATCH_EN: 0
; COMPUTE_PGM_RSRC2:USER_SGPR: 2
; COMPUTE_PGM_RSRC2:TRAP_HANDLER: 0
; COMPUTE_PGM_RSRC2:TGID_X_EN: 1
; COMPUTE_PGM_RSRC2:TGID_Y_EN: 0
; COMPUTE_PGM_RSRC2:TGID_Z_EN: 0
; COMPUTE_PGM_RSRC2:TIDIG_COMP_CNT: 0
; COMPUTE_PGM_RSRC3_GFX90A:ACCUM_OFFSET: 19
; COMPUTE_PGM_RSRC3_GFX90A:TG_SPLIT: 0
	.section	.text._Z16sort_keys_kernelIxLj128ELj3EN10test_utils4lessELj10EEvPKT_PS2_T2_,"axG",@progbits,_Z16sort_keys_kernelIxLj128ELj3EN10test_utils4lessELj10EEvPKT_PS2_T2_,comdat
	.protected	_Z16sort_keys_kernelIxLj128ELj3EN10test_utils4lessELj10EEvPKT_PS2_T2_ ; -- Begin function _Z16sort_keys_kernelIxLj128ELj3EN10test_utils4lessELj10EEvPKT_PS2_T2_
	.globl	_Z16sort_keys_kernelIxLj128ELj3EN10test_utils4lessELj10EEvPKT_PS2_T2_
	.p2align	8
	.type	_Z16sort_keys_kernelIxLj128ELj3EN10test_utils4lessELj10EEvPKT_PS2_T2_,@function
_Z16sort_keys_kernelIxLj128ELj3EN10test_utils4lessELj10EEvPKT_PS2_T2_: ; @_Z16sort_keys_kernelIxLj128ELj3EN10test_utils4lessELj10EEvPKT_PS2_T2_
; %bb.0:
	s_load_dwordx4 s[20:23], s[0:1], 0x0
	s_mul_i32 s24, s2, 0x180
	s_mov_b32 s25, 0
	s_lshl_b64 s[26:27], s[24:25], 3
	v_lshlrev_b32_e32 v1, 3, v0
	s_waitcnt lgkmcnt(0)
	s_add_u32 s0, s20, s26
	s_addc_u32 s1, s21, s27
	global_load_dwordx2 v[2:3], v1, s[0:1]
	global_load_dwordx2 v[6:7], v1, s[0:1] offset:1024
	global_load_dwordx2 v[4:5], v1, s[0:1] offset:2048
	v_and_b32_e32 v8, 0x7e, v0
	v_mul_u32_u24_e32 v8, 3, v8
	v_and_b32_e32 v9, 1, v0
	v_cmp_eq_u32_e32 vcc, 1, v9
	v_min_u32_e32 v9, 0x17d, v8
	v_min_u32_e32 v16, 0x180, v8
	v_add_u32_e32 v17, 3, v9
	v_min_u32_e32 v8, 0x17a, v8
	v_cndmask_b32_e64 v15, 0, 3, vcc
	v_add_u32_e32 v18, 6, v8
	v_sub_u32_e32 v8, v17, v16
	v_sub_u32_e32 v10, v18, v17
	v_min_i32_e32 v20, v15, v8
	v_and_b32_e32 v8, 0x7c, v0
	v_sub_u32_e32 v11, v15, v10
	v_cmp_ge_i32_e32 vcc, v15, v10
	v_mul_u32_u24_e32 v8, 3, v8
	v_and_b32_e32 v10, 3, v0
	v_cndmask_b32_e32 v19, 0, v11, vcc
	v_min_u32_e32 v11, 0x17a, v8
	v_min_u32_e32 v22, 0x180, v8
	v_add_u32_e32 v23, 6, v11
	v_min_u32_e32 v8, 0x174, v8
	v_mul_u32_u24_e32 v21, 3, v10
	v_add_u32_e32 v24, 12, v8
	v_sub_u32_e32 v8, v23, v22
	v_min_i32_e32 v26, v21, v8
	v_and_b32_e32 v8, 0x78, v0
	v_sub_u32_e32 v12, v24, v23
	v_mul_u32_u24_e32 v8, 3, v8
	v_sub_u32_e32 v13, v21, v12
	v_cmp_ge_i32_e64 s[0:1], v21, v12
	v_min_u32_e32 v12, 0x174, v8
	v_mad_u32_u24 v27, v10, 3, v23
	v_and_b32_e32 v10, 7, v0
	v_min_u32_e32 v29, 0x180, v8
	v_add_u32_e32 v30, 12, v12
	v_min_u32_e32 v8, 0x168, v8
	v_mul_u32_u24_e32 v28, 3, v10
	v_add_u32_e32 v31, 24, v8
	v_sub_u32_e32 v8, v30, v29
	v_min_i32_e32 v33, v28, v8
	v_and_b32_e32 v8, 0x70, v0
	v_cndmask_b32_e64 v25, 0, v13, s[0:1]
	v_sub_u32_e32 v13, v31, v30
	v_mul_u32_u24_e32 v8, 3, v8
	v_sub_u32_e32 v32, v28, v13
	v_cmp_ge_i32_e64 s[2:3], v28, v13
	v_min_u32_e32 v36, 0x180, v8
	v_min_u32_e32 v13, 0x168, v8
	;; [unrolled: 1-line block ×3, first 2 shown]
	v_mad_u32_u24 v34, v10, 3, v30
	v_and_b32_e32 v10, 15, v0
	v_add_u32_e32 v37, 24, v13
	v_add_u32_e32 v38, 48, v8
	v_mul_u32_u24_e32 v35, 3, v10
	v_sub_u32_e32 v39, v38, v37
	v_sub_u32_e32 v8, v37, v36
	;; [unrolled: 1-line block ×3, first 2 shown]
	v_cmp_ge_i32_e64 s[4:5], v35, v39
	v_mad_u32_u24 v41, v10, 3, v37
	v_and_b32_e32 v10, 31, v0
	v_cndmask_b32_e64 v39, 0, v40, s[4:5]
	v_min_i32_e32 v40, v35, v8
	v_and_b32_e32 v8, 0x60, v0
	v_mul_u32_u24_e32 v8, 3, v8
	v_min_u32_e32 v43, 0x180, v8
	v_min_u32_e32 v59, 0x150, v8
	;; [unrolled: 1-line block ×3, first 2 shown]
	v_add_u32_e32 v44, 48, v59
	v_add_u32_e32 v45, 0x60, v8
	v_mul_u32_u24_e32 v42, 3, v10
	v_sub_u32_e32 v46, v45, v44
	v_sub_u32_e32 v8, v44, v43
	;; [unrolled: 1-line block ×3, first 2 shown]
	v_cmp_ge_i32_e64 s[6:7], v42, v46
	v_mad_u32_u24 v48, v10, 3, v44
	v_and_b32_e32 v10, 63, v0
	v_cndmask_b32_e64 v46, 0, v47, s[6:7]
	v_min_i32_e32 v47, v42, v8
	v_and_b32_e32 v8, 64, v0
	v_mul_u32_u24_e32 v8, 3, v8
	v_min_u32_e32 v50, 0x180, v8
	v_min_u32_e32 v60, 0x120, v8
	;; [unrolled: 1-line block ×3, first 2 shown]
	v_add_u32_e32 v51, 0x60, v60
	v_add_u32_e32 v53, 0xc0, v8
	v_mul_u32_u24_e32 v49, 3, v10
	v_sub_u32_e32 v54, v53, v51
	v_sub_u32_e32 v8, v51, v50
	;; [unrolled: 1-line block ×3, first 2 shown]
	v_cmp_ge_i32_e64 s[8:9], v49, v54
	v_mul_u32_u24_e32 v1, 3, v0
	v_mov_b32_e32 v52, 0xc0
	v_cndmask_b32_e64 v54, 0, v55, s[8:9]
	v_min_i32_e32 v55, v49, v8
	v_mov_b32_e32 v8, 0x60
	v_lshl_add_u32 v58, v12, 3, v8
	v_mov_b32_e32 v8, 0x180
	v_cndmask_b32_e64 v32, 0, v32, s[2:3]
	v_sub_u32_e64 v57, v1, v52 clamp
	v_lshl_add_u32 v59, v59, 3, v8
	v_mov_b32_e32 v8, 0x300
	v_min_i32_e32 v61, 0xc0, v1
	s_movk_i32 s28, 0x180
	v_lshlrev_b32_e32 v14, 3, v1
	v_cmp_lt_i32_e32 vcc, v19, v20
	v_cmp_lt_i32_e64 s[0:1], v25, v26
	v_cmp_lt_i32_e64 s[2:3], v32, v33
	;; [unrolled: 1-line block ×5, first 2 shown]
	v_mad_u32_u24 v56, v10, 3, v51
	v_lshl_add_u32 v60, v60, 3, v8
	v_cmp_lt_i32_e64 s[10:11], v57, v61
	v_lshl_add_u32 v62, v9, 3, 24
	v_lshl_add_u32 v63, v11, 3, 48
	;; [unrolled: 1-line block ×3, first 2 shown]
	v_lshlrev_b32_e32 v65, 3, v16
	v_add_u32_e32 v66, v17, v15
	v_lshlrev_b32_e32 v67, 3, v22
	v_lshlrev_b32_e32 v68, 3, v29
	;; [unrolled: 1-line block ×5, first 2 shown]
	v_mad_u32_u24 v72, v0, 3, v52
	s_branch .LBB134_2
.LBB134_1:                              ;   in Loop: Header=BB134_2 Depth=1
	s_or_b64 exec, exec, s[16:17]
	v_cndmask_b32_e64 v7, v7, v9, s[14:15]
	v_cndmask_b32_e64 v6, v6, v8, s[14:15]
	v_cmp_ge_i32_e64 s[14:15], v74, v52
	s_waitcnt lgkmcnt(0)
	v_cmp_lt_i64_e64 s[16:17], v[12:13], v[10:11]
	v_cndmask_b32_e64 v3, v3, v5, s[12:13]
	v_cndmask_b32_e64 v2, v2, v4, s[12:13]
	v_cmp_gt_i32_e64 s[12:13], s28, v73
	s_or_b64 s[14:15], s[14:15], s[16:17]
	s_and_b64 s[12:13], s[12:13], s[14:15]
	s_add_i32 s25, s25, 1
	v_cndmask_b32_e64 v5, v11, v13, s[12:13]
	s_cmp_eq_u32 s25, 10
	v_cndmask_b32_e64 v4, v10, v12, s[12:13]
	s_cbranch_scc1 .LBB134_86
.LBB134_2:                              ; =>This Loop Header: Depth=1
                                        ;     Child Loop BB134_4 Depth 2
                                        ;     Child Loop BB134_16 Depth 2
	;; [unrolled: 1-line block ×7, first 2 shown]
	s_waitcnt vmcnt(1)
	v_cmp_lt_i64_e64 s[12:13], v[6:7], v[2:3]
	s_barrier
	s_nop 0
	v_cndmask_b32_e64 v9, v3, v7, s[12:13]
	v_cndmask_b32_e64 v8, v2, v6, s[12:13]
	;; [unrolled: 1-line block ×4, first 2 shown]
	v_cmp_gt_i64_e64 s[12:13], v[6:7], v[2:3]
	s_nop 1
	v_cndmask_b32_e64 v3, v3, v7, s[12:13]
	v_cndmask_b32_e64 v2, v2, v6, s[12:13]
	s_waitcnt vmcnt(0)
	v_cmp_lt_i64_e64 s[12:13], v[4:5], v[2:3]
	s_nop 1
	v_cndmask_b32_e64 v7, v5, v3, s[12:13]
	v_cndmask_b32_e64 v6, v4, v2, s[12:13]
	v_cndmask_b32_e64 v11, v11, v4, s[12:13]
	v_cndmask_b32_e64 v10, v10, v5, s[12:13]
	v_cndmask_b32_e64 v12, v2, v4, s[12:13]
	v_cndmask_b32_e64 v13, v3, v5, s[12:13]
	v_cmp_lt_i64_e64 s[12:13], v[4:5], v[8:9]
	s_nop 1
	v_cndmask_b32_e64 v3, v10, v9, s[12:13]
	v_cndmask_b32_e64 v2, v11, v8, s[12:13]
	v_cndmask_b32_e64 v5, v9, v13, s[12:13]
	v_cndmask_b32_e64 v4, v8, v12, s[12:13]
	ds_write2_b64 v14, v[4:5], v[2:3] offset1:1
	ds_write_b64 v14, v[6:7] offset:16
	v_mov_b32_e32 v6, v19
	s_waitcnt lgkmcnt(0)
	s_barrier
	s_and_saveexec_b64 s[14:15], vcc
	s_cbranch_execz .LBB134_6
; %bb.3:                                ;   in Loop: Header=BB134_2 Depth=1
	s_mov_b64 s[16:17], 0
	v_mov_b32_e32 v6, v19
	v_mov_b32_e32 v2, v20
.LBB134_4:                              ;   Parent Loop BB134_2 Depth=1
                                        ; =>  This Inner Loop Header: Depth=2
	v_sub_u32_e32 v3, v2, v6
	v_lshrrev_b32_e32 v4, 31, v3
	v_add_u32_e32 v3, v3, v4
	v_ashrrev_i32_e32 v3, 1, v3
	v_add_u32_e32 v3, v3, v6
	v_lshl_add_u32 v4, v3, 3, v65
	v_xad_u32 v5, v3, -1, v15
	v_lshl_add_u32 v7, v5, 3, v62
	ds_read_b64 v[4:5], v4
	ds_read_b64 v[8:9], v7
	v_add_u32_e32 v7, 1, v3
	s_waitcnt lgkmcnt(0)
	v_cmp_lt_i64_e64 s[12:13], v[8:9], v[4:5]
	s_nop 1
	v_cndmask_b32_e64 v2, v2, v3, s[12:13]
	v_cndmask_b32_e64 v6, v7, v6, s[12:13]
	v_cmp_ge_i32_e64 s[12:13], v6, v2
	s_or_b64 s[16:17], s[12:13], s[16:17]
	s_andn2_b64 exec, exec, s[16:17]
	s_cbranch_execnz .LBB134_4
; %bb.5:                                ;   in Loop: Header=BB134_2 Depth=1
	s_or_b64 exec, exec, s[16:17]
.LBB134_6:                              ;   in Loop: Header=BB134_2 Depth=1
	s_or_b64 exec, exec, s[14:15]
	v_sub_u32_e32 v10, v66, v6
	v_lshl_add_u32 v8, v6, 3, v65
	v_lshlrev_b32_e32 v12, 3, v10
	ds_read_b64 v[2:3], v8
	ds_read_b64 v[4:5], v12
	v_add_u32_e32 v11, v6, v16
	v_cmp_le_i32_e64 s[14:15], v17, v11
	v_cmp_gt_i32_e64 s[12:13], v18, v10
                                        ; implicit-def: $vgpr6_vgpr7
	s_waitcnt lgkmcnt(0)
	v_cmp_lt_i64_e64 s[16:17], v[4:5], v[2:3]
	s_or_b64 s[14:15], s[14:15], s[16:17]
	s_and_b64 s[12:13], s[12:13], s[14:15]
	s_xor_b64 s[14:15], s[12:13], -1
	s_and_saveexec_b64 s[16:17], s[14:15]
	s_xor_b64 s[14:15], exec, s[16:17]
	s_cbranch_execz .LBB134_8
; %bb.7:                                ;   in Loop: Header=BB134_2 Depth=1
	ds_read_b64 v[6:7], v8 offset:8
                                        ; implicit-def: $vgpr12
.LBB134_8:                              ;   in Loop: Header=BB134_2 Depth=1
	s_or_saveexec_b64 s[14:15], s[14:15]
	v_mov_b64_e32 v[8:9], v[4:5]
	s_xor_b64 exec, exec, s[14:15]
	s_cbranch_execz .LBB134_10
; %bb.9:                                ;   in Loop: Header=BB134_2 Depth=1
	ds_read_b64 v[8:9], v12 offset:8
	s_waitcnt lgkmcnt(1)
	v_mov_b64_e32 v[6:7], v[2:3]
.LBB134_10:                             ;   in Loop: Header=BB134_2 Depth=1
	s_or_b64 exec, exec, s[14:15]
	v_add_u32_e32 v13, 1, v11
	v_add_u32_e32 v12, 1, v10
	v_cndmask_b32_e64 v74, v13, v11, s[12:13]
	v_cndmask_b32_e64 v73, v10, v12, s[12:13]
	v_cmp_ge_i32_e64 s[16:17], v74, v17
	s_waitcnt lgkmcnt(0)
	v_cmp_lt_i64_e64 s[18:19], v[8:9], v[6:7]
	v_cmp_lt_i32_e64 s[14:15], v73, v18
	s_or_b64 s[16:17], s[16:17], s[18:19]
	s_and_b64 s[14:15], s[14:15], s[16:17]
	s_xor_b64 s[16:17], s[14:15], -1
                                        ; implicit-def: $vgpr10_vgpr11
	s_and_saveexec_b64 s[18:19], s[16:17]
	s_xor_b64 s[16:17], exec, s[18:19]
	s_cbranch_execz .LBB134_12
; %bb.11:                               ;   in Loop: Header=BB134_2 Depth=1
	v_lshlrev_b32_e32 v10, 3, v74
	ds_read_b64 v[10:11], v10 offset:8
.LBB134_12:                             ;   in Loop: Header=BB134_2 Depth=1
	s_or_saveexec_b64 s[16:17], s[16:17]
	v_mov_b64_e32 v[12:13], v[8:9]
	s_xor_b64 exec, exec, s[16:17]
	s_cbranch_execz .LBB134_14
; %bb.13:                               ;   in Loop: Header=BB134_2 Depth=1
	s_waitcnt lgkmcnt(0)
	v_lshlrev_b32_e32 v10, 3, v73
	ds_read_b64 v[12:13], v10 offset:8
	v_mov_b64_e32 v[10:11], v[6:7]
.LBB134_14:                             ;   in Loop: Header=BB134_2 Depth=1
	s_or_b64 exec, exec, s[16:17]
	v_cndmask_b32_e64 v7, v7, v9, s[14:15]
	v_add_u32_e32 v9, 1, v74
	v_cndmask_b32_e64 v6, v6, v8, s[14:15]
	v_add_u32_e32 v8, 1, v73
	v_cndmask_b32_e64 v9, v9, v74, s[14:15]
	v_cndmask_b32_e64 v8, v73, v8, s[14:15]
	v_cmp_ge_i32_e64 s[14:15], v9, v17
	s_waitcnt lgkmcnt(0)
	v_cmp_lt_i64_e64 s[16:17], v[12:13], v[10:11]
	v_cndmask_b32_e64 v3, v3, v5, s[12:13]
	v_cndmask_b32_e64 v2, v2, v4, s[12:13]
	v_cmp_lt_i32_e64 s[12:13], v8, v18
	s_or_b64 s[14:15], s[14:15], s[16:17]
	s_and_b64 s[12:13], s[12:13], s[14:15]
	v_cndmask_b32_e64 v5, v11, v13, s[12:13]
	v_cndmask_b32_e64 v4, v10, v12, s[12:13]
	s_barrier
	ds_write2_b64 v14, v[2:3], v[6:7] offset1:1
	ds_write_b64 v14, v[4:5] offset:16
	v_mov_b32_e32 v6, v25
	s_waitcnt lgkmcnt(0)
	s_barrier
	s_and_saveexec_b64 s[14:15], s[0:1]
	s_cbranch_execz .LBB134_18
; %bb.15:                               ;   in Loop: Header=BB134_2 Depth=1
	s_mov_b64 s[16:17], 0
	v_mov_b32_e32 v6, v25
	v_mov_b32_e32 v2, v26
.LBB134_16:                             ;   Parent Loop BB134_2 Depth=1
                                        ; =>  This Inner Loop Header: Depth=2
	v_sub_u32_e32 v3, v2, v6
	v_lshrrev_b32_e32 v4, 31, v3
	v_add_u32_e32 v3, v3, v4
	v_ashrrev_i32_e32 v3, 1, v3
	v_add_u32_e32 v3, v3, v6
	v_lshl_add_u32 v4, v3, 3, v67
	v_xad_u32 v5, v3, -1, v21
	v_lshl_add_u32 v7, v5, 3, v63
	ds_read_b64 v[4:5], v4
	ds_read_b64 v[8:9], v7
	v_add_u32_e32 v7, 1, v3
	s_waitcnt lgkmcnt(0)
	v_cmp_lt_i64_e64 s[12:13], v[8:9], v[4:5]
	s_nop 1
	v_cndmask_b32_e64 v2, v2, v3, s[12:13]
	v_cndmask_b32_e64 v6, v7, v6, s[12:13]
	v_cmp_ge_i32_e64 s[12:13], v6, v2
	s_or_b64 s[16:17], s[12:13], s[16:17]
	s_andn2_b64 exec, exec, s[16:17]
	s_cbranch_execnz .LBB134_16
; %bb.17:                               ;   in Loop: Header=BB134_2 Depth=1
	s_or_b64 exec, exec, s[16:17]
.LBB134_18:                             ;   in Loop: Header=BB134_2 Depth=1
	s_or_b64 exec, exec, s[14:15]
	v_sub_u32_e32 v10, v27, v6
	v_lshl_add_u32 v8, v6, 3, v67
	v_lshlrev_b32_e32 v12, 3, v10
	ds_read_b64 v[2:3], v8
	ds_read_b64 v[4:5], v12
	v_add_u32_e32 v11, v6, v22
	v_cmp_le_i32_e64 s[14:15], v23, v11
	v_cmp_gt_i32_e64 s[12:13], v24, v10
                                        ; implicit-def: $vgpr6_vgpr7
	s_waitcnt lgkmcnt(0)
	v_cmp_lt_i64_e64 s[16:17], v[4:5], v[2:3]
	s_or_b64 s[14:15], s[14:15], s[16:17]
	s_and_b64 s[12:13], s[12:13], s[14:15]
	s_xor_b64 s[14:15], s[12:13], -1
	s_and_saveexec_b64 s[16:17], s[14:15]
	s_xor_b64 s[14:15], exec, s[16:17]
	s_cbranch_execz .LBB134_20
; %bb.19:                               ;   in Loop: Header=BB134_2 Depth=1
	ds_read_b64 v[6:7], v8 offset:8
                                        ; implicit-def: $vgpr12
.LBB134_20:                             ;   in Loop: Header=BB134_2 Depth=1
	s_or_saveexec_b64 s[14:15], s[14:15]
	v_mov_b64_e32 v[8:9], v[4:5]
	s_xor_b64 exec, exec, s[14:15]
	s_cbranch_execz .LBB134_22
; %bb.21:                               ;   in Loop: Header=BB134_2 Depth=1
	ds_read_b64 v[8:9], v12 offset:8
	s_waitcnt lgkmcnt(1)
	v_mov_b64_e32 v[6:7], v[2:3]
.LBB134_22:                             ;   in Loop: Header=BB134_2 Depth=1
	s_or_b64 exec, exec, s[14:15]
	v_add_u32_e32 v13, 1, v11
	v_add_u32_e32 v12, 1, v10
	v_cndmask_b32_e64 v74, v13, v11, s[12:13]
	v_cndmask_b32_e64 v73, v10, v12, s[12:13]
	v_cmp_ge_i32_e64 s[16:17], v74, v23
	s_waitcnt lgkmcnt(0)
	v_cmp_lt_i64_e64 s[18:19], v[8:9], v[6:7]
	v_cmp_lt_i32_e64 s[14:15], v73, v24
	s_or_b64 s[16:17], s[16:17], s[18:19]
	s_and_b64 s[14:15], s[14:15], s[16:17]
	s_xor_b64 s[16:17], s[14:15], -1
                                        ; implicit-def: $vgpr10_vgpr11
	s_and_saveexec_b64 s[18:19], s[16:17]
	s_xor_b64 s[16:17], exec, s[18:19]
	s_cbranch_execz .LBB134_24
; %bb.23:                               ;   in Loop: Header=BB134_2 Depth=1
	v_lshlrev_b32_e32 v10, 3, v74
	ds_read_b64 v[10:11], v10 offset:8
.LBB134_24:                             ;   in Loop: Header=BB134_2 Depth=1
	s_or_saveexec_b64 s[16:17], s[16:17]
	v_mov_b64_e32 v[12:13], v[8:9]
	s_xor_b64 exec, exec, s[16:17]
	s_cbranch_execz .LBB134_26
; %bb.25:                               ;   in Loop: Header=BB134_2 Depth=1
	s_waitcnt lgkmcnt(0)
	v_lshlrev_b32_e32 v10, 3, v73
	ds_read_b64 v[12:13], v10 offset:8
	v_mov_b64_e32 v[10:11], v[6:7]
.LBB134_26:                             ;   in Loop: Header=BB134_2 Depth=1
	s_or_b64 exec, exec, s[16:17]
	v_cndmask_b32_e64 v7, v7, v9, s[14:15]
	v_add_u32_e32 v9, 1, v74
	v_cndmask_b32_e64 v6, v6, v8, s[14:15]
	v_add_u32_e32 v8, 1, v73
	v_cndmask_b32_e64 v9, v9, v74, s[14:15]
	v_cndmask_b32_e64 v8, v73, v8, s[14:15]
	v_cmp_ge_i32_e64 s[14:15], v9, v23
	s_waitcnt lgkmcnt(0)
	v_cmp_lt_i64_e64 s[16:17], v[12:13], v[10:11]
	v_cndmask_b32_e64 v3, v3, v5, s[12:13]
	v_cndmask_b32_e64 v2, v2, v4, s[12:13]
	v_cmp_lt_i32_e64 s[12:13], v8, v24
	s_or_b64 s[14:15], s[14:15], s[16:17]
	s_and_b64 s[12:13], s[12:13], s[14:15]
	v_cndmask_b32_e64 v5, v11, v13, s[12:13]
	v_cndmask_b32_e64 v4, v10, v12, s[12:13]
	s_barrier
	ds_write2_b64 v14, v[2:3], v[6:7] offset1:1
	ds_write_b64 v14, v[4:5] offset:16
	v_mov_b32_e32 v6, v32
	s_waitcnt lgkmcnt(0)
	s_barrier
	s_and_saveexec_b64 s[14:15], s[2:3]
	s_cbranch_execz .LBB134_30
; %bb.27:                               ;   in Loop: Header=BB134_2 Depth=1
	s_mov_b64 s[16:17], 0
	v_mov_b32_e32 v6, v32
	v_mov_b32_e32 v2, v33
.LBB134_28:                             ;   Parent Loop BB134_2 Depth=1
                                        ; =>  This Inner Loop Header: Depth=2
	v_sub_u32_e32 v3, v2, v6
	v_lshrrev_b32_e32 v4, 31, v3
	v_add_u32_e32 v3, v3, v4
	v_ashrrev_i32_e32 v3, 1, v3
	v_add_u32_e32 v3, v3, v6
	v_lshl_add_u32 v4, v3, 3, v68
	v_xad_u32 v5, v3, -1, v28
	v_lshl_add_u32 v7, v5, 3, v58
	ds_read_b64 v[4:5], v4
	ds_read_b64 v[8:9], v7
	v_add_u32_e32 v7, 1, v3
	s_waitcnt lgkmcnt(0)
	v_cmp_lt_i64_e64 s[12:13], v[8:9], v[4:5]
	s_nop 1
	v_cndmask_b32_e64 v2, v2, v3, s[12:13]
	v_cndmask_b32_e64 v6, v7, v6, s[12:13]
	v_cmp_ge_i32_e64 s[12:13], v6, v2
	s_or_b64 s[16:17], s[12:13], s[16:17]
	s_andn2_b64 exec, exec, s[16:17]
	s_cbranch_execnz .LBB134_28
; %bb.29:                               ;   in Loop: Header=BB134_2 Depth=1
	s_or_b64 exec, exec, s[16:17]
.LBB134_30:                             ;   in Loop: Header=BB134_2 Depth=1
	s_or_b64 exec, exec, s[14:15]
	v_sub_u32_e32 v10, v34, v6
	v_lshl_add_u32 v8, v6, 3, v68
	v_lshlrev_b32_e32 v12, 3, v10
	ds_read_b64 v[2:3], v8
	ds_read_b64 v[4:5], v12
	v_add_u32_e32 v11, v6, v29
	v_cmp_le_i32_e64 s[14:15], v30, v11
	v_cmp_gt_i32_e64 s[12:13], v31, v10
                                        ; implicit-def: $vgpr6_vgpr7
	s_waitcnt lgkmcnt(0)
	v_cmp_lt_i64_e64 s[16:17], v[4:5], v[2:3]
	s_or_b64 s[14:15], s[14:15], s[16:17]
	s_and_b64 s[12:13], s[12:13], s[14:15]
	s_xor_b64 s[14:15], s[12:13], -1
	s_and_saveexec_b64 s[16:17], s[14:15]
	s_xor_b64 s[14:15], exec, s[16:17]
	s_cbranch_execz .LBB134_32
; %bb.31:                               ;   in Loop: Header=BB134_2 Depth=1
	ds_read_b64 v[6:7], v8 offset:8
                                        ; implicit-def: $vgpr12
.LBB134_32:                             ;   in Loop: Header=BB134_2 Depth=1
	s_or_saveexec_b64 s[14:15], s[14:15]
	v_mov_b64_e32 v[8:9], v[4:5]
	s_xor_b64 exec, exec, s[14:15]
	s_cbranch_execz .LBB134_34
; %bb.33:                               ;   in Loop: Header=BB134_2 Depth=1
	ds_read_b64 v[8:9], v12 offset:8
	s_waitcnt lgkmcnt(1)
	v_mov_b64_e32 v[6:7], v[2:3]
.LBB134_34:                             ;   in Loop: Header=BB134_2 Depth=1
	s_or_b64 exec, exec, s[14:15]
	v_add_u32_e32 v13, 1, v11
	v_add_u32_e32 v12, 1, v10
	v_cndmask_b32_e64 v74, v13, v11, s[12:13]
	v_cndmask_b32_e64 v73, v10, v12, s[12:13]
	v_cmp_ge_i32_e64 s[16:17], v74, v30
	s_waitcnt lgkmcnt(0)
	v_cmp_lt_i64_e64 s[18:19], v[8:9], v[6:7]
	v_cmp_lt_i32_e64 s[14:15], v73, v31
	s_or_b64 s[16:17], s[16:17], s[18:19]
	s_and_b64 s[14:15], s[14:15], s[16:17]
	s_xor_b64 s[16:17], s[14:15], -1
                                        ; implicit-def: $vgpr10_vgpr11
	s_and_saveexec_b64 s[18:19], s[16:17]
	s_xor_b64 s[16:17], exec, s[18:19]
	s_cbranch_execz .LBB134_36
; %bb.35:                               ;   in Loop: Header=BB134_2 Depth=1
	v_lshlrev_b32_e32 v10, 3, v74
	ds_read_b64 v[10:11], v10 offset:8
.LBB134_36:                             ;   in Loop: Header=BB134_2 Depth=1
	s_or_saveexec_b64 s[16:17], s[16:17]
	v_mov_b64_e32 v[12:13], v[8:9]
	s_xor_b64 exec, exec, s[16:17]
	s_cbranch_execz .LBB134_38
; %bb.37:                               ;   in Loop: Header=BB134_2 Depth=1
	s_waitcnt lgkmcnt(0)
	v_lshlrev_b32_e32 v10, 3, v73
	ds_read_b64 v[12:13], v10 offset:8
	v_mov_b64_e32 v[10:11], v[6:7]
.LBB134_38:                             ;   in Loop: Header=BB134_2 Depth=1
	s_or_b64 exec, exec, s[16:17]
	v_cndmask_b32_e64 v7, v7, v9, s[14:15]
	v_add_u32_e32 v9, 1, v74
	v_cndmask_b32_e64 v6, v6, v8, s[14:15]
	v_add_u32_e32 v8, 1, v73
	v_cndmask_b32_e64 v9, v9, v74, s[14:15]
	v_cndmask_b32_e64 v8, v73, v8, s[14:15]
	v_cmp_ge_i32_e64 s[14:15], v9, v30
	s_waitcnt lgkmcnt(0)
	v_cmp_lt_i64_e64 s[16:17], v[12:13], v[10:11]
	v_cndmask_b32_e64 v3, v3, v5, s[12:13]
	v_cndmask_b32_e64 v2, v2, v4, s[12:13]
	v_cmp_lt_i32_e64 s[12:13], v8, v31
	s_or_b64 s[14:15], s[14:15], s[16:17]
	s_and_b64 s[12:13], s[12:13], s[14:15]
	v_cndmask_b32_e64 v5, v11, v13, s[12:13]
	v_cndmask_b32_e64 v4, v10, v12, s[12:13]
	s_barrier
	ds_write2_b64 v14, v[2:3], v[6:7] offset1:1
	ds_write_b64 v14, v[4:5] offset:16
	v_mov_b32_e32 v6, v39
	s_waitcnt lgkmcnt(0)
	s_barrier
	s_and_saveexec_b64 s[14:15], s[4:5]
	s_cbranch_execz .LBB134_42
; %bb.39:                               ;   in Loop: Header=BB134_2 Depth=1
	s_mov_b64 s[16:17], 0
	v_mov_b32_e32 v6, v39
	v_mov_b32_e32 v2, v40
.LBB134_40:                             ;   Parent Loop BB134_2 Depth=1
                                        ; =>  This Inner Loop Header: Depth=2
	v_sub_u32_e32 v3, v2, v6
	v_lshrrev_b32_e32 v4, 31, v3
	v_add_u32_e32 v3, v3, v4
	v_ashrrev_i32_e32 v3, 1, v3
	v_add_u32_e32 v3, v3, v6
	v_lshl_add_u32 v4, v3, 3, v69
	v_xad_u32 v5, v3, -1, v35
	v_lshl_add_u32 v7, v5, 3, v64
	ds_read_b64 v[4:5], v4
	ds_read_b64 v[8:9], v7
	v_add_u32_e32 v7, 1, v3
	s_waitcnt lgkmcnt(0)
	v_cmp_lt_i64_e64 s[12:13], v[8:9], v[4:5]
	s_nop 1
	v_cndmask_b32_e64 v2, v2, v3, s[12:13]
	v_cndmask_b32_e64 v6, v7, v6, s[12:13]
	v_cmp_ge_i32_e64 s[12:13], v6, v2
	s_or_b64 s[16:17], s[12:13], s[16:17]
	s_andn2_b64 exec, exec, s[16:17]
	s_cbranch_execnz .LBB134_40
; %bb.41:                               ;   in Loop: Header=BB134_2 Depth=1
	s_or_b64 exec, exec, s[16:17]
.LBB134_42:                             ;   in Loop: Header=BB134_2 Depth=1
	s_or_b64 exec, exec, s[14:15]
	v_sub_u32_e32 v10, v41, v6
	v_lshl_add_u32 v8, v6, 3, v69
	v_lshlrev_b32_e32 v12, 3, v10
	ds_read_b64 v[2:3], v8
	ds_read_b64 v[4:5], v12
	v_add_u32_e32 v11, v6, v36
	v_cmp_le_i32_e64 s[14:15], v37, v11
	v_cmp_gt_i32_e64 s[12:13], v38, v10
                                        ; implicit-def: $vgpr6_vgpr7
	s_waitcnt lgkmcnt(0)
	v_cmp_lt_i64_e64 s[16:17], v[4:5], v[2:3]
	s_or_b64 s[14:15], s[14:15], s[16:17]
	s_and_b64 s[12:13], s[12:13], s[14:15]
	s_xor_b64 s[14:15], s[12:13], -1
	s_and_saveexec_b64 s[16:17], s[14:15]
	s_xor_b64 s[14:15], exec, s[16:17]
	s_cbranch_execz .LBB134_44
; %bb.43:                               ;   in Loop: Header=BB134_2 Depth=1
	ds_read_b64 v[6:7], v8 offset:8
                                        ; implicit-def: $vgpr12
.LBB134_44:                             ;   in Loop: Header=BB134_2 Depth=1
	s_or_saveexec_b64 s[14:15], s[14:15]
	v_mov_b64_e32 v[8:9], v[4:5]
	s_xor_b64 exec, exec, s[14:15]
	s_cbranch_execz .LBB134_46
; %bb.45:                               ;   in Loop: Header=BB134_2 Depth=1
	ds_read_b64 v[8:9], v12 offset:8
	s_waitcnt lgkmcnt(1)
	v_mov_b64_e32 v[6:7], v[2:3]
.LBB134_46:                             ;   in Loop: Header=BB134_2 Depth=1
	s_or_b64 exec, exec, s[14:15]
	v_add_u32_e32 v13, 1, v11
	v_add_u32_e32 v12, 1, v10
	v_cndmask_b32_e64 v74, v13, v11, s[12:13]
	v_cndmask_b32_e64 v73, v10, v12, s[12:13]
	v_cmp_ge_i32_e64 s[16:17], v74, v37
	s_waitcnt lgkmcnt(0)
	v_cmp_lt_i64_e64 s[18:19], v[8:9], v[6:7]
	v_cmp_lt_i32_e64 s[14:15], v73, v38
	s_or_b64 s[16:17], s[16:17], s[18:19]
	s_and_b64 s[14:15], s[14:15], s[16:17]
	s_xor_b64 s[16:17], s[14:15], -1
                                        ; implicit-def: $vgpr10_vgpr11
	s_and_saveexec_b64 s[18:19], s[16:17]
	s_xor_b64 s[16:17], exec, s[18:19]
	s_cbranch_execz .LBB134_48
; %bb.47:                               ;   in Loop: Header=BB134_2 Depth=1
	v_lshlrev_b32_e32 v10, 3, v74
	ds_read_b64 v[10:11], v10 offset:8
.LBB134_48:                             ;   in Loop: Header=BB134_2 Depth=1
	s_or_saveexec_b64 s[16:17], s[16:17]
	v_mov_b64_e32 v[12:13], v[8:9]
	s_xor_b64 exec, exec, s[16:17]
	s_cbranch_execz .LBB134_50
; %bb.49:                               ;   in Loop: Header=BB134_2 Depth=1
	s_waitcnt lgkmcnt(0)
	v_lshlrev_b32_e32 v10, 3, v73
	ds_read_b64 v[12:13], v10 offset:8
	v_mov_b64_e32 v[10:11], v[6:7]
.LBB134_50:                             ;   in Loop: Header=BB134_2 Depth=1
	s_or_b64 exec, exec, s[16:17]
	v_cndmask_b32_e64 v7, v7, v9, s[14:15]
	v_add_u32_e32 v9, 1, v74
	v_cndmask_b32_e64 v6, v6, v8, s[14:15]
	v_add_u32_e32 v8, 1, v73
	v_cndmask_b32_e64 v9, v9, v74, s[14:15]
	v_cndmask_b32_e64 v8, v73, v8, s[14:15]
	v_cmp_ge_i32_e64 s[14:15], v9, v37
	s_waitcnt lgkmcnt(0)
	v_cmp_lt_i64_e64 s[16:17], v[12:13], v[10:11]
	v_cndmask_b32_e64 v3, v3, v5, s[12:13]
	v_cndmask_b32_e64 v2, v2, v4, s[12:13]
	v_cmp_lt_i32_e64 s[12:13], v8, v38
	s_or_b64 s[14:15], s[14:15], s[16:17]
	s_and_b64 s[12:13], s[12:13], s[14:15]
	v_cndmask_b32_e64 v5, v11, v13, s[12:13]
	v_cndmask_b32_e64 v4, v10, v12, s[12:13]
	s_barrier
	ds_write2_b64 v14, v[2:3], v[6:7] offset1:1
	ds_write_b64 v14, v[4:5] offset:16
	v_mov_b32_e32 v6, v46
	s_waitcnt lgkmcnt(0)
	s_barrier
	s_and_saveexec_b64 s[14:15], s[6:7]
	s_cbranch_execz .LBB134_54
; %bb.51:                               ;   in Loop: Header=BB134_2 Depth=1
	s_mov_b64 s[16:17], 0
	v_mov_b32_e32 v6, v46
	v_mov_b32_e32 v2, v47
.LBB134_52:                             ;   Parent Loop BB134_2 Depth=1
                                        ; =>  This Inner Loop Header: Depth=2
	v_sub_u32_e32 v3, v2, v6
	v_lshrrev_b32_e32 v4, 31, v3
	v_add_u32_e32 v3, v3, v4
	v_ashrrev_i32_e32 v3, 1, v3
	v_add_u32_e32 v3, v3, v6
	v_lshl_add_u32 v4, v3, 3, v70
	v_xad_u32 v5, v3, -1, v42
	v_lshl_add_u32 v7, v5, 3, v59
	ds_read_b64 v[4:5], v4
	ds_read_b64 v[8:9], v7
	v_add_u32_e32 v7, 1, v3
	s_waitcnt lgkmcnt(0)
	v_cmp_lt_i64_e64 s[12:13], v[8:9], v[4:5]
	s_nop 1
	v_cndmask_b32_e64 v2, v2, v3, s[12:13]
	v_cndmask_b32_e64 v6, v7, v6, s[12:13]
	v_cmp_ge_i32_e64 s[12:13], v6, v2
	s_or_b64 s[16:17], s[12:13], s[16:17]
	s_andn2_b64 exec, exec, s[16:17]
	s_cbranch_execnz .LBB134_52
; %bb.53:                               ;   in Loop: Header=BB134_2 Depth=1
	s_or_b64 exec, exec, s[16:17]
.LBB134_54:                             ;   in Loop: Header=BB134_2 Depth=1
	s_or_b64 exec, exec, s[14:15]
	v_sub_u32_e32 v10, v48, v6
	v_lshl_add_u32 v8, v6, 3, v70
	v_lshlrev_b32_e32 v12, 3, v10
	ds_read_b64 v[2:3], v8
	ds_read_b64 v[4:5], v12
	v_add_u32_e32 v11, v6, v43
	v_cmp_le_i32_e64 s[14:15], v44, v11
	v_cmp_gt_i32_e64 s[12:13], v45, v10
                                        ; implicit-def: $vgpr6_vgpr7
	s_waitcnt lgkmcnt(0)
	v_cmp_lt_i64_e64 s[16:17], v[4:5], v[2:3]
	s_or_b64 s[14:15], s[14:15], s[16:17]
	s_and_b64 s[12:13], s[12:13], s[14:15]
	s_xor_b64 s[14:15], s[12:13], -1
	s_and_saveexec_b64 s[16:17], s[14:15]
	s_xor_b64 s[14:15], exec, s[16:17]
	s_cbranch_execz .LBB134_56
; %bb.55:                               ;   in Loop: Header=BB134_2 Depth=1
	ds_read_b64 v[6:7], v8 offset:8
                                        ; implicit-def: $vgpr12
.LBB134_56:                             ;   in Loop: Header=BB134_2 Depth=1
	s_or_saveexec_b64 s[14:15], s[14:15]
	v_mov_b64_e32 v[8:9], v[4:5]
	s_xor_b64 exec, exec, s[14:15]
	s_cbranch_execz .LBB134_58
; %bb.57:                               ;   in Loop: Header=BB134_2 Depth=1
	ds_read_b64 v[8:9], v12 offset:8
	s_waitcnt lgkmcnt(1)
	v_mov_b64_e32 v[6:7], v[2:3]
.LBB134_58:                             ;   in Loop: Header=BB134_2 Depth=1
	s_or_b64 exec, exec, s[14:15]
	v_add_u32_e32 v13, 1, v11
	v_add_u32_e32 v12, 1, v10
	v_cndmask_b32_e64 v74, v13, v11, s[12:13]
	v_cndmask_b32_e64 v73, v10, v12, s[12:13]
	v_cmp_ge_i32_e64 s[16:17], v74, v44
	s_waitcnt lgkmcnt(0)
	v_cmp_lt_i64_e64 s[18:19], v[8:9], v[6:7]
	v_cmp_lt_i32_e64 s[14:15], v73, v45
	s_or_b64 s[16:17], s[16:17], s[18:19]
	s_and_b64 s[14:15], s[14:15], s[16:17]
	s_xor_b64 s[16:17], s[14:15], -1
                                        ; implicit-def: $vgpr10_vgpr11
	s_and_saveexec_b64 s[18:19], s[16:17]
	s_xor_b64 s[16:17], exec, s[18:19]
	s_cbranch_execz .LBB134_60
; %bb.59:                               ;   in Loop: Header=BB134_2 Depth=1
	v_lshlrev_b32_e32 v10, 3, v74
	ds_read_b64 v[10:11], v10 offset:8
.LBB134_60:                             ;   in Loop: Header=BB134_2 Depth=1
	s_or_saveexec_b64 s[16:17], s[16:17]
	v_mov_b64_e32 v[12:13], v[8:9]
	s_xor_b64 exec, exec, s[16:17]
	s_cbranch_execz .LBB134_62
; %bb.61:                               ;   in Loop: Header=BB134_2 Depth=1
	s_waitcnt lgkmcnt(0)
	v_lshlrev_b32_e32 v10, 3, v73
	ds_read_b64 v[12:13], v10 offset:8
	v_mov_b64_e32 v[10:11], v[6:7]
.LBB134_62:                             ;   in Loop: Header=BB134_2 Depth=1
	s_or_b64 exec, exec, s[16:17]
	v_cndmask_b32_e64 v7, v7, v9, s[14:15]
	v_add_u32_e32 v9, 1, v74
	v_cndmask_b32_e64 v6, v6, v8, s[14:15]
	v_add_u32_e32 v8, 1, v73
	v_cndmask_b32_e64 v9, v9, v74, s[14:15]
	v_cndmask_b32_e64 v8, v73, v8, s[14:15]
	v_cmp_ge_i32_e64 s[14:15], v9, v44
	s_waitcnt lgkmcnt(0)
	v_cmp_lt_i64_e64 s[16:17], v[12:13], v[10:11]
	v_cndmask_b32_e64 v3, v3, v5, s[12:13]
	v_cndmask_b32_e64 v2, v2, v4, s[12:13]
	v_cmp_lt_i32_e64 s[12:13], v8, v45
	s_or_b64 s[14:15], s[14:15], s[16:17]
	s_and_b64 s[12:13], s[12:13], s[14:15]
	v_cndmask_b32_e64 v5, v11, v13, s[12:13]
	v_cndmask_b32_e64 v4, v10, v12, s[12:13]
	s_barrier
	ds_write2_b64 v14, v[2:3], v[6:7] offset1:1
	ds_write_b64 v14, v[4:5] offset:16
	v_mov_b32_e32 v6, v54
	s_waitcnt lgkmcnt(0)
	s_barrier
	s_and_saveexec_b64 s[14:15], s[8:9]
	s_cbranch_execz .LBB134_66
; %bb.63:                               ;   in Loop: Header=BB134_2 Depth=1
	s_mov_b64 s[16:17], 0
	v_mov_b32_e32 v6, v54
	v_mov_b32_e32 v2, v55
.LBB134_64:                             ;   Parent Loop BB134_2 Depth=1
                                        ; =>  This Inner Loop Header: Depth=2
	v_sub_u32_e32 v3, v2, v6
	v_lshrrev_b32_e32 v4, 31, v3
	v_add_u32_e32 v3, v3, v4
	v_ashrrev_i32_e32 v3, 1, v3
	v_add_u32_e32 v3, v3, v6
	v_lshl_add_u32 v4, v3, 3, v71
	v_xad_u32 v5, v3, -1, v49
	v_lshl_add_u32 v7, v5, 3, v60
	ds_read_b64 v[4:5], v4
	ds_read_b64 v[8:9], v7
	v_add_u32_e32 v7, 1, v3
	s_waitcnt lgkmcnt(0)
	v_cmp_lt_i64_e64 s[12:13], v[8:9], v[4:5]
	s_nop 1
	v_cndmask_b32_e64 v2, v2, v3, s[12:13]
	v_cndmask_b32_e64 v6, v7, v6, s[12:13]
	v_cmp_ge_i32_e64 s[12:13], v6, v2
	s_or_b64 s[16:17], s[12:13], s[16:17]
	s_andn2_b64 exec, exec, s[16:17]
	s_cbranch_execnz .LBB134_64
; %bb.65:                               ;   in Loop: Header=BB134_2 Depth=1
	s_or_b64 exec, exec, s[16:17]
.LBB134_66:                             ;   in Loop: Header=BB134_2 Depth=1
	s_or_b64 exec, exec, s[14:15]
	v_sub_u32_e32 v10, v56, v6
	v_lshl_add_u32 v8, v6, 3, v71
	v_lshlrev_b32_e32 v12, 3, v10
	ds_read_b64 v[2:3], v8
	ds_read_b64 v[4:5], v12
	v_add_u32_e32 v11, v6, v50
	v_cmp_le_i32_e64 s[14:15], v51, v11
	v_cmp_gt_i32_e64 s[12:13], v53, v10
                                        ; implicit-def: $vgpr6_vgpr7
	s_waitcnt lgkmcnt(0)
	v_cmp_lt_i64_e64 s[16:17], v[4:5], v[2:3]
	s_or_b64 s[14:15], s[14:15], s[16:17]
	s_and_b64 s[12:13], s[12:13], s[14:15]
	s_xor_b64 s[14:15], s[12:13], -1
	s_and_saveexec_b64 s[16:17], s[14:15]
	s_xor_b64 s[14:15], exec, s[16:17]
	s_cbranch_execz .LBB134_68
; %bb.67:                               ;   in Loop: Header=BB134_2 Depth=1
	ds_read_b64 v[6:7], v8 offset:8
                                        ; implicit-def: $vgpr12
.LBB134_68:                             ;   in Loop: Header=BB134_2 Depth=1
	s_or_saveexec_b64 s[14:15], s[14:15]
	v_mov_b64_e32 v[8:9], v[4:5]
	s_xor_b64 exec, exec, s[14:15]
	s_cbranch_execz .LBB134_70
; %bb.69:                               ;   in Loop: Header=BB134_2 Depth=1
	ds_read_b64 v[8:9], v12 offset:8
	s_waitcnt lgkmcnt(1)
	v_mov_b64_e32 v[6:7], v[2:3]
.LBB134_70:                             ;   in Loop: Header=BB134_2 Depth=1
	s_or_b64 exec, exec, s[14:15]
	v_add_u32_e32 v13, 1, v11
	v_add_u32_e32 v12, 1, v10
	v_cndmask_b32_e64 v74, v13, v11, s[12:13]
	v_cndmask_b32_e64 v73, v10, v12, s[12:13]
	v_cmp_ge_i32_e64 s[16:17], v74, v51
	s_waitcnt lgkmcnt(0)
	v_cmp_lt_i64_e64 s[18:19], v[8:9], v[6:7]
	v_cmp_lt_i32_e64 s[14:15], v73, v53
	s_or_b64 s[16:17], s[16:17], s[18:19]
	s_and_b64 s[14:15], s[14:15], s[16:17]
	s_xor_b64 s[16:17], s[14:15], -1
                                        ; implicit-def: $vgpr10_vgpr11
	s_and_saveexec_b64 s[18:19], s[16:17]
	s_xor_b64 s[16:17], exec, s[18:19]
	s_cbranch_execz .LBB134_72
; %bb.71:                               ;   in Loop: Header=BB134_2 Depth=1
	v_lshlrev_b32_e32 v10, 3, v74
	ds_read_b64 v[10:11], v10 offset:8
.LBB134_72:                             ;   in Loop: Header=BB134_2 Depth=1
	s_or_saveexec_b64 s[16:17], s[16:17]
	v_mov_b64_e32 v[12:13], v[8:9]
	s_xor_b64 exec, exec, s[16:17]
	s_cbranch_execz .LBB134_74
; %bb.73:                               ;   in Loop: Header=BB134_2 Depth=1
	s_waitcnt lgkmcnt(0)
	v_lshlrev_b32_e32 v10, 3, v73
	ds_read_b64 v[12:13], v10 offset:8
	v_mov_b64_e32 v[10:11], v[6:7]
.LBB134_74:                             ;   in Loop: Header=BB134_2 Depth=1
	s_or_b64 exec, exec, s[16:17]
	v_cndmask_b32_e64 v7, v7, v9, s[14:15]
	v_add_u32_e32 v9, 1, v74
	v_cndmask_b32_e64 v6, v6, v8, s[14:15]
	v_add_u32_e32 v8, 1, v73
	v_cndmask_b32_e64 v9, v9, v74, s[14:15]
	v_cndmask_b32_e64 v8, v73, v8, s[14:15]
	v_cmp_ge_i32_e64 s[14:15], v9, v51
	s_waitcnt lgkmcnt(0)
	v_cmp_lt_i64_e64 s[16:17], v[12:13], v[10:11]
	v_cndmask_b32_e64 v3, v3, v5, s[12:13]
	v_cndmask_b32_e64 v2, v2, v4, s[12:13]
	v_cmp_lt_i32_e64 s[12:13], v8, v53
	s_or_b64 s[14:15], s[14:15], s[16:17]
	s_and_b64 s[12:13], s[12:13], s[14:15]
	v_cndmask_b32_e64 v4, v10, v12, s[12:13]
	v_mov_b32_e32 v10, v57
	v_cndmask_b32_e64 v5, v11, v13, s[12:13]
	s_barrier
	ds_write2_b64 v14, v[2:3], v[6:7] offset1:1
	ds_write_b64 v14, v[4:5] offset:16
	s_waitcnt lgkmcnt(0)
	s_barrier
	s_and_saveexec_b64 s[14:15], s[10:11]
	s_cbranch_execz .LBB134_78
; %bb.75:                               ;   in Loop: Header=BB134_2 Depth=1
	s_mov_b64 s[16:17], 0
	v_mov_b32_e32 v10, v57
	v_mov_b32_e32 v2, v61
.LBB134_76:                             ;   Parent Loop BB134_2 Depth=1
                                        ; =>  This Inner Loop Header: Depth=2
	v_sub_u32_e32 v3, v2, v10
	v_lshrrev_b32_e32 v4, 31, v3
	v_add_u32_e32 v3, v3, v4
	v_ashrrev_i32_e32 v3, 1, v3
	v_add_u32_e32 v3, v3, v10
	v_xad_u32 v5, v3, -1, v1
	v_mov_b32_e32 v6, 0x600
	v_lshlrev_b32_e32 v4, 3, v3
	v_lshl_add_u32 v6, v5, 3, v6
	ds_read_b64 v[4:5], v4
	ds_read_b64 v[6:7], v6
	v_add_u32_e32 v8, 1, v3
	s_waitcnt lgkmcnt(0)
	v_cmp_lt_i64_e64 s[12:13], v[6:7], v[4:5]
	s_nop 1
	v_cndmask_b32_e64 v2, v2, v3, s[12:13]
	v_cndmask_b32_e64 v10, v8, v10, s[12:13]
	v_cmp_ge_i32_e64 s[12:13], v10, v2
	s_or_b64 s[16:17], s[12:13], s[16:17]
	s_andn2_b64 exec, exec, s[16:17]
	s_cbranch_execnz .LBB134_76
; %bb.77:                               ;   in Loop: Header=BB134_2 Depth=1
	s_or_b64 exec, exec, s[16:17]
.LBB134_78:                             ;   in Loop: Header=BB134_2 Depth=1
	s_or_b64 exec, exec, s[14:15]
	v_sub_u32_e32 v11, v72, v10
	v_lshlrev_b32_e32 v8, 3, v10
	v_lshlrev_b32_e32 v12, 3, v11
	ds_read_b64 v[2:3], v8
	ds_read_b64 v[4:5], v12
	v_cmp_le_i32_e64 s[14:15], v52, v10
	v_cmp_gt_i32_e64 s[12:13], s28, v11
                                        ; implicit-def: $vgpr6_vgpr7
	s_waitcnt lgkmcnt(0)
	v_cmp_lt_i64_e64 s[16:17], v[4:5], v[2:3]
	s_or_b64 s[14:15], s[14:15], s[16:17]
	s_and_b64 s[12:13], s[12:13], s[14:15]
	s_xor_b64 s[14:15], s[12:13], -1
	s_and_saveexec_b64 s[16:17], s[14:15]
	s_xor_b64 s[14:15], exec, s[16:17]
	s_cbranch_execz .LBB134_80
; %bb.79:                               ;   in Loop: Header=BB134_2 Depth=1
	ds_read_b64 v[6:7], v8 offset:8
                                        ; implicit-def: $vgpr12
.LBB134_80:                             ;   in Loop: Header=BB134_2 Depth=1
	s_or_saveexec_b64 s[14:15], s[14:15]
	v_mov_b64_e32 v[8:9], v[4:5]
	s_xor_b64 exec, exec, s[14:15]
	s_cbranch_execz .LBB134_82
; %bb.81:                               ;   in Loop: Header=BB134_2 Depth=1
	ds_read_b64 v[8:9], v12 offset:8
	s_waitcnt lgkmcnt(1)
	v_mov_b64_e32 v[6:7], v[2:3]
.LBB134_82:                             ;   in Loop: Header=BB134_2 Depth=1
	s_or_b64 exec, exec, s[14:15]
	v_add_u32_e32 v13, 1, v10
	v_add_u32_e32 v12, 1, v11
	v_cndmask_b32_e64 v75, v13, v10, s[12:13]
	v_cndmask_b32_e64 v73, v11, v12, s[12:13]
	v_cmp_ge_i32_e64 s[16:17], v75, v52
	s_waitcnt lgkmcnt(0)
	v_cmp_lt_i64_e64 s[18:19], v[8:9], v[6:7]
	v_cmp_gt_i32_e64 s[14:15], s28, v73
	s_or_b64 s[16:17], s[16:17], s[18:19]
	s_and_b64 s[14:15], s[14:15], s[16:17]
	s_xor_b64 s[16:17], s[14:15], -1
                                        ; implicit-def: $vgpr10_vgpr11
                                        ; implicit-def: $vgpr74
	s_and_saveexec_b64 s[18:19], s[16:17]
	s_xor_b64 s[16:17], exec, s[18:19]
	s_cbranch_execz .LBB134_84
; %bb.83:                               ;   in Loop: Header=BB134_2 Depth=1
	v_lshlrev_b32_e32 v10, 3, v75
	ds_read_b64 v[10:11], v10 offset:8
	v_add_u32_e32 v74, 1, v75
                                        ; implicit-def: $vgpr75
.LBB134_84:                             ;   in Loop: Header=BB134_2 Depth=1
	s_or_saveexec_b64 s[16:17], s[16:17]
	v_mov_b64_e32 v[12:13], v[8:9]
	s_xor_b64 exec, exec, s[16:17]
	s_cbranch_execz .LBB134_1
; %bb.85:                               ;   in Loop: Header=BB134_2 Depth=1
	s_waitcnt lgkmcnt(0)
	v_lshlrev_b32_e32 v10, 3, v73
	ds_read_b64 v[12:13], v10 offset:8
	v_add_u32_e32 v73, 1, v73
	v_mov_b32_e32 v74, v75
	v_mov_b64_e32 v[10:11], v[6:7]
	s_branch .LBB134_1
.LBB134_86:
	s_add_u32 s0, s22, s26
	s_addc_u32 s1, s23, s27
	v_lshlrev_b32_e32 v0, 3, v0
	global_store_dwordx2 v0, v[2:3], s[0:1]
	global_store_dwordx2 v0, v[6:7], s[0:1] offset:1024
	global_store_dwordx2 v0, v[4:5], s[0:1] offset:2048
	s_endpgm
	.section	.rodata,"a",@progbits
	.p2align	6, 0x0
	.amdhsa_kernel _Z16sort_keys_kernelIxLj128ELj3EN10test_utils4lessELj10EEvPKT_PS2_T2_
		.amdhsa_group_segment_fixed_size 3080
		.amdhsa_private_segment_fixed_size 0
		.amdhsa_kernarg_size 20
		.amdhsa_user_sgpr_count 2
		.amdhsa_user_sgpr_dispatch_ptr 0
		.amdhsa_user_sgpr_queue_ptr 0
		.amdhsa_user_sgpr_kernarg_segment_ptr 1
		.amdhsa_user_sgpr_dispatch_id 0
		.amdhsa_user_sgpr_kernarg_preload_length 0
		.amdhsa_user_sgpr_kernarg_preload_offset 0
		.amdhsa_user_sgpr_private_segment_size 0
		.amdhsa_uses_dynamic_stack 0
		.amdhsa_enable_private_segment 0
		.amdhsa_system_sgpr_workgroup_id_x 1
		.amdhsa_system_sgpr_workgroup_id_y 0
		.amdhsa_system_sgpr_workgroup_id_z 0
		.amdhsa_system_sgpr_workgroup_info 0
		.amdhsa_system_vgpr_workitem_id 0
		.amdhsa_next_free_vgpr 76
		.amdhsa_next_free_sgpr 29
		.amdhsa_accum_offset 76
		.amdhsa_reserve_vcc 1
		.amdhsa_float_round_mode_32 0
		.amdhsa_float_round_mode_16_64 0
		.amdhsa_float_denorm_mode_32 3
		.amdhsa_float_denorm_mode_16_64 3
		.amdhsa_dx10_clamp 1
		.amdhsa_ieee_mode 1
		.amdhsa_fp16_overflow 0
		.amdhsa_tg_split 0
		.amdhsa_exception_fp_ieee_invalid_op 0
		.amdhsa_exception_fp_denorm_src 0
		.amdhsa_exception_fp_ieee_div_zero 0
		.amdhsa_exception_fp_ieee_overflow 0
		.amdhsa_exception_fp_ieee_underflow 0
		.amdhsa_exception_fp_ieee_inexact 0
		.amdhsa_exception_int_div_zero 0
	.end_amdhsa_kernel
	.section	.text._Z16sort_keys_kernelIxLj128ELj3EN10test_utils4lessELj10EEvPKT_PS2_T2_,"axG",@progbits,_Z16sort_keys_kernelIxLj128ELj3EN10test_utils4lessELj10EEvPKT_PS2_T2_,comdat
.Lfunc_end134:
	.size	_Z16sort_keys_kernelIxLj128ELj3EN10test_utils4lessELj10EEvPKT_PS2_T2_, .Lfunc_end134-_Z16sort_keys_kernelIxLj128ELj3EN10test_utils4lessELj10EEvPKT_PS2_T2_
                                        ; -- End function
	.section	.AMDGPU.csdata,"",@progbits
; Kernel info:
; codeLenInByte = 4848
; NumSgprs: 35
; NumVgprs: 76
; NumAgprs: 0
; TotalNumVgprs: 76
; ScratchSize: 0
; MemoryBound: 0
; FloatMode: 240
; IeeeMode: 1
; LDSByteSize: 3080 bytes/workgroup (compile time only)
; SGPRBlocks: 4
; VGPRBlocks: 9
; NumSGPRsForWavesPerEU: 35
; NumVGPRsForWavesPerEU: 76
; AccumOffset: 76
; Occupancy: 6
; WaveLimiterHint : 1
; COMPUTE_PGM_RSRC2:SCRATCH_EN: 0
; COMPUTE_PGM_RSRC2:USER_SGPR: 2
; COMPUTE_PGM_RSRC2:TRAP_HANDLER: 0
; COMPUTE_PGM_RSRC2:TGID_X_EN: 1
; COMPUTE_PGM_RSRC2:TGID_Y_EN: 0
; COMPUTE_PGM_RSRC2:TGID_Z_EN: 0
; COMPUTE_PGM_RSRC2:TIDIG_COMP_CNT: 0
; COMPUTE_PGM_RSRC3_GFX90A:ACCUM_OFFSET: 18
; COMPUTE_PGM_RSRC3_GFX90A:TG_SPLIT: 0
	.section	.text._Z17sort_pairs_kernelIxLj128ELj3EN10test_utils4lessELj10EEvPKT_PS2_T2_,"axG",@progbits,_Z17sort_pairs_kernelIxLj128ELj3EN10test_utils4lessELj10EEvPKT_PS2_T2_,comdat
	.protected	_Z17sort_pairs_kernelIxLj128ELj3EN10test_utils4lessELj10EEvPKT_PS2_T2_ ; -- Begin function _Z17sort_pairs_kernelIxLj128ELj3EN10test_utils4lessELj10EEvPKT_PS2_T2_
	.globl	_Z17sort_pairs_kernelIxLj128ELj3EN10test_utils4lessELj10EEvPKT_PS2_T2_
	.p2align	8
	.type	_Z17sort_pairs_kernelIxLj128ELj3EN10test_utils4lessELj10EEvPKT_PS2_T2_,@function
_Z17sort_pairs_kernelIxLj128ELj3EN10test_utils4lessELj10EEvPKT_PS2_T2_: ; @_Z17sort_pairs_kernelIxLj128ELj3EN10test_utils4lessELj10EEvPKT_PS2_T2_
; %bb.0:
	s_load_dwordx4 s[24:27], s[0:1], 0x0
	s_mul_i32 s30, s2, 0x180
	s_mov_b32 s31, 0
	s_lshl_b64 s[28:29], s[30:31], 3
	v_lshlrev_b32_e32 v1, 3, v0
	s_waitcnt lgkmcnt(0)
	s_add_u32 s0, s24, s28
	s_addc_u32 s1, s25, s29
	global_load_dwordx2 v[4:5], v1, s[0:1]
	global_load_dwordx2 v[10:11], v1, s[0:1] offset:1024
	global_load_dwordx2 v[12:13], v1, s[0:1] offset:2048
	v_and_b32_e32 v2, 0x7e, v0
	v_mul_u32_u24_e32 v2, 3, v2
	v_and_b32_e32 v3, 1, v0
	v_cmp_eq_u32_e32 vcc, 1, v3
	v_min_u32_e32 v3, 0x17d, v2
	v_min_u32_e32 v22, 0x180, v2
	v_add_u32_e32 v23, 3, v3
	v_min_u32_e32 v2, 0x17a, v2
	v_cndmask_b32_e64 v21, 0, 3, vcc
	v_add_u32_e32 v24, 6, v2
	v_sub_u32_e32 v2, v23, v22
	v_sub_u32_e32 v6, v24, v23
	v_min_i32_e32 v26, v21, v2
	v_and_b32_e32 v2, 0x7c, v0
	v_sub_u32_e32 v7, v21, v6
	v_cmp_ge_i32_e32 vcc, v21, v6
	v_mul_u32_u24_e32 v2, 3, v2
	v_and_b32_e32 v6, 3, v0
	v_cndmask_b32_e32 v25, 0, v7, vcc
	v_min_u32_e32 v7, 0x17a, v2
	v_min_u32_e32 v28, 0x180, v2
	v_add_u32_e32 v29, 6, v7
	v_min_u32_e32 v2, 0x174, v2
	v_mul_u32_u24_e32 v27, 3, v6
	v_add_u32_e32 v30, 12, v2
	v_sub_u32_e32 v2, v29, v28
	v_min_i32_e32 v32, v27, v2
	v_and_b32_e32 v2, 0x78, v0
	v_sub_u32_e32 v8, v30, v29
	v_mul_u32_u24_e32 v2, 3, v2
	v_sub_u32_e32 v9, v27, v8
	v_cmp_ge_i32_e64 s[0:1], v27, v8
	v_min_u32_e32 v8, 0x174, v2
	v_mad_u32_u24 v33, v6, 3, v29
	v_and_b32_e32 v6, 7, v0
	v_min_u32_e32 v35, 0x180, v2
	v_add_u32_e32 v36, 12, v8
	v_min_u32_e32 v2, 0x168, v2
	v_mul_u32_u24_e32 v34, 3, v6
	v_add_u32_e32 v37, 24, v2
	v_sub_u32_e32 v2, v36, v35
	v_min_i32_e32 v39, v34, v2
	v_and_b32_e32 v2, 0x70, v0
	v_cndmask_b32_e64 v31, 0, v9, s[0:1]
	v_sub_u32_e32 v9, v37, v36
	v_mul_u32_u24_e32 v2, 3, v2
	v_sub_u32_e32 v14, v34, v9
	v_cmp_ge_i32_e64 s[2:3], v34, v9
	v_min_u32_e32 v9, 0x168, v2
	v_mad_u32_u24 v40, v6, 3, v36
	v_and_b32_e32 v6, 15, v0
	v_min_u32_e32 v42, 0x180, v2
	v_add_u32_e32 v43, 24, v9
	v_min_u32_e32 v2, 0x150, v2
	v_mul_u32_u24_e32 v41, 3, v6
	v_add_u32_e32 v44, 48, v2
	v_sub_u32_e32 v2, v43, v42
	v_min_i32_e32 v46, v41, v2
	v_and_b32_e32 v2, 0x60, v0
	v_cndmask_b32_e64 v38, 0, v14, s[2:3]
	;; [unrolled: 16-line block ×3, first 2 shown]
	v_sub_u32_e32 v15, v51, v50
	v_mul_u32_u24_e32 v2, 3, v2
	v_sub_u32_e32 v16, v48, v15
	v_cmp_ge_i32_e64 s[6:7], v48, v15
	v_min_u32_e32 v15, 0x120, v2
	v_mad_u32_u24 v54, v6, 3, v50
	v_and_b32_e32 v6, 63, v0
	v_min_u32_e32 v56, 0x180, v2
	v_add_u32_e32 v57, 0x60, v15
	v_min_u32_e32 v2, 0xc0, v2
	v_mul_u32_u24_e32 v55, 3, v6
	v_add_u32_e32 v59, 0xc0, v2
	v_sub_u32_e32 v2, v57, v56
	v_cndmask_b32_e64 v52, 0, v16, s[6:7]
	v_sub_u32_e32 v16, v59, v57
	v_min_i32_e32 v61, v55, v2
	v_mov_b32_e32 v2, 0x60
	v_mul_u32_u24_e32 v1, 3, v0
	v_mov_b32_e32 v58, 0xc0
	v_sub_u32_e32 v17, v55, v16
	v_cmp_ge_i32_e64 s[8:9], v55, v16
	v_lshl_add_u32 v64, v8, 3, v2
	v_mov_b32_e32 v2, 0x180
	v_cndmask_b32_e64 v60, 0, v17, s[8:9]
	v_sub_u32_e64 v63, v1, v58 clamp
	v_lshl_add_u32 v65, v14, 3, v2
	v_mov_b32_e32 v2, 0x300
	v_min_i32_e32 v67, 0xc0, v1
	s_movk_i32 s33, 0x180
	v_lshlrev_b32_e32 v20, 3, v1
	v_cmp_lt_i32_e32 vcc, v25, v26
	v_cmp_lt_i32_e64 s[0:1], v31, v32
	v_cmp_lt_i32_e64 s[2:3], v38, v39
	;; [unrolled: 1-line block ×5, first 2 shown]
	v_mad_u32_u24 v62, v6, 3, v57
	v_lshl_add_u32 v66, v15, 3, v2
	v_cmp_lt_i32_e64 s[10:11], v63, v67
	v_lshl_add_u32 v68, v3, 3, 24
	v_lshl_add_u32 v69, v7, 3, 48
	;; [unrolled: 1-line block ×3, first 2 shown]
	v_lshlrev_b32_e32 v71, 3, v22
	v_add_u32_e32 v72, v23, v21
	v_lshlrev_b32_e32 v73, 3, v28
	v_lshlrev_b32_e32 v74, 3, v35
	;; [unrolled: 1-line block ×5, first 2 shown]
	v_mad_u32_u24 v78, v0, 3, v58
	v_mov_b32_e32 v79, 0x600
	s_waitcnt vmcnt(2)
	v_lshl_add_u64 v[6:7], v[4:5], 0, 1
	s_waitcnt vmcnt(1)
	v_lshl_add_u64 v[8:9], v[10:11], 0, 1
	;; [unrolled: 2-line block ×3, first 2 shown]
	s_branch .LBB135_2
.LBB135_1:                              ;   in Loop: Header=BB135_2 Depth=1
	s_or_b64 exec, exec, s[16:17]
	v_cmp_ge_i32_e64 s[16:17], v83, v58
	s_waitcnt lgkmcnt(0)
	v_cmp_lt_i64_e64 s[18:19], v[18:19], v[16:17]
	v_cndmask_b32_e64 v5, v5, v15, s[12:13]
	v_cndmask_b32_e64 v4, v4, v14, s[12:13]
	;; [unrolled: 1-line block ×3, first 2 shown]
	v_cmp_gt_i32_e64 s[12:13], s33, v82
	s_or_b64 s[16:17], s[16:17], s[18:19]
	s_and_b64 s[12:13], s[12:13], s[16:17]
	v_cndmask_b32_e64 v15, v83, v82, s[12:13]
	s_barrier
	ds_write2_b64 v20, v[2:3], v[8:9] offset1:1
	ds_write_b64 v20, v[6:7] offset:16
	v_lshlrev_b32_e32 v2, 3, v14
	v_lshlrev_b32_e32 v3, 3, v84
	s_waitcnt lgkmcnt(0)
	s_barrier
	v_lshlrev_b32_e32 v14, 3, v15
	ds_read_b64 v[6:7], v2
	ds_read_b64 v[8:9], v3
	ds_read_b64 v[2:3], v14
	s_add_i32 s31, s31, 1
	v_cndmask_b32_e64 v11, v11, v13, s[14:15]
	v_cndmask_b32_e64 v13, v17, v19, s[12:13]
	;; [unrolled: 1-line block ×3, first 2 shown]
	s_cmp_eq_u32 s31, 10
	v_cndmask_b32_e64 v12, v16, v18, s[12:13]
	s_cbranch_scc1 .LBB135_86
.LBB135_2:                              ; =>This Loop Header: Depth=1
                                        ;     Child Loop BB135_4 Depth 2
                                        ;     Child Loop BB135_16 Depth 2
	;; [unrolled: 1-line block ×7, first 2 shown]
	v_cmp_lt_i64_e64 s[12:13], v[10:11], v[4:5]
	v_cmp_gt_i64_e64 s[14:15], v[10:11], v[4:5]
	s_nop 0
	v_cndmask_b32_e64 v15, v5, v11, s[12:13]
	v_cndmask_b32_e64 v14, v4, v10, s[12:13]
	v_cndmask_b32_e64 v16, v11, v5, s[12:13]
	v_cndmask_b32_e64 v17, v10, v4, s[12:13]
	v_cndmask_b32_e64 v5, v5, v11, s[14:15]
	v_cndmask_b32_e64 v4, v4, v10, s[14:15]
	v_cmp_lt_i64_e64 s[14:15], v[12:13], v[4:5]
	s_barrier
	s_nop 0
	v_cndmask_b32_e64 v11, v13, v5, s[14:15]
	v_cndmask_b32_e64 v10, v12, v4, s[14:15]
	;; [unrolled: 1-line block ×6, first 2 shown]
	v_cmp_lt_i64_e64 s[16:17], v[4:5], v[14:15]
	s_nop 1
	v_cndmask_b32_e64 v13, v16, v15, s[16:17]
	v_cndmask_b32_e64 v12, v17, v14, s[16:17]
	;; [unrolled: 1-line block ×4, first 2 shown]
	ds_write2_b64 v20, v[4:5], v[12:13] offset1:1
	ds_write_b64 v20, v[10:11] offset:16
	v_mov_b32_e32 v12, v25
	s_waitcnt lgkmcnt(0)
	s_barrier
	s_and_saveexec_b64 s[20:21], vcc
	s_cbranch_execz .LBB135_6
; %bb.3:                                ;   in Loop: Header=BB135_2 Depth=1
	s_mov_b64 s[22:23], 0
	v_mov_b32_e32 v12, v25
	v_mov_b32_e32 v4, v26
.LBB135_4:                              ;   Parent Loop BB135_2 Depth=1
                                        ; =>  This Inner Loop Header: Depth=2
	v_sub_u32_e32 v5, v4, v12
	v_lshrrev_b32_e32 v10, 31, v5
	v_add_u32_e32 v5, v5, v10
	v_ashrrev_i32_e32 v5, 1, v5
	v_add_u32_e32 v5, v5, v12
	v_lshl_add_u32 v10, v5, 3, v71
	v_xad_u32 v11, v5, -1, v21
	v_lshl_add_u32 v13, v11, 3, v68
	ds_read_b64 v[10:11], v10
	ds_read_b64 v[14:15], v13
	v_add_u32_e32 v13, 1, v5
	s_waitcnt lgkmcnt(0)
	v_cmp_lt_i64_e64 s[18:19], v[14:15], v[10:11]
	s_nop 1
	v_cndmask_b32_e64 v4, v4, v5, s[18:19]
	v_cndmask_b32_e64 v12, v13, v12, s[18:19]
	v_cmp_ge_i32_e64 s[18:19], v12, v4
	s_or_b64 s[22:23], s[18:19], s[22:23]
	s_andn2_b64 exec, exec, s[22:23]
	s_cbranch_execnz .LBB135_4
; %bb.5:                                ;   in Loop: Header=BB135_2 Depth=1
	s_or_b64 exec, exec, s[22:23]
.LBB135_6:                              ;   in Loop: Header=BB135_2 Depth=1
	s_or_b64 exec, exec, s[20:21]
	v_sub_u32_e32 v80, v72, v12
	v_lshl_add_u32 v15, v12, 3, v71
	v_lshlrev_b32_e32 v14, 3, v80
	ds_read_b64 v[4:5], v15
	ds_read_b64 v[10:11], v14
	v_add_u32_e32 v81, v12, v22
	v_cmp_le_i32_e64 s[20:21], v23, v81
	v_cmp_gt_i32_e64 s[18:19], v24, v80
                                        ; implicit-def: $vgpr12_vgpr13
	s_waitcnt lgkmcnt(0)
	v_cmp_lt_i64_e64 s[22:23], v[10:11], v[4:5]
	s_or_b64 s[20:21], s[20:21], s[22:23]
	s_and_b64 s[18:19], s[18:19], s[20:21]
	s_xor_b64 s[20:21], s[18:19], -1
	s_and_saveexec_b64 s[22:23], s[20:21]
	s_xor_b64 s[20:21], exec, s[22:23]
	s_cbranch_execz .LBB135_8
; %bb.7:                                ;   in Loop: Header=BB135_2 Depth=1
	ds_read_b64 v[12:13], v15 offset:8
                                        ; implicit-def: $vgpr14
.LBB135_8:                              ;   in Loop: Header=BB135_2 Depth=1
	s_or_saveexec_b64 s[20:21], s[20:21]
	v_mov_b64_e32 v[16:17], v[10:11]
	s_xor_b64 exec, exec, s[20:21]
	s_cbranch_execz .LBB135_10
; %bb.9:                                ;   in Loop: Header=BB135_2 Depth=1
	ds_read_b64 v[16:17], v14 offset:8
	s_waitcnt lgkmcnt(1)
	v_mov_b64_e32 v[12:13], v[4:5]
.LBB135_10:                             ;   in Loop: Header=BB135_2 Depth=1
	s_or_b64 exec, exec, s[20:21]
	v_add_u32_e32 v15, 1, v81
	v_add_u32_e32 v14, 1, v80
	v_cndmask_b32_e64 v83, v15, v81, s[18:19]
	v_cndmask_b32_e64 v82, v80, v14, s[18:19]
	v_cmp_ge_i32_e64 s[22:23], v83, v23
	s_waitcnt lgkmcnt(0)
	v_cmp_lt_i64_e64 s[24:25], v[16:17], v[12:13]
	v_cmp_lt_i32_e64 s[20:21], v82, v24
	s_or_b64 s[22:23], s[22:23], s[24:25]
	s_and_b64 s[20:21], s[20:21], s[22:23]
	s_xor_b64 s[22:23], s[20:21], -1
                                        ; implicit-def: $vgpr14_vgpr15
	s_and_saveexec_b64 s[24:25], s[22:23]
	s_xor_b64 s[22:23], exec, s[24:25]
	s_cbranch_execz .LBB135_12
; %bb.11:                               ;   in Loop: Header=BB135_2 Depth=1
	v_lshlrev_b32_e32 v14, 3, v83
	ds_read_b64 v[14:15], v14 offset:8
.LBB135_12:                             ;   in Loop: Header=BB135_2 Depth=1
	s_or_saveexec_b64 s[22:23], s[22:23]
	v_mov_b64_e32 v[18:19], v[16:17]
	s_xor_b64 exec, exec, s[22:23]
	s_cbranch_execz .LBB135_14
; %bb.13:                               ;   in Loop: Header=BB135_2 Depth=1
	s_waitcnt lgkmcnt(0)
	v_lshlrev_b32_e32 v14, 3, v82
	ds_read_b64 v[18:19], v14 offset:8
	v_mov_b64_e32 v[14:15], v[12:13]
.LBB135_14:                             ;   in Loop: Header=BB135_2 Depth=1
	s_or_b64 exec, exec, s[22:23]
	v_cndmask_b32_e64 v13, v13, v17, s[20:21]
	v_cndmask_b32_e64 v12, v12, v16, s[20:21]
	v_add_u32_e32 v16, 1, v82
	v_add_u32_e32 v17, 1, v83
	v_cndmask_b32_e64 v16, v82, v16, s[20:21]
	v_cndmask_b32_e64 v17, v17, v83, s[20:21]
	;; [unrolled: 1-line block ×18, first 2 shown]
	v_cmp_ge_i32_e64 s[14:15], v17, v23
	s_waitcnt lgkmcnt(0)
	v_cmp_lt_i64_e64 s[16:17], v[18:19], v[14:15]
	v_cmp_lt_i32_e64 s[12:13], v16, v24
	s_or_b64 s[14:15], s[14:15], s[16:17]
	s_and_b64 s[12:13], s[12:13], s[14:15]
	v_cndmask_b32_e64 v8, v14, v18, s[12:13]
	v_cndmask_b32_e64 v14, v17, v16, s[12:13]
	s_barrier
	ds_write2_b64 v20, v[6:7], v[2:3] offset1:1
	ds_write_b64 v20, v[4:5] offset:16
	v_lshlrev_b32_e32 v2, 3, v80
	v_lshlrev_b32_e32 v4, 3, v82
	;; [unrolled: 1-line block ×3, first 2 shown]
	s_waitcnt lgkmcnt(0)
	s_barrier
	ds_read_b64 v[2:3], v2
	ds_read_b64 v[6:7], v4
	;; [unrolled: 1-line block ×3, first 2 shown]
	v_cndmask_b32_e64 v9, v15, v19, s[12:13]
	s_waitcnt lgkmcnt(0)
	s_barrier
	ds_write2_b64 v20, v[10:11], v[12:13] offset1:1
	ds_write_b64 v20, v[8:9] offset:16
	v_mov_b32_e32 v12, v31
	s_waitcnt lgkmcnt(0)
	s_barrier
	s_and_saveexec_b64 s[14:15], s[0:1]
	s_cbranch_execz .LBB135_18
; %bb.15:                               ;   in Loop: Header=BB135_2 Depth=1
	s_mov_b64 s[16:17], 0
	v_mov_b32_e32 v12, v31
	v_mov_b32_e32 v8, v32
.LBB135_16:                             ;   Parent Loop BB135_2 Depth=1
                                        ; =>  This Inner Loop Header: Depth=2
	v_sub_u32_e32 v9, v8, v12
	v_lshrrev_b32_e32 v10, 31, v9
	v_add_u32_e32 v9, v9, v10
	v_ashrrev_i32_e32 v9, 1, v9
	v_add_u32_e32 v9, v9, v12
	v_lshl_add_u32 v10, v9, 3, v73
	v_xad_u32 v11, v9, -1, v27
	v_lshl_add_u32 v13, v11, 3, v69
	ds_read_b64 v[10:11], v10
	ds_read_b64 v[14:15], v13
	v_add_u32_e32 v13, 1, v9
	s_waitcnt lgkmcnt(0)
	v_cmp_lt_i64_e64 s[12:13], v[14:15], v[10:11]
	s_nop 1
	v_cndmask_b32_e64 v8, v8, v9, s[12:13]
	v_cndmask_b32_e64 v12, v13, v12, s[12:13]
	v_cmp_ge_i32_e64 s[12:13], v12, v8
	s_or_b64 s[16:17], s[12:13], s[16:17]
	s_andn2_b64 exec, exec, s[16:17]
	s_cbranch_execnz .LBB135_16
; %bb.17:                               ;   in Loop: Header=BB135_2 Depth=1
	s_or_b64 exec, exec, s[16:17]
.LBB135_18:                             ;   in Loop: Header=BB135_2 Depth=1
	s_or_b64 exec, exec, s[14:15]
	v_sub_u32_e32 v80, v33, v12
	v_lshl_add_u32 v14, v12, 3, v73
	v_lshlrev_b32_e32 v16, 3, v80
	ds_read_b64 v[8:9], v14
	ds_read_b64 v[10:11], v16
	v_add_u32_e32 v81, v12, v28
	v_cmp_le_i32_e64 s[14:15], v29, v81
	v_cmp_gt_i32_e64 s[12:13], v30, v80
                                        ; implicit-def: $vgpr12_vgpr13
	s_waitcnt lgkmcnt(0)
	v_cmp_lt_i64_e64 s[16:17], v[10:11], v[8:9]
	s_or_b64 s[14:15], s[14:15], s[16:17]
	s_and_b64 s[12:13], s[12:13], s[14:15]
	s_xor_b64 s[14:15], s[12:13], -1
	s_and_saveexec_b64 s[16:17], s[14:15]
	s_xor_b64 s[14:15], exec, s[16:17]
	s_cbranch_execz .LBB135_20
; %bb.19:                               ;   in Loop: Header=BB135_2 Depth=1
	ds_read_b64 v[12:13], v14 offset:8
                                        ; implicit-def: $vgpr16
.LBB135_20:                             ;   in Loop: Header=BB135_2 Depth=1
	s_or_saveexec_b64 s[14:15], s[14:15]
	v_mov_b64_e32 v[14:15], v[10:11]
	s_xor_b64 exec, exec, s[14:15]
	s_cbranch_execz .LBB135_22
; %bb.21:                               ;   in Loop: Header=BB135_2 Depth=1
	ds_read_b64 v[14:15], v16 offset:8
	s_waitcnt lgkmcnt(1)
	v_mov_b64_e32 v[12:13], v[8:9]
.LBB135_22:                             ;   in Loop: Header=BB135_2 Depth=1
	s_or_b64 exec, exec, s[14:15]
	v_add_u32_e32 v17, 1, v81
	v_add_u32_e32 v16, 1, v80
	v_cndmask_b32_e64 v83, v17, v81, s[12:13]
	v_cndmask_b32_e64 v82, v80, v16, s[12:13]
	v_cmp_ge_i32_e64 s[16:17], v83, v29
	s_waitcnt lgkmcnt(0)
	v_cmp_lt_i64_e64 s[18:19], v[14:15], v[12:13]
	v_cmp_lt_i32_e64 s[14:15], v82, v30
	s_or_b64 s[16:17], s[16:17], s[18:19]
	s_and_b64 s[14:15], s[14:15], s[16:17]
	s_xor_b64 s[16:17], s[14:15], -1
                                        ; implicit-def: $vgpr16_vgpr17
	s_and_saveexec_b64 s[18:19], s[16:17]
	s_xor_b64 s[16:17], exec, s[18:19]
	s_cbranch_execz .LBB135_24
; %bb.23:                               ;   in Loop: Header=BB135_2 Depth=1
	v_lshlrev_b32_e32 v16, 3, v83
	ds_read_b64 v[16:17], v16 offset:8
.LBB135_24:                             ;   in Loop: Header=BB135_2 Depth=1
	s_or_saveexec_b64 s[16:17], s[16:17]
	v_mov_b64_e32 v[18:19], v[14:15]
	s_xor_b64 exec, exec, s[16:17]
	s_cbranch_execz .LBB135_26
; %bb.25:                               ;   in Loop: Header=BB135_2 Depth=1
	s_waitcnt lgkmcnt(0)
	v_lshlrev_b32_e32 v16, 3, v82
	ds_read_b64 v[18:19], v16 offset:8
	v_mov_b64_e32 v[16:17], v[12:13]
.LBB135_26:                             ;   in Loop: Header=BB135_2 Depth=1
	s_or_b64 exec, exec, s[16:17]
	v_cndmask_b32_e64 v13, v13, v15, s[14:15]
	v_add_u32_e32 v15, 1, v83
	v_cndmask_b32_e64 v12, v12, v14, s[14:15]
	v_add_u32_e32 v14, 1, v82
	v_cndmask_b32_e64 v15, v15, v83, s[14:15]
	v_cndmask_b32_e64 v14, v82, v14, s[14:15]
	v_cndmask_b32_e64 v82, v83, v82, s[14:15]
	v_cmp_ge_i32_e64 s[14:15], v15, v29
	s_waitcnt lgkmcnt(0)
	v_cmp_lt_i64_e64 s[16:17], v[18:19], v[16:17]
	v_cndmask_b32_e64 v9, v9, v11, s[12:13]
	v_cndmask_b32_e64 v8, v8, v10, s[12:13]
	;; [unrolled: 1-line block ×3, first 2 shown]
	v_cmp_lt_i32_e64 s[12:13], v14, v30
	s_or_b64 s[14:15], s[14:15], s[16:17]
	s_and_b64 s[12:13], s[12:13], s[14:15]
	v_cndmask_b32_e64 v14, v15, v14, s[12:13]
	s_barrier
	ds_write2_b64 v20, v[2:3], v[6:7] offset1:1
	ds_write_b64 v20, v[4:5] offset:16
	v_lshlrev_b32_e32 v2, 3, v80
	v_lshlrev_b32_e32 v4, 3, v82
	;; [unrolled: 1-line block ×3, first 2 shown]
	s_waitcnt lgkmcnt(0)
	s_barrier
	ds_read_b64 v[2:3], v2
	ds_read_b64 v[6:7], v4
	;; [unrolled: 1-line block ×3, first 2 shown]
	v_cndmask_b32_e64 v11, v17, v19, s[12:13]
	v_cndmask_b32_e64 v10, v16, v18, s[12:13]
	s_waitcnt lgkmcnt(0)
	s_barrier
	ds_write2_b64 v20, v[8:9], v[12:13] offset1:1
	ds_write_b64 v20, v[10:11] offset:16
	v_mov_b32_e32 v12, v38
	s_waitcnt lgkmcnt(0)
	s_barrier
	s_and_saveexec_b64 s[14:15], s[2:3]
	s_cbranch_execz .LBB135_30
; %bb.27:                               ;   in Loop: Header=BB135_2 Depth=1
	s_mov_b64 s[16:17], 0
	v_mov_b32_e32 v12, v38
	v_mov_b32_e32 v8, v39
.LBB135_28:                             ;   Parent Loop BB135_2 Depth=1
                                        ; =>  This Inner Loop Header: Depth=2
	v_sub_u32_e32 v9, v8, v12
	v_lshrrev_b32_e32 v10, 31, v9
	v_add_u32_e32 v9, v9, v10
	v_ashrrev_i32_e32 v9, 1, v9
	v_add_u32_e32 v9, v9, v12
	v_lshl_add_u32 v10, v9, 3, v74
	v_xad_u32 v11, v9, -1, v34
	v_lshl_add_u32 v13, v11, 3, v64
	ds_read_b64 v[10:11], v10
	ds_read_b64 v[14:15], v13
	v_add_u32_e32 v13, 1, v9
	s_waitcnt lgkmcnt(0)
	v_cmp_lt_i64_e64 s[12:13], v[14:15], v[10:11]
	s_nop 1
	v_cndmask_b32_e64 v8, v8, v9, s[12:13]
	v_cndmask_b32_e64 v12, v13, v12, s[12:13]
	v_cmp_ge_i32_e64 s[12:13], v12, v8
	s_or_b64 s[16:17], s[12:13], s[16:17]
	s_andn2_b64 exec, exec, s[16:17]
	s_cbranch_execnz .LBB135_28
; %bb.29:                               ;   in Loop: Header=BB135_2 Depth=1
	s_or_b64 exec, exec, s[16:17]
.LBB135_30:                             ;   in Loop: Header=BB135_2 Depth=1
	s_or_b64 exec, exec, s[14:15]
	v_sub_u32_e32 v80, v40, v12
	v_lshl_add_u32 v14, v12, 3, v74
	v_lshlrev_b32_e32 v16, 3, v80
	ds_read_b64 v[8:9], v14
	ds_read_b64 v[10:11], v16
	v_add_u32_e32 v81, v12, v35
	v_cmp_le_i32_e64 s[14:15], v36, v81
	v_cmp_gt_i32_e64 s[12:13], v37, v80
                                        ; implicit-def: $vgpr12_vgpr13
	s_waitcnt lgkmcnt(0)
	v_cmp_lt_i64_e64 s[16:17], v[10:11], v[8:9]
	s_or_b64 s[14:15], s[14:15], s[16:17]
	s_and_b64 s[12:13], s[12:13], s[14:15]
	s_xor_b64 s[14:15], s[12:13], -1
	s_and_saveexec_b64 s[16:17], s[14:15]
	s_xor_b64 s[14:15], exec, s[16:17]
	s_cbranch_execz .LBB135_32
; %bb.31:                               ;   in Loop: Header=BB135_2 Depth=1
	ds_read_b64 v[12:13], v14 offset:8
                                        ; implicit-def: $vgpr16
.LBB135_32:                             ;   in Loop: Header=BB135_2 Depth=1
	s_or_saveexec_b64 s[14:15], s[14:15]
	v_mov_b64_e32 v[14:15], v[10:11]
	s_xor_b64 exec, exec, s[14:15]
	s_cbranch_execz .LBB135_34
; %bb.33:                               ;   in Loop: Header=BB135_2 Depth=1
	ds_read_b64 v[14:15], v16 offset:8
	s_waitcnt lgkmcnt(1)
	v_mov_b64_e32 v[12:13], v[8:9]
.LBB135_34:                             ;   in Loop: Header=BB135_2 Depth=1
	s_or_b64 exec, exec, s[14:15]
	v_add_u32_e32 v17, 1, v81
	v_add_u32_e32 v16, 1, v80
	v_cndmask_b32_e64 v83, v17, v81, s[12:13]
	v_cndmask_b32_e64 v82, v80, v16, s[12:13]
	v_cmp_ge_i32_e64 s[16:17], v83, v36
	s_waitcnt lgkmcnt(0)
	v_cmp_lt_i64_e64 s[18:19], v[14:15], v[12:13]
	v_cmp_lt_i32_e64 s[14:15], v82, v37
	s_or_b64 s[16:17], s[16:17], s[18:19]
	s_and_b64 s[14:15], s[14:15], s[16:17]
	s_xor_b64 s[16:17], s[14:15], -1
                                        ; implicit-def: $vgpr16_vgpr17
	s_and_saveexec_b64 s[18:19], s[16:17]
	s_xor_b64 s[16:17], exec, s[18:19]
	s_cbranch_execz .LBB135_36
; %bb.35:                               ;   in Loop: Header=BB135_2 Depth=1
	v_lshlrev_b32_e32 v16, 3, v83
	ds_read_b64 v[16:17], v16 offset:8
.LBB135_36:                             ;   in Loop: Header=BB135_2 Depth=1
	s_or_saveexec_b64 s[16:17], s[16:17]
	v_mov_b64_e32 v[18:19], v[14:15]
	s_xor_b64 exec, exec, s[16:17]
	s_cbranch_execz .LBB135_38
; %bb.37:                               ;   in Loop: Header=BB135_2 Depth=1
	s_waitcnt lgkmcnt(0)
	v_lshlrev_b32_e32 v16, 3, v82
	ds_read_b64 v[18:19], v16 offset:8
	v_mov_b64_e32 v[16:17], v[12:13]
.LBB135_38:                             ;   in Loop: Header=BB135_2 Depth=1
	s_or_b64 exec, exec, s[16:17]
	v_cndmask_b32_e64 v13, v13, v15, s[14:15]
	v_add_u32_e32 v15, 1, v83
	v_cndmask_b32_e64 v12, v12, v14, s[14:15]
	v_add_u32_e32 v14, 1, v82
	v_cndmask_b32_e64 v15, v15, v83, s[14:15]
	v_cndmask_b32_e64 v14, v82, v14, s[14:15]
	;; [unrolled: 1-line block ×3, first 2 shown]
	v_cmp_ge_i32_e64 s[14:15], v15, v36
	s_waitcnt lgkmcnt(0)
	v_cmp_lt_i64_e64 s[16:17], v[18:19], v[16:17]
	v_cndmask_b32_e64 v9, v9, v11, s[12:13]
	v_cndmask_b32_e64 v8, v8, v10, s[12:13]
	v_cndmask_b32_e64 v80, v81, v80, s[12:13]
	v_cmp_lt_i32_e64 s[12:13], v14, v37
	s_or_b64 s[14:15], s[14:15], s[16:17]
	s_and_b64 s[12:13], s[12:13], s[14:15]
	v_cndmask_b32_e64 v14, v15, v14, s[12:13]
	s_barrier
	ds_write2_b64 v20, v[2:3], v[6:7] offset1:1
	ds_write_b64 v20, v[4:5] offset:16
	v_lshlrev_b32_e32 v2, 3, v80
	v_lshlrev_b32_e32 v4, 3, v82
	;; [unrolled: 1-line block ×3, first 2 shown]
	s_waitcnt lgkmcnt(0)
	s_barrier
	ds_read_b64 v[2:3], v2
	ds_read_b64 v[6:7], v4
	;; [unrolled: 1-line block ×3, first 2 shown]
	v_cndmask_b32_e64 v11, v17, v19, s[12:13]
	v_cndmask_b32_e64 v10, v16, v18, s[12:13]
	s_waitcnt lgkmcnt(0)
	s_barrier
	ds_write2_b64 v20, v[8:9], v[12:13] offset1:1
	ds_write_b64 v20, v[10:11] offset:16
	v_mov_b32_e32 v12, v45
	s_waitcnt lgkmcnt(0)
	s_barrier
	s_and_saveexec_b64 s[14:15], s[4:5]
	s_cbranch_execz .LBB135_42
; %bb.39:                               ;   in Loop: Header=BB135_2 Depth=1
	s_mov_b64 s[16:17], 0
	v_mov_b32_e32 v12, v45
	v_mov_b32_e32 v8, v46
.LBB135_40:                             ;   Parent Loop BB135_2 Depth=1
                                        ; =>  This Inner Loop Header: Depth=2
	v_sub_u32_e32 v9, v8, v12
	v_lshrrev_b32_e32 v10, 31, v9
	v_add_u32_e32 v9, v9, v10
	v_ashrrev_i32_e32 v9, 1, v9
	v_add_u32_e32 v9, v9, v12
	v_lshl_add_u32 v10, v9, 3, v75
	v_xad_u32 v11, v9, -1, v41
	v_lshl_add_u32 v13, v11, 3, v70
	ds_read_b64 v[10:11], v10
	ds_read_b64 v[14:15], v13
	v_add_u32_e32 v13, 1, v9
	s_waitcnt lgkmcnt(0)
	v_cmp_lt_i64_e64 s[12:13], v[14:15], v[10:11]
	s_nop 1
	v_cndmask_b32_e64 v8, v8, v9, s[12:13]
	v_cndmask_b32_e64 v12, v13, v12, s[12:13]
	v_cmp_ge_i32_e64 s[12:13], v12, v8
	s_or_b64 s[16:17], s[12:13], s[16:17]
	s_andn2_b64 exec, exec, s[16:17]
	s_cbranch_execnz .LBB135_40
; %bb.41:                               ;   in Loop: Header=BB135_2 Depth=1
	s_or_b64 exec, exec, s[16:17]
.LBB135_42:                             ;   in Loop: Header=BB135_2 Depth=1
	s_or_b64 exec, exec, s[14:15]
	v_sub_u32_e32 v80, v47, v12
	v_lshl_add_u32 v14, v12, 3, v75
	v_lshlrev_b32_e32 v16, 3, v80
	ds_read_b64 v[8:9], v14
	ds_read_b64 v[10:11], v16
	v_add_u32_e32 v81, v12, v42
	v_cmp_le_i32_e64 s[14:15], v43, v81
	v_cmp_gt_i32_e64 s[12:13], v44, v80
                                        ; implicit-def: $vgpr12_vgpr13
	s_waitcnt lgkmcnt(0)
	v_cmp_lt_i64_e64 s[16:17], v[10:11], v[8:9]
	s_or_b64 s[14:15], s[14:15], s[16:17]
	s_and_b64 s[12:13], s[12:13], s[14:15]
	s_xor_b64 s[14:15], s[12:13], -1
	s_and_saveexec_b64 s[16:17], s[14:15]
	s_xor_b64 s[14:15], exec, s[16:17]
	s_cbranch_execz .LBB135_44
; %bb.43:                               ;   in Loop: Header=BB135_2 Depth=1
	ds_read_b64 v[12:13], v14 offset:8
                                        ; implicit-def: $vgpr16
.LBB135_44:                             ;   in Loop: Header=BB135_2 Depth=1
	s_or_saveexec_b64 s[14:15], s[14:15]
	v_mov_b64_e32 v[14:15], v[10:11]
	s_xor_b64 exec, exec, s[14:15]
	s_cbranch_execz .LBB135_46
; %bb.45:                               ;   in Loop: Header=BB135_2 Depth=1
	ds_read_b64 v[14:15], v16 offset:8
	s_waitcnt lgkmcnt(1)
	v_mov_b64_e32 v[12:13], v[8:9]
.LBB135_46:                             ;   in Loop: Header=BB135_2 Depth=1
	s_or_b64 exec, exec, s[14:15]
	v_add_u32_e32 v17, 1, v81
	v_add_u32_e32 v16, 1, v80
	v_cndmask_b32_e64 v83, v17, v81, s[12:13]
	v_cndmask_b32_e64 v82, v80, v16, s[12:13]
	v_cmp_ge_i32_e64 s[16:17], v83, v43
	s_waitcnt lgkmcnt(0)
	v_cmp_lt_i64_e64 s[18:19], v[14:15], v[12:13]
	v_cmp_lt_i32_e64 s[14:15], v82, v44
	s_or_b64 s[16:17], s[16:17], s[18:19]
	s_and_b64 s[14:15], s[14:15], s[16:17]
	s_xor_b64 s[16:17], s[14:15], -1
                                        ; implicit-def: $vgpr16_vgpr17
	s_and_saveexec_b64 s[18:19], s[16:17]
	s_xor_b64 s[16:17], exec, s[18:19]
	s_cbranch_execz .LBB135_48
; %bb.47:                               ;   in Loop: Header=BB135_2 Depth=1
	v_lshlrev_b32_e32 v16, 3, v83
	ds_read_b64 v[16:17], v16 offset:8
.LBB135_48:                             ;   in Loop: Header=BB135_2 Depth=1
	s_or_saveexec_b64 s[16:17], s[16:17]
	v_mov_b64_e32 v[18:19], v[14:15]
	s_xor_b64 exec, exec, s[16:17]
	s_cbranch_execz .LBB135_50
; %bb.49:                               ;   in Loop: Header=BB135_2 Depth=1
	s_waitcnt lgkmcnt(0)
	v_lshlrev_b32_e32 v16, 3, v82
	ds_read_b64 v[18:19], v16 offset:8
	v_mov_b64_e32 v[16:17], v[12:13]
.LBB135_50:                             ;   in Loop: Header=BB135_2 Depth=1
	s_or_b64 exec, exec, s[16:17]
	v_cndmask_b32_e64 v13, v13, v15, s[14:15]
	v_add_u32_e32 v15, 1, v83
	v_cndmask_b32_e64 v12, v12, v14, s[14:15]
	v_add_u32_e32 v14, 1, v82
	v_cndmask_b32_e64 v15, v15, v83, s[14:15]
	v_cndmask_b32_e64 v14, v82, v14, s[14:15]
	;; [unrolled: 1-line block ×3, first 2 shown]
	v_cmp_ge_i32_e64 s[14:15], v15, v43
	s_waitcnt lgkmcnt(0)
	v_cmp_lt_i64_e64 s[16:17], v[18:19], v[16:17]
	v_cndmask_b32_e64 v9, v9, v11, s[12:13]
	v_cndmask_b32_e64 v8, v8, v10, s[12:13]
	;; [unrolled: 1-line block ×3, first 2 shown]
	v_cmp_lt_i32_e64 s[12:13], v14, v44
	s_or_b64 s[14:15], s[14:15], s[16:17]
	s_and_b64 s[12:13], s[12:13], s[14:15]
	v_cndmask_b32_e64 v14, v15, v14, s[12:13]
	s_barrier
	ds_write2_b64 v20, v[2:3], v[6:7] offset1:1
	ds_write_b64 v20, v[4:5] offset:16
	v_lshlrev_b32_e32 v2, 3, v80
	v_lshlrev_b32_e32 v4, 3, v82
	;; [unrolled: 1-line block ×3, first 2 shown]
	s_waitcnt lgkmcnt(0)
	s_barrier
	ds_read_b64 v[2:3], v2
	ds_read_b64 v[6:7], v4
	;; [unrolled: 1-line block ×3, first 2 shown]
	v_cndmask_b32_e64 v11, v17, v19, s[12:13]
	v_cndmask_b32_e64 v10, v16, v18, s[12:13]
	s_waitcnt lgkmcnt(0)
	s_barrier
	ds_write2_b64 v20, v[8:9], v[12:13] offset1:1
	ds_write_b64 v20, v[10:11] offset:16
	v_mov_b32_e32 v12, v52
	s_waitcnt lgkmcnt(0)
	s_barrier
	s_and_saveexec_b64 s[14:15], s[6:7]
	s_cbranch_execz .LBB135_54
; %bb.51:                               ;   in Loop: Header=BB135_2 Depth=1
	s_mov_b64 s[16:17], 0
	v_mov_b32_e32 v12, v52
	v_mov_b32_e32 v8, v53
.LBB135_52:                             ;   Parent Loop BB135_2 Depth=1
                                        ; =>  This Inner Loop Header: Depth=2
	v_sub_u32_e32 v9, v8, v12
	v_lshrrev_b32_e32 v10, 31, v9
	v_add_u32_e32 v9, v9, v10
	v_ashrrev_i32_e32 v9, 1, v9
	v_add_u32_e32 v9, v9, v12
	v_lshl_add_u32 v10, v9, 3, v76
	v_xad_u32 v11, v9, -1, v48
	v_lshl_add_u32 v13, v11, 3, v65
	ds_read_b64 v[10:11], v10
	ds_read_b64 v[14:15], v13
	v_add_u32_e32 v13, 1, v9
	s_waitcnt lgkmcnt(0)
	v_cmp_lt_i64_e64 s[12:13], v[14:15], v[10:11]
	s_nop 1
	v_cndmask_b32_e64 v8, v8, v9, s[12:13]
	v_cndmask_b32_e64 v12, v13, v12, s[12:13]
	v_cmp_ge_i32_e64 s[12:13], v12, v8
	s_or_b64 s[16:17], s[12:13], s[16:17]
	s_andn2_b64 exec, exec, s[16:17]
	s_cbranch_execnz .LBB135_52
; %bb.53:                               ;   in Loop: Header=BB135_2 Depth=1
	s_or_b64 exec, exec, s[16:17]
.LBB135_54:                             ;   in Loop: Header=BB135_2 Depth=1
	s_or_b64 exec, exec, s[14:15]
	v_sub_u32_e32 v80, v54, v12
	v_lshl_add_u32 v14, v12, 3, v76
	v_lshlrev_b32_e32 v16, 3, v80
	ds_read_b64 v[8:9], v14
	ds_read_b64 v[10:11], v16
	v_add_u32_e32 v81, v12, v49
	v_cmp_le_i32_e64 s[14:15], v50, v81
	v_cmp_gt_i32_e64 s[12:13], v51, v80
                                        ; implicit-def: $vgpr12_vgpr13
	s_waitcnt lgkmcnt(0)
	v_cmp_lt_i64_e64 s[16:17], v[10:11], v[8:9]
	s_or_b64 s[14:15], s[14:15], s[16:17]
	s_and_b64 s[12:13], s[12:13], s[14:15]
	s_xor_b64 s[14:15], s[12:13], -1
	s_and_saveexec_b64 s[16:17], s[14:15]
	s_xor_b64 s[14:15], exec, s[16:17]
	s_cbranch_execz .LBB135_56
; %bb.55:                               ;   in Loop: Header=BB135_2 Depth=1
	ds_read_b64 v[12:13], v14 offset:8
                                        ; implicit-def: $vgpr16
.LBB135_56:                             ;   in Loop: Header=BB135_2 Depth=1
	s_or_saveexec_b64 s[14:15], s[14:15]
	v_mov_b64_e32 v[14:15], v[10:11]
	s_xor_b64 exec, exec, s[14:15]
	s_cbranch_execz .LBB135_58
; %bb.57:                               ;   in Loop: Header=BB135_2 Depth=1
	ds_read_b64 v[14:15], v16 offset:8
	s_waitcnt lgkmcnt(1)
	v_mov_b64_e32 v[12:13], v[8:9]
.LBB135_58:                             ;   in Loop: Header=BB135_2 Depth=1
	s_or_b64 exec, exec, s[14:15]
	v_add_u32_e32 v17, 1, v81
	v_add_u32_e32 v16, 1, v80
	v_cndmask_b32_e64 v83, v17, v81, s[12:13]
	v_cndmask_b32_e64 v82, v80, v16, s[12:13]
	v_cmp_ge_i32_e64 s[16:17], v83, v50
	s_waitcnt lgkmcnt(0)
	v_cmp_lt_i64_e64 s[18:19], v[14:15], v[12:13]
	v_cmp_lt_i32_e64 s[14:15], v82, v51
	s_or_b64 s[16:17], s[16:17], s[18:19]
	s_and_b64 s[14:15], s[14:15], s[16:17]
	s_xor_b64 s[16:17], s[14:15], -1
                                        ; implicit-def: $vgpr16_vgpr17
	s_and_saveexec_b64 s[18:19], s[16:17]
	s_xor_b64 s[16:17], exec, s[18:19]
	s_cbranch_execz .LBB135_60
; %bb.59:                               ;   in Loop: Header=BB135_2 Depth=1
	v_lshlrev_b32_e32 v16, 3, v83
	ds_read_b64 v[16:17], v16 offset:8
.LBB135_60:                             ;   in Loop: Header=BB135_2 Depth=1
	s_or_saveexec_b64 s[16:17], s[16:17]
	v_mov_b64_e32 v[18:19], v[14:15]
	s_xor_b64 exec, exec, s[16:17]
	s_cbranch_execz .LBB135_62
; %bb.61:                               ;   in Loop: Header=BB135_2 Depth=1
	s_waitcnt lgkmcnt(0)
	v_lshlrev_b32_e32 v16, 3, v82
	ds_read_b64 v[18:19], v16 offset:8
	v_mov_b64_e32 v[16:17], v[12:13]
.LBB135_62:                             ;   in Loop: Header=BB135_2 Depth=1
	s_or_b64 exec, exec, s[16:17]
	v_cndmask_b32_e64 v13, v13, v15, s[14:15]
	v_add_u32_e32 v15, 1, v83
	v_cndmask_b32_e64 v12, v12, v14, s[14:15]
	v_add_u32_e32 v14, 1, v82
	v_cndmask_b32_e64 v15, v15, v83, s[14:15]
	v_cndmask_b32_e64 v14, v82, v14, s[14:15]
	;; [unrolled: 1-line block ×3, first 2 shown]
	v_cmp_ge_i32_e64 s[14:15], v15, v50
	s_waitcnt lgkmcnt(0)
	v_cmp_lt_i64_e64 s[16:17], v[18:19], v[16:17]
	v_cndmask_b32_e64 v9, v9, v11, s[12:13]
	v_cndmask_b32_e64 v8, v8, v10, s[12:13]
	;; [unrolled: 1-line block ×3, first 2 shown]
	v_cmp_lt_i32_e64 s[12:13], v14, v51
	s_or_b64 s[14:15], s[14:15], s[16:17]
	s_and_b64 s[12:13], s[12:13], s[14:15]
	v_cndmask_b32_e64 v14, v15, v14, s[12:13]
	s_barrier
	ds_write2_b64 v20, v[2:3], v[6:7] offset1:1
	ds_write_b64 v20, v[4:5] offset:16
	v_lshlrev_b32_e32 v2, 3, v80
	v_lshlrev_b32_e32 v4, 3, v82
	;; [unrolled: 1-line block ×3, first 2 shown]
	s_waitcnt lgkmcnt(0)
	s_barrier
	ds_read_b64 v[2:3], v2
	ds_read_b64 v[6:7], v4
	;; [unrolled: 1-line block ×3, first 2 shown]
	v_cndmask_b32_e64 v11, v17, v19, s[12:13]
	v_cndmask_b32_e64 v10, v16, v18, s[12:13]
	s_waitcnt lgkmcnt(0)
	s_barrier
	ds_write2_b64 v20, v[8:9], v[12:13] offset1:1
	ds_write_b64 v20, v[10:11] offset:16
	v_mov_b32_e32 v12, v60
	s_waitcnt lgkmcnt(0)
	s_barrier
	s_and_saveexec_b64 s[14:15], s[8:9]
	s_cbranch_execz .LBB135_66
; %bb.63:                               ;   in Loop: Header=BB135_2 Depth=1
	s_mov_b64 s[16:17], 0
	v_mov_b32_e32 v12, v60
	v_mov_b32_e32 v8, v61
.LBB135_64:                             ;   Parent Loop BB135_2 Depth=1
                                        ; =>  This Inner Loop Header: Depth=2
	v_sub_u32_e32 v9, v8, v12
	v_lshrrev_b32_e32 v10, 31, v9
	v_add_u32_e32 v9, v9, v10
	v_ashrrev_i32_e32 v9, 1, v9
	v_add_u32_e32 v9, v9, v12
	v_lshl_add_u32 v10, v9, 3, v77
	v_xad_u32 v11, v9, -1, v55
	v_lshl_add_u32 v13, v11, 3, v66
	ds_read_b64 v[10:11], v10
	ds_read_b64 v[14:15], v13
	v_add_u32_e32 v13, 1, v9
	s_waitcnt lgkmcnt(0)
	v_cmp_lt_i64_e64 s[12:13], v[14:15], v[10:11]
	s_nop 1
	v_cndmask_b32_e64 v8, v8, v9, s[12:13]
	v_cndmask_b32_e64 v12, v13, v12, s[12:13]
	v_cmp_ge_i32_e64 s[12:13], v12, v8
	s_or_b64 s[16:17], s[12:13], s[16:17]
	s_andn2_b64 exec, exec, s[16:17]
	s_cbranch_execnz .LBB135_64
; %bb.65:                               ;   in Loop: Header=BB135_2 Depth=1
	s_or_b64 exec, exec, s[16:17]
.LBB135_66:                             ;   in Loop: Header=BB135_2 Depth=1
	s_or_b64 exec, exec, s[14:15]
	v_sub_u32_e32 v80, v62, v12
	v_lshl_add_u32 v14, v12, 3, v77
	v_lshlrev_b32_e32 v16, 3, v80
	ds_read_b64 v[8:9], v14
	ds_read_b64 v[10:11], v16
	v_add_u32_e32 v81, v12, v56
	v_cmp_le_i32_e64 s[14:15], v57, v81
	v_cmp_gt_i32_e64 s[12:13], v59, v80
                                        ; implicit-def: $vgpr12_vgpr13
	s_waitcnt lgkmcnt(0)
	v_cmp_lt_i64_e64 s[16:17], v[10:11], v[8:9]
	s_or_b64 s[14:15], s[14:15], s[16:17]
	s_and_b64 s[12:13], s[12:13], s[14:15]
	s_xor_b64 s[14:15], s[12:13], -1
	s_and_saveexec_b64 s[16:17], s[14:15]
	s_xor_b64 s[14:15], exec, s[16:17]
	s_cbranch_execz .LBB135_68
; %bb.67:                               ;   in Loop: Header=BB135_2 Depth=1
	ds_read_b64 v[12:13], v14 offset:8
                                        ; implicit-def: $vgpr16
.LBB135_68:                             ;   in Loop: Header=BB135_2 Depth=1
	s_or_saveexec_b64 s[14:15], s[14:15]
	v_mov_b64_e32 v[14:15], v[10:11]
	s_xor_b64 exec, exec, s[14:15]
	s_cbranch_execz .LBB135_70
; %bb.69:                               ;   in Loop: Header=BB135_2 Depth=1
	ds_read_b64 v[14:15], v16 offset:8
	s_waitcnt lgkmcnt(1)
	v_mov_b64_e32 v[12:13], v[8:9]
.LBB135_70:                             ;   in Loop: Header=BB135_2 Depth=1
	s_or_b64 exec, exec, s[14:15]
	v_add_u32_e32 v17, 1, v81
	v_add_u32_e32 v16, 1, v80
	v_cndmask_b32_e64 v83, v17, v81, s[12:13]
	v_cndmask_b32_e64 v82, v80, v16, s[12:13]
	v_cmp_ge_i32_e64 s[16:17], v83, v57
	s_waitcnt lgkmcnt(0)
	v_cmp_lt_i64_e64 s[18:19], v[14:15], v[12:13]
	v_cmp_lt_i32_e64 s[14:15], v82, v59
	s_or_b64 s[16:17], s[16:17], s[18:19]
	s_and_b64 s[14:15], s[14:15], s[16:17]
	s_xor_b64 s[16:17], s[14:15], -1
                                        ; implicit-def: $vgpr16_vgpr17
	s_and_saveexec_b64 s[18:19], s[16:17]
	s_xor_b64 s[16:17], exec, s[18:19]
	s_cbranch_execz .LBB135_72
; %bb.71:                               ;   in Loop: Header=BB135_2 Depth=1
	v_lshlrev_b32_e32 v16, 3, v83
	ds_read_b64 v[16:17], v16 offset:8
.LBB135_72:                             ;   in Loop: Header=BB135_2 Depth=1
	s_or_saveexec_b64 s[16:17], s[16:17]
	v_mov_b64_e32 v[18:19], v[14:15]
	s_xor_b64 exec, exec, s[16:17]
	s_cbranch_execz .LBB135_74
; %bb.73:                               ;   in Loop: Header=BB135_2 Depth=1
	s_waitcnt lgkmcnt(0)
	v_lshlrev_b32_e32 v16, 3, v82
	ds_read_b64 v[18:19], v16 offset:8
	v_mov_b64_e32 v[16:17], v[12:13]
.LBB135_74:                             ;   in Loop: Header=BB135_2 Depth=1
	s_or_b64 exec, exec, s[16:17]
	v_cndmask_b32_e64 v13, v13, v15, s[14:15]
	v_add_u32_e32 v15, 1, v83
	v_cndmask_b32_e64 v12, v12, v14, s[14:15]
	v_add_u32_e32 v14, 1, v82
	v_cndmask_b32_e64 v85, v15, v83, s[14:15]
	v_cndmask_b32_e64 v84, v82, v14, s[14:15]
	;; [unrolled: 1-line block ×3, first 2 shown]
	v_cmp_ge_i32_e64 s[14:15], v85, v57
	s_waitcnt lgkmcnt(0)
	v_cmp_lt_i64_e64 s[16:17], v[18:19], v[16:17]
	v_cndmask_b32_e64 v11, v9, v11, s[12:13]
	v_cndmask_b32_e64 v10, v8, v10, s[12:13]
	;; [unrolled: 1-line block ×3, first 2 shown]
	v_cmp_lt_i32_e64 s[12:13], v84, v59
	s_or_b64 s[14:15], s[14:15], s[16:17]
	s_and_b64 s[12:13], s[12:13], s[14:15]
	v_cndmask_b32_e64 v9, v85, v84, s[12:13]
	s_barrier
	ds_write2_b64 v20, v[2:3], v[6:7] offset1:1
	ds_write_b64 v20, v[4:5] offset:16
	v_lshlrev_b32_e32 v2, 3, v8
	s_waitcnt lgkmcnt(0)
	s_barrier
	v_lshlrev_b32_e32 v4, 3, v82
	v_lshlrev_b32_e32 v5, 3, v9
	ds_read_b64 v[2:3], v2
	ds_read_b64 v[8:9], v4
	;; [unrolled: 1-line block ×3, first 2 shown]
	v_mov_b32_e32 v80, v63
	v_cndmask_b32_e64 v15, v17, v19, s[12:13]
	v_cndmask_b32_e64 v14, v16, v18, s[12:13]
	s_waitcnt lgkmcnt(0)
	s_barrier
	ds_write2_b64 v20, v[10:11], v[12:13] offset1:1
	ds_write_b64 v20, v[14:15] offset:16
	s_waitcnt lgkmcnt(0)
	s_barrier
	s_and_saveexec_b64 s[14:15], s[10:11]
	s_cbranch_execz .LBB135_78
; %bb.75:                               ;   in Loop: Header=BB135_2 Depth=1
	s_mov_b64 s[16:17], 0
	v_mov_b32_e32 v80, v63
	v_mov_b32_e32 v4, v67
.LBB135_76:                             ;   Parent Loop BB135_2 Depth=1
                                        ; =>  This Inner Loop Header: Depth=2
	v_sub_u32_e32 v5, v4, v80
	v_lshrrev_b32_e32 v10, 31, v5
	v_add_u32_e32 v5, v5, v10
	v_ashrrev_i32_e32 v5, 1, v5
	v_add_u32_e32 v5, v5, v80
	v_xad_u32 v11, v5, -1, v1
	v_lshlrev_b32_e32 v10, 3, v5
	v_lshl_add_u32 v12, v11, 3, v79
	ds_read_b64 v[10:11], v10
	ds_read_b64 v[12:13], v12
	v_add_u32_e32 v14, 1, v5
	s_waitcnt lgkmcnt(0)
	v_cmp_lt_i64_e64 s[12:13], v[12:13], v[10:11]
	s_nop 1
	v_cndmask_b32_e64 v4, v4, v5, s[12:13]
	v_cndmask_b32_e64 v80, v14, v80, s[12:13]
	v_cmp_ge_i32_e64 s[12:13], v80, v4
	s_or_b64 s[16:17], s[12:13], s[16:17]
	s_andn2_b64 exec, exec, s[16:17]
	s_cbranch_execnz .LBB135_76
; %bb.77:                               ;   in Loop: Header=BB135_2 Depth=1
	s_or_b64 exec, exec, s[16:17]
.LBB135_78:                             ;   in Loop: Header=BB135_2 Depth=1
	s_or_b64 exec, exec, s[14:15]
	v_sub_u32_e32 v81, v78, v80
	v_lshlrev_b32_e32 v12, 3, v80
	v_lshlrev_b32_e32 v16, 3, v81
	ds_read_b64 v[4:5], v12
	ds_read_b64 v[14:15], v16
	v_cmp_le_i32_e64 s[14:15], v58, v80
	v_cmp_gt_i32_e64 s[12:13], s33, v81
                                        ; implicit-def: $vgpr10_vgpr11
	s_waitcnt lgkmcnt(0)
	v_cmp_lt_i64_e64 s[16:17], v[14:15], v[4:5]
	s_or_b64 s[14:15], s[14:15], s[16:17]
	s_and_b64 s[12:13], s[12:13], s[14:15]
	s_xor_b64 s[14:15], s[12:13], -1
	s_and_saveexec_b64 s[16:17], s[14:15]
	s_xor_b64 s[14:15], exec, s[16:17]
	s_cbranch_execz .LBB135_80
; %bb.79:                               ;   in Loop: Header=BB135_2 Depth=1
	ds_read_b64 v[10:11], v12 offset:8
                                        ; implicit-def: $vgpr16
.LBB135_80:                             ;   in Loop: Header=BB135_2 Depth=1
	s_or_saveexec_b64 s[14:15], s[14:15]
	v_mov_b64_e32 v[12:13], v[14:15]
	s_xor_b64 exec, exec, s[14:15]
	s_cbranch_execz .LBB135_82
; %bb.81:                               ;   in Loop: Header=BB135_2 Depth=1
	ds_read_b64 v[12:13], v16 offset:8
	s_waitcnt lgkmcnt(1)
	v_mov_b64_e32 v[10:11], v[4:5]
.LBB135_82:                             ;   in Loop: Header=BB135_2 Depth=1
	s_or_b64 exec, exec, s[14:15]
	v_add_u32_e32 v17, 1, v80
	v_add_u32_e32 v16, 1, v81
	v_cndmask_b32_e64 v85, v17, v80, s[12:13]
	v_cndmask_b32_e64 v82, v81, v16, s[12:13]
	v_cmp_ge_i32_e64 s[16:17], v85, v58
	s_waitcnt lgkmcnt(0)
	v_cmp_lt_i64_e64 s[18:19], v[12:13], v[10:11]
	v_cmp_gt_i32_e64 s[14:15], s33, v82
	s_or_b64 s[16:17], s[16:17], s[18:19]
	s_and_b64 s[14:15], s[14:15], s[16:17]
	s_xor_b64 s[16:17], s[14:15], -1
                                        ; implicit-def: $vgpr16_vgpr17
                                        ; implicit-def: $vgpr83
	s_and_saveexec_b64 s[18:19], s[16:17]
	s_xor_b64 s[16:17], exec, s[18:19]
	s_cbranch_execz .LBB135_84
; %bb.83:                               ;   in Loop: Header=BB135_2 Depth=1
	v_lshlrev_b32_e32 v16, 3, v85
	ds_read_b64 v[16:17], v16 offset:8
	v_add_u32_e32 v83, 1, v85
.LBB135_84:                             ;   in Loop: Header=BB135_2 Depth=1
	s_or_saveexec_b64 s[16:17], s[16:17]
	v_mov_b32_e32 v84, v85
	v_mov_b64_e32 v[18:19], v[12:13]
	s_xor_b64 exec, exec, s[16:17]
	s_cbranch_execz .LBB135_1
; %bb.85:                               ;   in Loop: Header=BB135_2 Depth=1
	s_waitcnt lgkmcnt(0)
	v_lshlrev_b32_e32 v17, 3, v82
	ds_read_b64 v[18:19], v17 offset:8
	v_add_u32_e32 v16, 1, v82
	v_mov_b32_e32 v84, v82
	v_mov_b32_e32 v83, v85
	;; [unrolled: 1-line block ×3, first 2 shown]
	v_mov_b64_e32 v[16:17], v[10:11]
	s_branch .LBB135_1
.LBB135_86:
	s_add_u32 s0, s26, s28
	s_waitcnt lgkmcnt(2)
	v_lshl_add_u64 v[4:5], v[4:5], 0, v[6:7]
	s_addc_u32 s1, s27, s29
	v_lshlrev_b32_e32 v0, 3, v0
	s_waitcnt lgkmcnt(1)
	v_lshl_add_u64 v[6:7], v[10:11], 0, v[8:9]
	s_waitcnt lgkmcnt(0)
	v_lshl_add_u64 v[2:3], v[12:13], 0, v[2:3]
	global_store_dwordx2 v0, v[4:5], s[0:1]
	global_store_dwordx2 v0, v[6:7], s[0:1] offset:1024
	global_store_dwordx2 v0, v[2:3], s[0:1] offset:2048
	s_endpgm
	.section	.rodata,"a",@progbits
	.p2align	6, 0x0
	.amdhsa_kernel _Z17sort_pairs_kernelIxLj128ELj3EN10test_utils4lessELj10EEvPKT_PS2_T2_
		.amdhsa_group_segment_fixed_size 3080
		.amdhsa_private_segment_fixed_size 0
		.amdhsa_kernarg_size 20
		.amdhsa_user_sgpr_count 2
		.amdhsa_user_sgpr_dispatch_ptr 0
		.amdhsa_user_sgpr_queue_ptr 0
		.amdhsa_user_sgpr_kernarg_segment_ptr 1
		.amdhsa_user_sgpr_dispatch_id 0
		.amdhsa_user_sgpr_kernarg_preload_length 0
		.amdhsa_user_sgpr_kernarg_preload_offset 0
		.amdhsa_user_sgpr_private_segment_size 0
		.amdhsa_uses_dynamic_stack 0
		.amdhsa_enable_private_segment 0
		.amdhsa_system_sgpr_workgroup_id_x 1
		.amdhsa_system_sgpr_workgroup_id_y 0
		.amdhsa_system_sgpr_workgroup_id_z 0
		.amdhsa_system_sgpr_workgroup_info 0
		.amdhsa_system_vgpr_workitem_id 0
		.amdhsa_next_free_vgpr 86
		.amdhsa_next_free_sgpr 34
		.amdhsa_accum_offset 88
		.amdhsa_reserve_vcc 1
		.amdhsa_float_round_mode_32 0
		.amdhsa_float_round_mode_16_64 0
		.amdhsa_float_denorm_mode_32 3
		.amdhsa_float_denorm_mode_16_64 3
		.amdhsa_dx10_clamp 1
		.amdhsa_ieee_mode 1
		.amdhsa_fp16_overflow 0
		.amdhsa_tg_split 0
		.amdhsa_exception_fp_ieee_invalid_op 0
		.amdhsa_exception_fp_denorm_src 0
		.amdhsa_exception_fp_ieee_div_zero 0
		.amdhsa_exception_fp_ieee_overflow 0
		.amdhsa_exception_fp_ieee_underflow 0
		.amdhsa_exception_fp_ieee_inexact 0
		.amdhsa_exception_int_div_zero 0
	.end_amdhsa_kernel
	.section	.text._Z17sort_pairs_kernelIxLj128ELj3EN10test_utils4lessELj10EEvPKT_PS2_T2_,"axG",@progbits,_Z17sort_pairs_kernelIxLj128ELj3EN10test_utils4lessELj10EEvPKT_PS2_T2_,comdat
.Lfunc_end135:
	.size	_Z17sort_pairs_kernelIxLj128ELj3EN10test_utils4lessELj10EEvPKT_PS2_T2_, .Lfunc_end135-_Z17sort_pairs_kernelIxLj128ELj3EN10test_utils4lessELj10EEvPKT_PS2_T2_
                                        ; -- End function
	.section	.AMDGPU.csdata,"",@progbits
; Kernel info:
; codeLenInByte = 5648
; NumSgprs: 40
; NumVgprs: 86
; NumAgprs: 0
; TotalNumVgprs: 86
; ScratchSize: 0
; MemoryBound: 0
; FloatMode: 240
; IeeeMode: 1
; LDSByteSize: 3080 bytes/workgroup (compile time only)
; SGPRBlocks: 4
; VGPRBlocks: 10
; NumSGPRsForWavesPerEU: 40
; NumVGPRsForWavesPerEU: 86
; AccumOffset: 88
; Occupancy: 5
; WaveLimiterHint : 1
; COMPUTE_PGM_RSRC2:SCRATCH_EN: 0
; COMPUTE_PGM_RSRC2:USER_SGPR: 2
; COMPUTE_PGM_RSRC2:TRAP_HANDLER: 0
; COMPUTE_PGM_RSRC2:TGID_X_EN: 1
; COMPUTE_PGM_RSRC2:TGID_Y_EN: 0
; COMPUTE_PGM_RSRC2:TGID_Z_EN: 0
; COMPUTE_PGM_RSRC2:TIDIG_COMP_CNT: 0
; COMPUTE_PGM_RSRC3_GFX90A:ACCUM_OFFSET: 21
; COMPUTE_PGM_RSRC3_GFX90A:TG_SPLIT: 0
	.section	.text._Z16sort_keys_kernelIxLj128ELj4EN10test_utils4lessELj10EEvPKT_PS2_T2_,"axG",@progbits,_Z16sort_keys_kernelIxLj128ELj4EN10test_utils4lessELj10EEvPKT_PS2_T2_,comdat
	.protected	_Z16sort_keys_kernelIxLj128ELj4EN10test_utils4lessELj10EEvPKT_PS2_T2_ ; -- Begin function _Z16sort_keys_kernelIxLj128ELj4EN10test_utils4lessELj10EEvPKT_PS2_T2_
	.globl	_Z16sort_keys_kernelIxLj128ELj4EN10test_utils4lessELj10EEvPKT_PS2_T2_
	.p2align	8
	.type	_Z16sort_keys_kernelIxLj128ELj4EN10test_utils4lessELj10EEvPKT_PS2_T2_,@function
_Z16sort_keys_kernelIxLj128ELj4EN10test_utils4lessELj10EEvPKT_PS2_T2_: ; @_Z16sort_keys_kernelIxLj128ELj4EN10test_utils4lessELj10EEvPKT_PS2_T2_
; %bb.0:
	s_load_dwordx4 s[20:23], s[0:1], 0x0
	s_lshl_b32 s24, s2, 9
	s_mov_b32 s25, 0
	s_lshl_b64 s[26:27], s[24:25], 3
	v_lshlrev_b32_e32 v1, 3, v0
	s_waitcnt lgkmcnt(0)
	s_add_u32 s0, s20, s26
	s_addc_u32 s1, s21, s27
	global_load_dwordx2 v[4:5], v1, s[0:1]
	global_load_dwordx2 v[6:7], v1, s[0:1] offset:1024
	global_load_dwordx2 v[2:3], v1, s[0:1] offset:2048
	;; [unrolled: 1-line block ×3, first 2 shown]
	v_lshlrev_b32_e32 v1, 2, v0
	v_and_b32_e32 v19, 0x1f8, v1
	v_or_b32_e32 v21, 4, v19
	v_add_u32_e32 v22, 8, v19
	v_and_b32_e32 v28, 0x1f0, v1
	v_and_b32_e32 v20, 4, v1
	v_sub_u32_e32 v11, v22, v21
	v_or_b32_e32 v30, 8, v28
	v_add_u32_e32 v31, 16, v28
	v_and_b32_e32 v37, 0x1e0, v1
	v_sub_u32_e32 v10, v21, v19
	v_sub_u32_e32 v12, v20, v11
	v_cmp_ge_i32_e32 vcc, v20, v11
	v_and_b32_e32 v29, 12, v1
	v_sub_u32_e32 v11, v31, v30
	v_or_b32_e32 v39, 16, v37
	v_add_u32_e32 v40, 32, v37
	v_and_b32_e32 v46, 0x1c0, v1
	v_cndmask_b32_e32 v25, 0, v12, vcc
	v_min_i32_e32 v26, v20, v10
	v_sub_u32_e32 v10, v30, v28
	v_sub_u32_e32 v12, v29, v11
	v_cmp_ge_i32_e64 s[0:1], v29, v11
	v_and_b32_e32 v38, 28, v1
	v_sub_u32_e32 v11, v40, v39
	v_or_b32_e32 v48, 32, v46
	v_add_u32_e32 v49, 64, v46
	v_and_b32_e32 v52, 0x180, v1
	v_cndmask_b32_e64 v34, 0, v12, s[0:1]
	v_min_i32_e32 v35, v29, v10
	v_sub_u32_e32 v10, v39, v37
	v_sub_u32_e32 v12, v38, v11
	v_cmp_ge_i32_e64 s[2:3], v38, v11
	v_and_b32_e32 v47, 60, v1
	v_sub_u32_e32 v11, v49, v48
	v_or_b32_e32 v54, 64, v52
	v_add_u32_e32 v55, 0x80, v52
	v_and_b32_e32 v59, 0x100, v1
	v_cndmask_b32_e64 v43, 0, v12, s[2:3]
	v_min_i32_e32 v44, v38, v10
	v_sub_u32_e32 v10, v48, v46
	v_sub_u32_e32 v12, v47, v11
	v_cmp_ge_i32_e64 s[4:5], v47, v11
	v_and_b32_e32 v53, 0x7c, v1
	v_sub_u32_e32 v11, v55, v54
	v_or_b32_e32 v61, 0x80, v59
	v_add_u32_e32 v62, 0x100, v59
	v_cndmask_b32_e64 v50, 0, v12, s[4:5]
	v_min_i32_e32 v51, v47, v10
	v_sub_u32_e32 v10, v54, v52
	v_sub_u32_e32 v12, v53, v11
	v_cmp_ge_i32_e64 s[6:7], v53, v11
	v_and_b32_e32 v60, 0xfc, v1
	v_sub_u32_e32 v11, v62, v61
	v_cndmask_b32_e64 v56, 0, v12, s[6:7]
	v_min_i32_e32 v57, v53, v10
	v_mov_b32_e32 v58, 0x100
	v_sub_u32_e32 v10, v61, v59
	v_sub_u32_e32 v12, v60, v11
	v_cmp_ge_i32_e64 s[8:9], v60, v11
	v_min_i32_e32 v64, v60, v10
	v_sub_u32_e64 v65, v1, v58 clamp
	v_cndmask_b32_e64 v63, 0, v12, s[8:9]
	v_min_i32_e32 v66, 0x100, v1
	v_lshlrev_b32_e32 v18, 5, v0
	v_lshlrev_b32_e32 v23, 3, v19
	;; [unrolled: 1-line block ×3, first 2 shown]
	v_cmp_lt_i32_e32 vcc, v25, v26
	v_add_u32_e32 v27, v21, v20
	v_lshlrev_b32_e32 v32, 3, v28
	v_lshlrev_b32_e32 v33, 3, v30
	v_cmp_lt_i32_e64 s[0:1], v34, v35
	v_add_u32_e32 v36, v30, v29
	v_lshlrev_b32_e32 v41, 3, v37
	v_lshlrev_b32_e32 v42, 3, v39
	v_cmp_lt_i32_e64 s[2:3], v43, v44
	v_add_u32_e32 v45, v39, v38
	v_cmp_lt_i32_e64 s[4:5], v50, v51
	v_cmp_lt_i32_e64 s[6:7], v56, v57
	v_cmp_lt_i32_e64 s[8:9], v63, v64
	v_cmp_lt_i32_e64 s[10:11], v65, v66
	s_movk_i32 s24, 0x200
	v_lshlrev_b32_e32 v67, 3, v46
	v_lshlrev_b32_e32 v68, 3, v48
	v_add_u32_e32 v69, v48, v47
	v_lshlrev_b32_e32 v70, 3, v52
	v_lshlrev_b32_e32 v71, 3, v54
	v_add_u32_e32 v72, v54, v53
	;; [unrolled: 3-line block ×3, first 2 shown]
	v_add_u32_e32 v76, 0x100, v1
	s_branch .LBB136_2
.LBB136_1:                              ;   in Loop: Header=BB136_2 Depth=1
	s_or_b64 exec, exec, s[18:19]
	v_cndmask_b32_e64 v5, v3, v5, s[12:13]
	v_cndmask_b32_e64 v4, v2, v4, s[12:13]
	;; [unrolled: 1-line block ×6, first 2 shown]
	v_cmp_ge_i32_e64 s[14:15], v78, v58
	s_waitcnt lgkmcnt(0)
	v_cmp_lt_i64_e64 s[16:17], v[16:17], v[14:15]
	v_cmp_gt_i32_e64 s[12:13], s24, v77
	s_or_b64 s[14:15], s[14:15], s[16:17]
	s_and_b64 s[12:13], s[12:13], s[14:15]
	s_add_i32 s25, s25, 1
	v_cndmask_b32_e64 v9, v15, v17, s[12:13]
	s_cmp_eq_u32 s25, 10
	v_cndmask_b32_e64 v8, v14, v16, s[12:13]
	s_cbranch_scc1 .LBB136_114
.LBB136_2:                              ; =>This Loop Header: Depth=1
                                        ;     Child Loop BB136_4 Depth 2
                                        ;     Child Loop BB136_20 Depth 2
	;; [unrolled: 1-line block ×7, first 2 shown]
	s_waitcnt vmcnt(2)
	v_cmp_lt_i64_e64 s[12:13], v[6:7], v[4:5]
	s_barrier
	s_nop 0
	v_cndmask_b32_e64 v11, v5, v7, s[12:13]
	v_cndmask_b32_e64 v10, v4, v6, s[12:13]
	v_cndmask_b32_e64 v12, v6, v4, s[12:13]
	v_cndmask_b32_e64 v13, v7, v5, s[12:13]
	v_cmp_gt_i64_e64 s[12:13], v[6:7], v[4:5]
	s_nop 1
	v_cndmask_b32_e64 v5, v5, v7, s[12:13]
	v_cndmask_b32_e64 v4, v4, v6, s[12:13]
	s_waitcnt vmcnt(0)
	v_cmp_lt_i64_e64 s[12:13], v[8:9], v[2:3]
	s_nop 1
	v_cndmask_b32_e64 v7, v3, v9, s[12:13]
	v_cndmask_b32_e64 v6, v2, v8, s[12:13]
	;; [unrolled: 1-line block ×4, first 2 shown]
	v_cmp_gt_i64_e64 s[12:13], v[8:9], v[2:3]
	v_cmp_gt_i64_e64 s[14:15], v[6:7], v[4:5]
	s_nop 0
	v_cndmask_b32_e64 v3, v3, v9, s[12:13]
	v_cndmask_b32_e64 v2, v2, v8, s[12:13]
	v_cmp_lt_i64_e64 s[12:13], v[6:7], v[4:5]
	s_nop 1
	v_cndmask_b32_e64 v16, v7, v5, s[12:13]
	v_cndmask_b32_e64 v17, v6, v4, s[12:13]
	;; [unrolled: 1-line block ×6, first 2 shown]
	v_cmp_lt_i64_e64 s[12:13], v[6:7], v[10:11]
	v_cndmask_b32_e64 v12, v4, v6, s[14:15]
	v_cndmask_b32_e64 v13, v5, v7, s[14:15]
	;; [unrolled: 1-line block ×8, first 2 shown]
	v_cmp_gt_i64_e64 s[12:13], v[4:5], v[2:3]
	s_nop 1
	v_cndmask_b32_e64 v10, v17, v2, s[12:13]
	v_cndmask_b32_e64 v11, v16, v3, s[12:13]
	;; [unrolled: 1-line block ×6, first 2 shown]
	v_cmp_lt_i64_e64 s[12:13], v[2:3], v[8:9]
	s_nop 1
	v_cndmask_b32_e64 v3, v80, v3, s[12:13]
	v_cndmask_b32_e64 v2, v79, v2, s[12:13]
	v_cndmask_b32_e64 v9, v11, v9, s[12:13]
	v_cndmask_b32_e64 v8, v10, v8, s[12:13]
	ds_write2_b64 v18, v[6:7], v[2:3] offset1:1
	ds_write2_b64 v18, v[8:9], v[4:5] offset0:2 offset1:3
	v_mov_b32_e32 v6, v25
	s_waitcnt lgkmcnt(0)
	s_barrier
	s_and_saveexec_b64 s[14:15], vcc
	s_cbranch_execz .LBB136_6
; %bb.3:                                ;   in Loop: Header=BB136_2 Depth=1
	s_mov_b64 s[16:17], 0
	v_mov_b32_e32 v6, v25
	v_mov_b32_e32 v2, v26
.LBB136_4:                              ;   Parent Loop BB136_2 Depth=1
                                        ; =>  This Inner Loop Header: Depth=2
	v_sub_u32_e32 v3, v2, v6
	v_lshrrev_b32_e32 v4, 31, v3
	v_add_u32_e32 v3, v3, v4
	v_ashrrev_i32_e32 v3, 1, v3
	v_add_u32_e32 v3, v3, v6
	v_lshl_add_u32 v4, v3, 3, v23
	v_xad_u32 v5, v3, -1, v20
	v_lshl_add_u32 v7, v5, 3, v24
	ds_read_b64 v[4:5], v4
	ds_read_b64 v[8:9], v7
	v_add_u32_e32 v7, 1, v3
	s_waitcnt lgkmcnt(0)
	v_cmp_lt_i64_e64 s[12:13], v[8:9], v[4:5]
	s_nop 1
	v_cndmask_b32_e64 v2, v2, v3, s[12:13]
	v_cndmask_b32_e64 v6, v7, v6, s[12:13]
	v_cmp_ge_i32_e64 s[12:13], v6, v2
	s_or_b64 s[16:17], s[12:13], s[16:17]
	s_andn2_b64 exec, exec, s[16:17]
	s_cbranch_execnz .LBB136_4
; %bb.5:                                ;   in Loop: Header=BB136_2 Depth=1
	s_or_b64 exec, exec, s[16:17]
.LBB136_6:                              ;   in Loop: Header=BB136_2 Depth=1
	s_or_b64 exec, exec, s[14:15]
	v_sub_u32_e32 v10, v27, v6
	v_lshl_add_u32 v8, v6, 3, v23
	v_lshlrev_b32_e32 v12, 3, v10
	ds_read_b64 v[2:3], v8
	ds_read_b64 v[4:5], v12
	v_add_u32_e32 v11, v6, v19
	v_cmp_le_i32_e64 s[14:15], v21, v11
	v_cmp_gt_i32_e64 s[12:13], v22, v10
                                        ; implicit-def: $vgpr6_vgpr7
	s_waitcnt lgkmcnt(0)
	v_cmp_lt_i64_e64 s[16:17], v[4:5], v[2:3]
	s_or_b64 s[14:15], s[14:15], s[16:17]
	s_and_b64 s[12:13], s[12:13], s[14:15]
	s_xor_b64 s[14:15], s[12:13], -1
	s_and_saveexec_b64 s[16:17], s[14:15]
	s_xor_b64 s[14:15], exec, s[16:17]
	s_cbranch_execz .LBB136_8
; %bb.7:                                ;   in Loop: Header=BB136_2 Depth=1
	ds_read_b64 v[6:7], v8 offset:8
                                        ; implicit-def: $vgpr12
.LBB136_8:                              ;   in Loop: Header=BB136_2 Depth=1
	s_or_saveexec_b64 s[14:15], s[14:15]
	v_mov_b64_e32 v[8:9], v[4:5]
	s_xor_b64 exec, exec, s[14:15]
	s_cbranch_execz .LBB136_10
; %bb.9:                                ;   in Loop: Header=BB136_2 Depth=1
	ds_read_b64 v[8:9], v12 offset:8
	s_waitcnt lgkmcnt(1)
	v_mov_b64_e32 v[6:7], v[2:3]
.LBB136_10:                             ;   in Loop: Header=BB136_2 Depth=1
	s_or_b64 exec, exec, s[14:15]
	v_add_u32_e32 v13, 1, v11
	v_add_u32_e32 v12, 1, v10
	v_cndmask_b32_e64 v15, v13, v11, s[12:13]
	v_cndmask_b32_e64 v14, v10, v12, s[12:13]
	v_cmp_ge_i32_e64 s[16:17], v15, v21
	s_waitcnt lgkmcnt(0)
	v_cmp_lt_i64_e64 s[18:19], v[8:9], v[6:7]
	v_cmp_lt_i32_e64 s[14:15], v14, v22
	s_or_b64 s[16:17], s[16:17], s[18:19]
	s_and_b64 s[14:15], s[14:15], s[16:17]
	s_xor_b64 s[16:17], s[14:15], -1
                                        ; implicit-def: $vgpr10_vgpr11
	s_and_saveexec_b64 s[18:19], s[16:17]
	s_xor_b64 s[16:17], exec, s[18:19]
	s_cbranch_execz .LBB136_12
; %bb.11:                               ;   in Loop: Header=BB136_2 Depth=1
	v_lshlrev_b32_e32 v10, 3, v15
	ds_read_b64 v[10:11], v10 offset:8
.LBB136_12:                             ;   in Loop: Header=BB136_2 Depth=1
	s_or_saveexec_b64 s[16:17], s[16:17]
	v_mov_b64_e32 v[12:13], v[8:9]
	s_xor_b64 exec, exec, s[16:17]
	s_cbranch_execz .LBB136_14
; %bb.13:                               ;   in Loop: Header=BB136_2 Depth=1
	s_waitcnt lgkmcnt(0)
	v_lshlrev_b32_e32 v10, 3, v14
	ds_read_b64 v[12:13], v10 offset:8
	v_mov_b64_e32 v[10:11], v[6:7]
.LBB136_14:                             ;   in Loop: Header=BB136_2 Depth=1
	s_or_b64 exec, exec, s[16:17]
	v_add_u32_e32 v17, 1, v15
	v_add_u32_e32 v16, 1, v14
	v_cndmask_b32_e64 v78, v17, v15, s[14:15]
	v_cndmask_b32_e64 v77, v14, v16, s[14:15]
	v_cmp_ge_i32_e64 s[18:19], v78, v21
	s_waitcnt lgkmcnt(0)
	v_cmp_lt_i64_e64 s[20:21], v[12:13], v[10:11]
	v_cmp_lt_i32_e64 s[16:17], v77, v22
	s_or_b64 s[18:19], s[18:19], s[20:21]
	s_and_b64 s[16:17], s[16:17], s[18:19]
	s_xor_b64 s[18:19], s[16:17], -1
                                        ; implicit-def: $vgpr14_vgpr15
	s_and_saveexec_b64 s[20:21], s[18:19]
	s_xor_b64 s[18:19], exec, s[20:21]
	s_cbranch_execz .LBB136_16
; %bb.15:                               ;   in Loop: Header=BB136_2 Depth=1
	v_lshlrev_b32_e32 v14, 3, v78
	ds_read_b64 v[14:15], v14 offset:8
.LBB136_16:                             ;   in Loop: Header=BB136_2 Depth=1
	s_or_saveexec_b64 s[18:19], s[18:19]
	v_mov_b64_e32 v[16:17], v[12:13]
	s_xor_b64 exec, exec, s[18:19]
	s_cbranch_execz .LBB136_18
; %bb.17:                               ;   in Loop: Header=BB136_2 Depth=1
	s_waitcnt lgkmcnt(0)
	v_lshlrev_b32_e32 v14, 3, v77
	ds_read_b64 v[16:17], v14 offset:8
	v_mov_b64_e32 v[14:15], v[10:11]
.LBB136_18:                             ;   in Loop: Header=BB136_2 Depth=1
	s_or_b64 exec, exec, s[18:19]
	v_cndmask_b32_e64 v11, v11, v13, s[16:17]
	v_add_u32_e32 v13, 1, v78
	v_cndmask_b32_e64 v10, v10, v12, s[16:17]
	v_add_u32_e32 v12, 1, v77
	v_cndmask_b32_e64 v13, v13, v78, s[16:17]
	v_cndmask_b32_e64 v12, v77, v12, s[16:17]
	;; [unrolled: 1-line block ×4, first 2 shown]
	v_cmp_ge_i32_e64 s[14:15], v13, v21
	s_waitcnt lgkmcnt(0)
	v_cmp_lt_i64_e64 s[16:17], v[16:17], v[14:15]
	v_cndmask_b32_e64 v3, v3, v5, s[12:13]
	v_cndmask_b32_e64 v2, v2, v4, s[12:13]
	v_cmp_lt_i32_e64 s[12:13], v12, v22
	s_or_b64 s[14:15], s[14:15], s[16:17]
	s_and_b64 s[12:13], s[12:13], s[14:15]
	v_cndmask_b32_e64 v5, v15, v17, s[12:13]
	v_cndmask_b32_e64 v4, v14, v16, s[12:13]
	s_barrier
	ds_write2_b64 v18, v[2:3], v[6:7] offset1:1
	ds_write2_b64 v18, v[10:11], v[4:5] offset0:2 offset1:3
	v_mov_b32_e32 v6, v34
	s_waitcnt lgkmcnt(0)
	s_barrier
	s_and_saveexec_b64 s[14:15], s[0:1]
	s_cbranch_execz .LBB136_22
; %bb.19:                               ;   in Loop: Header=BB136_2 Depth=1
	s_mov_b64 s[16:17], 0
	v_mov_b32_e32 v6, v34
	v_mov_b32_e32 v2, v35
.LBB136_20:                             ;   Parent Loop BB136_2 Depth=1
                                        ; =>  This Inner Loop Header: Depth=2
	v_sub_u32_e32 v3, v2, v6
	v_lshrrev_b32_e32 v4, 31, v3
	v_add_u32_e32 v3, v3, v4
	v_ashrrev_i32_e32 v3, 1, v3
	v_add_u32_e32 v3, v3, v6
	v_lshl_add_u32 v4, v3, 3, v32
	v_xad_u32 v5, v3, -1, v29
	v_lshl_add_u32 v7, v5, 3, v33
	ds_read_b64 v[4:5], v4
	ds_read_b64 v[8:9], v7
	v_add_u32_e32 v7, 1, v3
	s_waitcnt lgkmcnt(0)
	v_cmp_lt_i64_e64 s[12:13], v[8:9], v[4:5]
	s_nop 1
	v_cndmask_b32_e64 v2, v2, v3, s[12:13]
	v_cndmask_b32_e64 v6, v7, v6, s[12:13]
	v_cmp_ge_i32_e64 s[12:13], v6, v2
	s_or_b64 s[16:17], s[12:13], s[16:17]
	s_andn2_b64 exec, exec, s[16:17]
	s_cbranch_execnz .LBB136_20
; %bb.21:                               ;   in Loop: Header=BB136_2 Depth=1
	s_or_b64 exec, exec, s[16:17]
.LBB136_22:                             ;   in Loop: Header=BB136_2 Depth=1
	s_or_b64 exec, exec, s[14:15]
	v_sub_u32_e32 v10, v36, v6
	v_lshl_add_u32 v8, v6, 3, v32
	v_lshlrev_b32_e32 v12, 3, v10
	ds_read_b64 v[2:3], v8
	ds_read_b64 v[4:5], v12
	v_add_u32_e32 v11, v6, v28
	v_cmp_le_i32_e64 s[14:15], v30, v11
	v_cmp_gt_i32_e64 s[12:13], v31, v10
                                        ; implicit-def: $vgpr6_vgpr7
	s_waitcnt lgkmcnt(0)
	v_cmp_lt_i64_e64 s[16:17], v[4:5], v[2:3]
	s_or_b64 s[14:15], s[14:15], s[16:17]
	s_and_b64 s[12:13], s[12:13], s[14:15]
	s_xor_b64 s[14:15], s[12:13], -1
	s_and_saveexec_b64 s[16:17], s[14:15]
	s_xor_b64 s[14:15], exec, s[16:17]
	s_cbranch_execz .LBB136_24
; %bb.23:                               ;   in Loop: Header=BB136_2 Depth=1
	ds_read_b64 v[6:7], v8 offset:8
                                        ; implicit-def: $vgpr12
.LBB136_24:                             ;   in Loop: Header=BB136_2 Depth=1
	s_or_saveexec_b64 s[14:15], s[14:15]
	v_mov_b64_e32 v[8:9], v[4:5]
	s_xor_b64 exec, exec, s[14:15]
	s_cbranch_execz .LBB136_26
; %bb.25:                               ;   in Loop: Header=BB136_2 Depth=1
	ds_read_b64 v[8:9], v12 offset:8
	s_waitcnt lgkmcnt(1)
	v_mov_b64_e32 v[6:7], v[2:3]
.LBB136_26:                             ;   in Loop: Header=BB136_2 Depth=1
	s_or_b64 exec, exec, s[14:15]
	v_add_u32_e32 v13, 1, v11
	v_add_u32_e32 v12, 1, v10
	v_cndmask_b32_e64 v15, v13, v11, s[12:13]
	v_cndmask_b32_e64 v14, v10, v12, s[12:13]
	v_cmp_ge_i32_e64 s[16:17], v15, v30
	s_waitcnt lgkmcnt(0)
	v_cmp_lt_i64_e64 s[18:19], v[8:9], v[6:7]
	v_cmp_lt_i32_e64 s[14:15], v14, v31
	s_or_b64 s[16:17], s[16:17], s[18:19]
	s_and_b64 s[14:15], s[14:15], s[16:17]
	s_xor_b64 s[16:17], s[14:15], -1
                                        ; implicit-def: $vgpr10_vgpr11
	s_and_saveexec_b64 s[18:19], s[16:17]
	s_xor_b64 s[16:17], exec, s[18:19]
	s_cbranch_execz .LBB136_28
; %bb.27:                               ;   in Loop: Header=BB136_2 Depth=1
	v_lshlrev_b32_e32 v10, 3, v15
	ds_read_b64 v[10:11], v10 offset:8
.LBB136_28:                             ;   in Loop: Header=BB136_2 Depth=1
	s_or_saveexec_b64 s[16:17], s[16:17]
	v_mov_b64_e32 v[12:13], v[8:9]
	s_xor_b64 exec, exec, s[16:17]
	s_cbranch_execz .LBB136_30
; %bb.29:                               ;   in Loop: Header=BB136_2 Depth=1
	s_waitcnt lgkmcnt(0)
	v_lshlrev_b32_e32 v10, 3, v14
	ds_read_b64 v[12:13], v10 offset:8
	v_mov_b64_e32 v[10:11], v[6:7]
.LBB136_30:                             ;   in Loop: Header=BB136_2 Depth=1
	s_or_b64 exec, exec, s[16:17]
	v_add_u32_e32 v17, 1, v15
	v_add_u32_e32 v16, 1, v14
	v_cndmask_b32_e64 v78, v17, v15, s[14:15]
	v_cndmask_b32_e64 v77, v14, v16, s[14:15]
	v_cmp_ge_i32_e64 s[18:19], v78, v30
	s_waitcnt lgkmcnt(0)
	v_cmp_lt_i64_e64 s[20:21], v[12:13], v[10:11]
	v_cmp_lt_i32_e64 s[16:17], v77, v31
	s_or_b64 s[18:19], s[18:19], s[20:21]
	s_and_b64 s[16:17], s[16:17], s[18:19]
	s_xor_b64 s[18:19], s[16:17], -1
                                        ; implicit-def: $vgpr14_vgpr15
	s_and_saveexec_b64 s[20:21], s[18:19]
	s_xor_b64 s[18:19], exec, s[20:21]
	s_cbranch_execz .LBB136_32
; %bb.31:                               ;   in Loop: Header=BB136_2 Depth=1
	v_lshlrev_b32_e32 v14, 3, v78
	ds_read_b64 v[14:15], v14 offset:8
.LBB136_32:                             ;   in Loop: Header=BB136_2 Depth=1
	s_or_saveexec_b64 s[18:19], s[18:19]
	v_mov_b64_e32 v[16:17], v[12:13]
	s_xor_b64 exec, exec, s[18:19]
	s_cbranch_execz .LBB136_34
; %bb.33:                               ;   in Loop: Header=BB136_2 Depth=1
	s_waitcnt lgkmcnt(0)
	v_lshlrev_b32_e32 v14, 3, v77
	ds_read_b64 v[16:17], v14 offset:8
	v_mov_b64_e32 v[14:15], v[10:11]
.LBB136_34:                             ;   in Loop: Header=BB136_2 Depth=1
	s_or_b64 exec, exec, s[18:19]
	v_cndmask_b32_e64 v11, v11, v13, s[16:17]
	v_add_u32_e32 v13, 1, v78
	v_cndmask_b32_e64 v10, v10, v12, s[16:17]
	v_add_u32_e32 v12, 1, v77
	v_cndmask_b32_e64 v13, v13, v78, s[16:17]
	v_cndmask_b32_e64 v12, v77, v12, s[16:17]
	;; [unrolled: 1-line block ×4, first 2 shown]
	v_cmp_ge_i32_e64 s[14:15], v13, v30
	s_waitcnt lgkmcnt(0)
	v_cmp_lt_i64_e64 s[16:17], v[16:17], v[14:15]
	v_cndmask_b32_e64 v3, v3, v5, s[12:13]
	v_cndmask_b32_e64 v2, v2, v4, s[12:13]
	v_cmp_lt_i32_e64 s[12:13], v12, v31
	s_or_b64 s[14:15], s[14:15], s[16:17]
	s_and_b64 s[12:13], s[12:13], s[14:15]
	v_cndmask_b32_e64 v5, v15, v17, s[12:13]
	v_cndmask_b32_e64 v4, v14, v16, s[12:13]
	s_barrier
	ds_write2_b64 v18, v[2:3], v[6:7] offset1:1
	ds_write2_b64 v18, v[10:11], v[4:5] offset0:2 offset1:3
	v_mov_b32_e32 v6, v43
	s_waitcnt lgkmcnt(0)
	s_barrier
	s_and_saveexec_b64 s[14:15], s[2:3]
	s_cbranch_execz .LBB136_38
; %bb.35:                               ;   in Loop: Header=BB136_2 Depth=1
	s_mov_b64 s[16:17], 0
	v_mov_b32_e32 v6, v43
	v_mov_b32_e32 v2, v44
.LBB136_36:                             ;   Parent Loop BB136_2 Depth=1
                                        ; =>  This Inner Loop Header: Depth=2
	v_sub_u32_e32 v3, v2, v6
	v_lshrrev_b32_e32 v4, 31, v3
	v_add_u32_e32 v3, v3, v4
	v_ashrrev_i32_e32 v3, 1, v3
	v_add_u32_e32 v3, v3, v6
	v_lshl_add_u32 v4, v3, 3, v41
	v_xad_u32 v5, v3, -1, v38
	v_lshl_add_u32 v7, v5, 3, v42
	ds_read_b64 v[4:5], v4
	ds_read_b64 v[8:9], v7
	v_add_u32_e32 v7, 1, v3
	s_waitcnt lgkmcnt(0)
	v_cmp_lt_i64_e64 s[12:13], v[8:9], v[4:5]
	s_nop 1
	v_cndmask_b32_e64 v2, v2, v3, s[12:13]
	v_cndmask_b32_e64 v6, v7, v6, s[12:13]
	v_cmp_ge_i32_e64 s[12:13], v6, v2
	s_or_b64 s[16:17], s[12:13], s[16:17]
	s_andn2_b64 exec, exec, s[16:17]
	s_cbranch_execnz .LBB136_36
; %bb.37:                               ;   in Loop: Header=BB136_2 Depth=1
	s_or_b64 exec, exec, s[16:17]
.LBB136_38:                             ;   in Loop: Header=BB136_2 Depth=1
	s_or_b64 exec, exec, s[14:15]
	v_sub_u32_e32 v10, v45, v6
	v_lshl_add_u32 v8, v6, 3, v41
	v_lshlrev_b32_e32 v12, 3, v10
	ds_read_b64 v[2:3], v8
	ds_read_b64 v[4:5], v12
	v_add_u32_e32 v11, v6, v37
	v_cmp_le_i32_e64 s[14:15], v39, v11
	v_cmp_gt_i32_e64 s[12:13], v40, v10
                                        ; implicit-def: $vgpr6_vgpr7
	s_waitcnt lgkmcnt(0)
	v_cmp_lt_i64_e64 s[16:17], v[4:5], v[2:3]
	s_or_b64 s[14:15], s[14:15], s[16:17]
	s_and_b64 s[12:13], s[12:13], s[14:15]
	s_xor_b64 s[14:15], s[12:13], -1
	s_and_saveexec_b64 s[16:17], s[14:15]
	s_xor_b64 s[14:15], exec, s[16:17]
	s_cbranch_execz .LBB136_40
; %bb.39:                               ;   in Loop: Header=BB136_2 Depth=1
	ds_read_b64 v[6:7], v8 offset:8
                                        ; implicit-def: $vgpr12
.LBB136_40:                             ;   in Loop: Header=BB136_2 Depth=1
	s_or_saveexec_b64 s[14:15], s[14:15]
	v_mov_b64_e32 v[8:9], v[4:5]
	s_xor_b64 exec, exec, s[14:15]
	s_cbranch_execz .LBB136_42
; %bb.41:                               ;   in Loop: Header=BB136_2 Depth=1
	ds_read_b64 v[8:9], v12 offset:8
	s_waitcnt lgkmcnt(1)
	v_mov_b64_e32 v[6:7], v[2:3]
.LBB136_42:                             ;   in Loop: Header=BB136_2 Depth=1
	s_or_b64 exec, exec, s[14:15]
	v_add_u32_e32 v13, 1, v11
	v_add_u32_e32 v12, 1, v10
	v_cndmask_b32_e64 v15, v13, v11, s[12:13]
	v_cndmask_b32_e64 v14, v10, v12, s[12:13]
	v_cmp_ge_i32_e64 s[16:17], v15, v39
	s_waitcnt lgkmcnt(0)
	v_cmp_lt_i64_e64 s[18:19], v[8:9], v[6:7]
	v_cmp_lt_i32_e64 s[14:15], v14, v40
	s_or_b64 s[16:17], s[16:17], s[18:19]
	s_and_b64 s[14:15], s[14:15], s[16:17]
	s_xor_b64 s[16:17], s[14:15], -1
                                        ; implicit-def: $vgpr10_vgpr11
	s_and_saveexec_b64 s[18:19], s[16:17]
	s_xor_b64 s[16:17], exec, s[18:19]
	s_cbranch_execz .LBB136_44
; %bb.43:                               ;   in Loop: Header=BB136_2 Depth=1
	v_lshlrev_b32_e32 v10, 3, v15
	ds_read_b64 v[10:11], v10 offset:8
.LBB136_44:                             ;   in Loop: Header=BB136_2 Depth=1
	s_or_saveexec_b64 s[16:17], s[16:17]
	v_mov_b64_e32 v[12:13], v[8:9]
	s_xor_b64 exec, exec, s[16:17]
	s_cbranch_execz .LBB136_46
; %bb.45:                               ;   in Loop: Header=BB136_2 Depth=1
	s_waitcnt lgkmcnt(0)
	v_lshlrev_b32_e32 v10, 3, v14
	ds_read_b64 v[12:13], v10 offset:8
	v_mov_b64_e32 v[10:11], v[6:7]
.LBB136_46:                             ;   in Loop: Header=BB136_2 Depth=1
	s_or_b64 exec, exec, s[16:17]
	v_add_u32_e32 v17, 1, v15
	v_add_u32_e32 v16, 1, v14
	v_cndmask_b32_e64 v78, v17, v15, s[14:15]
	v_cndmask_b32_e64 v77, v14, v16, s[14:15]
	v_cmp_ge_i32_e64 s[18:19], v78, v39
	s_waitcnt lgkmcnt(0)
	v_cmp_lt_i64_e64 s[20:21], v[12:13], v[10:11]
	v_cmp_lt_i32_e64 s[16:17], v77, v40
	s_or_b64 s[18:19], s[18:19], s[20:21]
	s_and_b64 s[16:17], s[16:17], s[18:19]
	s_xor_b64 s[18:19], s[16:17], -1
                                        ; implicit-def: $vgpr14_vgpr15
	s_and_saveexec_b64 s[20:21], s[18:19]
	s_xor_b64 s[18:19], exec, s[20:21]
	s_cbranch_execz .LBB136_48
; %bb.47:                               ;   in Loop: Header=BB136_2 Depth=1
	v_lshlrev_b32_e32 v14, 3, v78
	ds_read_b64 v[14:15], v14 offset:8
.LBB136_48:                             ;   in Loop: Header=BB136_2 Depth=1
	s_or_saveexec_b64 s[18:19], s[18:19]
	v_mov_b64_e32 v[16:17], v[12:13]
	s_xor_b64 exec, exec, s[18:19]
	s_cbranch_execz .LBB136_50
; %bb.49:                               ;   in Loop: Header=BB136_2 Depth=1
	s_waitcnt lgkmcnt(0)
	v_lshlrev_b32_e32 v14, 3, v77
	ds_read_b64 v[16:17], v14 offset:8
	v_mov_b64_e32 v[14:15], v[10:11]
.LBB136_50:                             ;   in Loop: Header=BB136_2 Depth=1
	s_or_b64 exec, exec, s[18:19]
	v_cndmask_b32_e64 v11, v11, v13, s[16:17]
	v_add_u32_e32 v13, 1, v78
	v_cndmask_b32_e64 v10, v10, v12, s[16:17]
	v_add_u32_e32 v12, 1, v77
	v_cndmask_b32_e64 v13, v13, v78, s[16:17]
	v_cndmask_b32_e64 v12, v77, v12, s[16:17]
	;; [unrolled: 1-line block ×4, first 2 shown]
	v_cmp_ge_i32_e64 s[14:15], v13, v39
	s_waitcnt lgkmcnt(0)
	v_cmp_lt_i64_e64 s[16:17], v[16:17], v[14:15]
	v_cndmask_b32_e64 v3, v3, v5, s[12:13]
	v_cndmask_b32_e64 v2, v2, v4, s[12:13]
	v_cmp_lt_i32_e64 s[12:13], v12, v40
	s_or_b64 s[14:15], s[14:15], s[16:17]
	s_and_b64 s[12:13], s[12:13], s[14:15]
	v_cndmask_b32_e64 v5, v15, v17, s[12:13]
	v_cndmask_b32_e64 v4, v14, v16, s[12:13]
	s_barrier
	ds_write2_b64 v18, v[2:3], v[6:7] offset1:1
	ds_write2_b64 v18, v[10:11], v[4:5] offset0:2 offset1:3
	v_mov_b32_e32 v6, v50
	s_waitcnt lgkmcnt(0)
	s_barrier
	s_and_saveexec_b64 s[14:15], s[4:5]
	s_cbranch_execz .LBB136_54
; %bb.51:                               ;   in Loop: Header=BB136_2 Depth=1
	s_mov_b64 s[16:17], 0
	v_mov_b32_e32 v6, v50
	v_mov_b32_e32 v2, v51
.LBB136_52:                             ;   Parent Loop BB136_2 Depth=1
                                        ; =>  This Inner Loop Header: Depth=2
	v_sub_u32_e32 v3, v2, v6
	v_lshrrev_b32_e32 v4, 31, v3
	v_add_u32_e32 v3, v3, v4
	v_ashrrev_i32_e32 v3, 1, v3
	v_add_u32_e32 v3, v3, v6
	v_lshl_add_u32 v4, v3, 3, v67
	v_xad_u32 v5, v3, -1, v47
	v_lshl_add_u32 v7, v5, 3, v68
	ds_read_b64 v[4:5], v4
	ds_read_b64 v[8:9], v7
	v_add_u32_e32 v7, 1, v3
	s_waitcnt lgkmcnt(0)
	v_cmp_lt_i64_e64 s[12:13], v[8:9], v[4:5]
	s_nop 1
	v_cndmask_b32_e64 v2, v2, v3, s[12:13]
	v_cndmask_b32_e64 v6, v7, v6, s[12:13]
	v_cmp_ge_i32_e64 s[12:13], v6, v2
	s_or_b64 s[16:17], s[12:13], s[16:17]
	s_andn2_b64 exec, exec, s[16:17]
	s_cbranch_execnz .LBB136_52
; %bb.53:                               ;   in Loop: Header=BB136_2 Depth=1
	s_or_b64 exec, exec, s[16:17]
.LBB136_54:                             ;   in Loop: Header=BB136_2 Depth=1
	s_or_b64 exec, exec, s[14:15]
	v_sub_u32_e32 v10, v69, v6
	v_lshl_add_u32 v8, v6, 3, v67
	v_lshlrev_b32_e32 v12, 3, v10
	ds_read_b64 v[2:3], v8
	ds_read_b64 v[4:5], v12
	v_add_u32_e32 v11, v6, v46
	v_cmp_le_i32_e64 s[14:15], v48, v11
	v_cmp_gt_i32_e64 s[12:13], v49, v10
                                        ; implicit-def: $vgpr6_vgpr7
	s_waitcnt lgkmcnt(0)
	v_cmp_lt_i64_e64 s[16:17], v[4:5], v[2:3]
	s_or_b64 s[14:15], s[14:15], s[16:17]
	s_and_b64 s[12:13], s[12:13], s[14:15]
	s_xor_b64 s[14:15], s[12:13], -1
	s_and_saveexec_b64 s[16:17], s[14:15]
	s_xor_b64 s[14:15], exec, s[16:17]
	s_cbranch_execz .LBB136_56
; %bb.55:                               ;   in Loop: Header=BB136_2 Depth=1
	ds_read_b64 v[6:7], v8 offset:8
                                        ; implicit-def: $vgpr12
.LBB136_56:                             ;   in Loop: Header=BB136_2 Depth=1
	s_or_saveexec_b64 s[14:15], s[14:15]
	v_mov_b64_e32 v[8:9], v[4:5]
	s_xor_b64 exec, exec, s[14:15]
	s_cbranch_execz .LBB136_58
; %bb.57:                               ;   in Loop: Header=BB136_2 Depth=1
	ds_read_b64 v[8:9], v12 offset:8
	s_waitcnt lgkmcnt(1)
	v_mov_b64_e32 v[6:7], v[2:3]
.LBB136_58:                             ;   in Loop: Header=BB136_2 Depth=1
	s_or_b64 exec, exec, s[14:15]
	v_add_u32_e32 v13, 1, v11
	v_add_u32_e32 v12, 1, v10
	v_cndmask_b32_e64 v15, v13, v11, s[12:13]
	v_cndmask_b32_e64 v14, v10, v12, s[12:13]
	v_cmp_ge_i32_e64 s[16:17], v15, v48
	s_waitcnt lgkmcnt(0)
	v_cmp_lt_i64_e64 s[18:19], v[8:9], v[6:7]
	v_cmp_lt_i32_e64 s[14:15], v14, v49
	s_or_b64 s[16:17], s[16:17], s[18:19]
	s_and_b64 s[14:15], s[14:15], s[16:17]
	s_xor_b64 s[16:17], s[14:15], -1
                                        ; implicit-def: $vgpr10_vgpr11
	s_and_saveexec_b64 s[18:19], s[16:17]
	s_xor_b64 s[16:17], exec, s[18:19]
	s_cbranch_execz .LBB136_60
; %bb.59:                               ;   in Loop: Header=BB136_2 Depth=1
	v_lshlrev_b32_e32 v10, 3, v15
	ds_read_b64 v[10:11], v10 offset:8
.LBB136_60:                             ;   in Loop: Header=BB136_2 Depth=1
	s_or_saveexec_b64 s[16:17], s[16:17]
	v_mov_b64_e32 v[12:13], v[8:9]
	s_xor_b64 exec, exec, s[16:17]
	s_cbranch_execz .LBB136_62
; %bb.61:                               ;   in Loop: Header=BB136_2 Depth=1
	s_waitcnt lgkmcnt(0)
	v_lshlrev_b32_e32 v10, 3, v14
	ds_read_b64 v[12:13], v10 offset:8
	v_mov_b64_e32 v[10:11], v[6:7]
.LBB136_62:                             ;   in Loop: Header=BB136_2 Depth=1
	s_or_b64 exec, exec, s[16:17]
	v_add_u32_e32 v17, 1, v15
	v_add_u32_e32 v16, 1, v14
	v_cndmask_b32_e64 v78, v17, v15, s[14:15]
	v_cndmask_b32_e64 v77, v14, v16, s[14:15]
	v_cmp_ge_i32_e64 s[18:19], v78, v48
	s_waitcnt lgkmcnt(0)
	v_cmp_lt_i64_e64 s[20:21], v[12:13], v[10:11]
	v_cmp_lt_i32_e64 s[16:17], v77, v49
	s_or_b64 s[18:19], s[18:19], s[20:21]
	s_and_b64 s[16:17], s[16:17], s[18:19]
	s_xor_b64 s[18:19], s[16:17], -1
                                        ; implicit-def: $vgpr14_vgpr15
	s_and_saveexec_b64 s[20:21], s[18:19]
	s_xor_b64 s[18:19], exec, s[20:21]
	s_cbranch_execz .LBB136_64
; %bb.63:                               ;   in Loop: Header=BB136_2 Depth=1
	v_lshlrev_b32_e32 v14, 3, v78
	ds_read_b64 v[14:15], v14 offset:8
.LBB136_64:                             ;   in Loop: Header=BB136_2 Depth=1
	s_or_saveexec_b64 s[18:19], s[18:19]
	v_mov_b64_e32 v[16:17], v[12:13]
	s_xor_b64 exec, exec, s[18:19]
	s_cbranch_execz .LBB136_66
; %bb.65:                               ;   in Loop: Header=BB136_2 Depth=1
	s_waitcnt lgkmcnt(0)
	v_lshlrev_b32_e32 v14, 3, v77
	ds_read_b64 v[16:17], v14 offset:8
	v_mov_b64_e32 v[14:15], v[10:11]
.LBB136_66:                             ;   in Loop: Header=BB136_2 Depth=1
	s_or_b64 exec, exec, s[18:19]
	v_cndmask_b32_e64 v11, v11, v13, s[16:17]
	v_add_u32_e32 v13, 1, v78
	v_cndmask_b32_e64 v10, v10, v12, s[16:17]
	v_add_u32_e32 v12, 1, v77
	v_cndmask_b32_e64 v13, v13, v78, s[16:17]
	v_cndmask_b32_e64 v12, v77, v12, s[16:17]
	;; [unrolled: 1-line block ×4, first 2 shown]
	v_cmp_ge_i32_e64 s[14:15], v13, v48
	s_waitcnt lgkmcnt(0)
	v_cmp_lt_i64_e64 s[16:17], v[16:17], v[14:15]
	v_cndmask_b32_e64 v3, v3, v5, s[12:13]
	v_cndmask_b32_e64 v2, v2, v4, s[12:13]
	v_cmp_lt_i32_e64 s[12:13], v12, v49
	s_or_b64 s[14:15], s[14:15], s[16:17]
	s_and_b64 s[12:13], s[12:13], s[14:15]
	v_cndmask_b32_e64 v5, v15, v17, s[12:13]
	v_cndmask_b32_e64 v4, v14, v16, s[12:13]
	s_barrier
	ds_write2_b64 v18, v[2:3], v[6:7] offset1:1
	ds_write2_b64 v18, v[10:11], v[4:5] offset0:2 offset1:3
	v_mov_b32_e32 v6, v56
	s_waitcnt lgkmcnt(0)
	s_barrier
	s_and_saveexec_b64 s[14:15], s[6:7]
	s_cbranch_execz .LBB136_70
; %bb.67:                               ;   in Loop: Header=BB136_2 Depth=1
	s_mov_b64 s[16:17], 0
	v_mov_b32_e32 v6, v56
	v_mov_b32_e32 v2, v57
.LBB136_68:                             ;   Parent Loop BB136_2 Depth=1
                                        ; =>  This Inner Loop Header: Depth=2
	v_sub_u32_e32 v3, v2, v6
	v_lshrrev_b32_e32 v4, 31, v3
	v_add_u32_e32 v3, v3, v4
	v_ashrrev_i32_e32 v3, 1, v3
	v_add_u32_e32 v3, v3, v6
	v_lshl_add_u32 v4, v3, 3, v70
	v_xad_u32 v5, v3, -1, v53
	v_lshl_add_u32 v7, v5, 3, v71
	ds_read_b64 v[4:5], v4
	ds_read_b64 v[8:9], v7
	v_add_u32_e32 v7, 1, v3
	s_waitcnt lgkmcnt(0)
	v_cmp_lt_i64_e64 s[12:13], v[8:9], v[4:5]
	s_nop 1
	v_cndmask_b32_e64 v2, v2, v3, s[12:13]
	v_cndmask_b32_e64 v6, v7, v6, s[12:13]
	v_cmp_ge_i32_e64 s[12:13], v6, v2
	s_or_b64 s[16:17], s[12:13], s[16:17]
	s_andn2_b64 exec, exec, s[16:17]
	s_cbranch_execnz .LBB136_68
; %bb.69:                               ;   in Loop: Header=BB136_2 Depth=1
	s_or_b64 exec, exec, s[16:17]
.LBB136_70:                             ;   in Loop: Header=BB136_2 Depth=1
	s_or_b64 exec, exec, s[14:15]
	v_sub_u32_e32 v10, v72, v6
	v_lshl_add_u32 v8, v6, 3, v70
	v_lshlrev_b32_e32 v12, 3, v10
	ds_read_b64 v[2:3], v8
	ds_read_b64 v[4:5], v12
	v_add_u32_e32 v11, v6, v52
	v_cmp_le_i32_e64 s[14:15], v54, v11
	v_cmp_gt_i32_e64 s[12:13], v55, v10
                                        ; implicit-def: $vgpr6_vgpr7
	s_waitcnt lgkmcnt(0)
	v_cmp_lt_i64_e64 s[16:17], v[4:5], v[2:3]
	s_or_b64 s[14:15], s[14:15], s[16:17]
	s_and_b64 s[12:13], s[12:13], s[14:15]
	s_xor_b64 s[14:15], s[12:13], -1
	s_and_saveexec_b64 s[16:17], s[14:15]
	s_xor_b64 s[14:15], exec, s[16:17]
	s_cbranch_execz .LBB136_72
; %bb.71:                               ;   in Loop: Header=BB136_2 Depth=1
	ds_read_b64 v[6:7], v8 offset:8
                                        ; implicit-def: $vgpr12
.LBB136_72:                             ;   in Loop: Header=BB136_2 Depth=1
	s_or_saveexec_b64 s[14:15], s[14:15]
	v_mov_b64_e32 v[8:9], v[4:5]
	s_xor_b64 exec, exec, s[14:15]
	s_cbranch_execz .LBB136_74
; %bb.73:                               ;   in Loop: Header=BB136_2 Depth=1
	ds_read_b64 v[8:9], v12 offset:8
	s_waitcnt lgkmcnt(1)
	v_mov_b64_e32 v[6:7], v[2:3]
.LBB136_74:                             ;   in Loop: Header=BB136_2 Depth=1
	s_or_b64 exec, exec, s[14:15]
	v_add_u32_e32 v13, 1, v11
	v_add_u32_e32 v12, 1, v10
	v_cndmask_b32_e64 v15, v13, v11, s[12:13]
	v_cndmask_b32_e64 v14, v10, v12, s[12:13]
	v_cmp_ge_i32_e64 s[16:17], v15, v54
	s_waitcnt lgkmcnt(0)
	v_cmp_lt_i64_e64 s[18:19], v[8:9], v[6:7]
	v_cmp_lt_i32_e64 s[14:15], v14, v55
	s_or_b64 s[16:17], s[16:17], s[18:19]
	s_and_b64 s[14:15], s[14:15], s[16:17]
	s_xor_b64 s[16:17], s[14:15], -1
                                        ; implicit-def: $vgpr10_vgpr11
	s_and_saveexec_b64 s[18:19], s[16:17]
	s_xor_b64 s[16:17], exec, s[18:19]
	s_cbranch_execz .LBB136_76
; %bb.75:                               ;   in Loop: Header=BB136_2 Depth=1
	v_lshlrev_b32_e32 v10, 3, v15
	ds_read_b64 v[10:11], v10 offset:8
.LBB136_76:                             ;   in Loop: Header=BB136_2 Depth=1
	s_or_saveexec_b64 s[16:17], s[16:17]
	v_mov_b64_e32 v[12:13], v[8:9]
	s_xor_b64 exec, exec, s[16:17]
	s_cbranch_execz .LBB136_78
; %bb.77:                               ;   in Loop: Header=BB136_2 Depth=1
	s_waitcnt lgkmcnt(0)
	v_lshlrev_b32_e32 v10, 3, v14
	ds_read_b64 v[12:13], v10 offset:8
	v_mov_b64_e32 v[10:11], v[6:7]
.LBB136_78:                             ;   in Loop: Header=BB136_2 Depth=1
	s_or_b64 exec, exec, s[16:17]
	v_add_u32_e32 v17, 1, v15
	v_add_u32_e32 v16, 1, v14
	v_cndmask_b32_e64 v78, v17, v15, s[14:15]
	v_cndmask_b32_e64 v77, v14, v16, s[14:15]
	v_cmp_ge_i32_e64 s[18:19], v78, v54
	s_waitcnt lgkmcnt(0)
	v_cmp_lt_i64_e64 s[20:21], v[12:13], v[10:11]
	v_cmp_lt_i32_e64 s[16:17], v77, v55
	s_or_b64 s[18:19], s[18:19], s[20:21]
	s_and_b64 s[16:17], s[16:17], s[18:19]
	s_xor_b64 s[18:19], s[16:17], -1
                                        ; implicit-def: $vgpr14_vgpr15
	s_and_saveexec_b64 s[20:21], s[18:19]
	s_xor_b64 s[18:19], exec, s[20:21]
	s_cbranch_execz .LBB136_80
; %bb.79:                               ;   in Loop: Header=BB136_2 Depth=1
	v_lshlrev_b32_e32 v14, 3, v78
	ds_read_b64 v[14:15], v14 offset:8
.LBB136_80:                             ;   in Loop: Header=BB136_2 Depth=1
	s_or_saveexec_b64 s[18:19], s[18:19]
	v_mov_b64_e32 v[16:17], v[12:13]
	s_xor_b64 exec, exec, s[18:19]
	s_cbranch_execz .LBB136_82
; %bb.81:                               ;   in Loop: Header=BB136_2 Depth=1
	s_waitcnt lgkmcnt(0)
	v_lshlrev_b32_e32 v14, 3, v77
	ds_read_b64 v[16:17], v14 offset:8
	v_mov_b64_e32 v[14:15], v[10:11]
.LBB136_82:                             ;   in Loop: Header=BB136_2 Depth=1
	s_or_b64 exec, exec, s[18:19]
	v_cndmask_b32_e64 v11, v11, v13, s[16:17]
	v_add_u32_e32 v13, 1, v78
	v_cndmask_b32_e64 v10, v10, v12, s[16:17]
	v_add_u32_e32 v12, 1, v77
	v_cndmask_b32_e64 v13, v13, v78, s[16:17]
	v_cndmask_b32_e64 v12, v77, v12, s[16:17]
	;; [unrolled: 1-line block ×4, first 2 shown]
	v_cmp_ge_i32_e64 s[14:15], v13, v54
	s_waitcnt lgkmcnt(0)
	v_cmp_lt_i64_e64 s[16:17], v[16:17], v[14:15]
	v_cndmask_b32_e64 v3, v3, v5, s[12:13]
	v_cndmask_b32_e64 v2, v2, v4, s[12:13]
	v_cmp_lt_i32_e64 s[12:13], v12, v55
	s_or_b64 s[14:15], s[14:15], s[16:17]
	s_and_b64 s[12:13], s[12:13], s[14:15]
	v_cndmask_b32_e64 v5, v15, v17, s[12:13]
	v_cndmask_b32_e64 v4, v14, v16, s[12:13]
	s_barrier
	ds_write2_b64 v18, v[2:3], v[6:7] offset1:1
	ds_write2_b64 v18, v[10:11], v[4:5] offset0:2 offset1:3
	v_mov_b32_e32 v6, v63
	s_waitcnt lgkmcnt(0)
	s_barrier
	s_and_saveexec_b64 s[14:15], s[8:9]
	s_cbranch_execz .LBB136_86
; %bb.83:                               ;   in Loop: Header=BB136_2 Depth=1
	s_mov_b64 s[16:17], 0
	v_mov_b32_e32 v6, v63
	v_mov_b32_e32 v2, v64
.LBB136_84:                             ;   Parent Loop BB136_2 Depth=1
                                        ; =>  This Inner Loop Header: Depth=2
	v_sub_u32_e32 v3, v2, v6
	v_lshrrev_b32_e32 v4, 31, v3
	v_add_u32_e32 v3, v3, v4
	v_ashrrev_i32_e32 v3, 1, v3
	v_add_u32_e32 v3, v3, v6
	v_lshl_add_u32 v4, v3, 3, v73
	v_xad_u32 v5, v3, -1, v60
	v_lshl_add_u32 v7, v5, 3, v74
	ds_read_b64 v[4:5], v4
	ds_read_b64 v[8:9], v7
	v_add_u32_e32 v7, 1, v3
	s_waitcnt lgkmcnt(0)
	v_cmp_lt_i64_e64 s[12:13], v[8:9], v[4:5]
	s_nop 1
	v_cndmask_b32_e64 v2, v2, v3, s[12:13]
	v_cndmask_b32_e64 v6, v7, v6, s[12:13]
	v_cmp_ge_i32_e64 s[12:13], v6, v2
	s_or_b64 s[16:17], s[12:13], s[16:17]
	s_andn2_b64 exec, exec, s[16:17]
	s_cbranch_execnz .LBB136_84
; %bb.85:                               ;   in Loop: Header=BB136_2 Depth=1
	s_or_b64 exec, exec, s[16:17]
.LBB136_86:                             ;   in Loop: Header=BB136_2 Depth=1
	s_or_b64 exec, exec, s[14:15]
	v_sub_u32_e32 v10, v75, v6
	v_lshl_add_u32 v8, v6, 3, v73
	v_lshlrev_b32_e32 v12, 3, v10
	ds_read_b64 v[2:3], v8
	ds_read_b64 v[4:5], v12
	v_add_u32_e32 v11, v6, v59
	v_cmp_le_i32_e64 s[14:15], v61, v11
	v_cmp_gt_i32_e64 s[12:13], v62, v10
                                        ; implicit-def: $vgpr6_vgpr7
	s_waitcnt lgkmcnt(0)
	v_cmp_lt_i64_e64 s[16:17], v[4:5], v[2:3]
	s_or_b64 s[14:15], s[14:15], s[16:17]
	s_and_b64 s[12:13], s[12:13], s[14:15]
	s_xor_b64 s[14:15], s[12:13], -1
	s_and_saveexec_b64 s[16:17], s[14:15]
	s_xor_b64 s[14:15], exec, s[16:17]
	s_cbranch_execz .LBB136_88
; %bb.87:                               ;   in Loop: Header=BB136_2 Depth=1
	ds_read_b64 v[6:7], v8 offset:8
                                        ; implicit-def: $vgpr12
.LBB136_88:                             ;   in Loop: Header=BB136_2 Depth=1
	s_or_saveexec_b64 s[14:15], s[14:15]
	v_mov_b64_e32 v[8:9], v[4:5]
	s_xor_b64 exec, exec, s[14:15]
	s_cbranch_execz .LBB136_90
; %bb.89:                               ;   in Loop: Header=BB136_2 Depth=1
	ds_read_b64 v[8:9], v12 offset:8
	s_waitcnt lgkmcnt(1)
	v_mov_b64_e32 v[6:7], v[2:3]
.LBB136_90:                             ;   in Loop: Header=BB136_2 Depth=1
	s_or_b64 exec, exec, s[14:15]
	v_add_u32_e32 v13, 1, v11
	v_add_u32_e32 v12, 1, v10
	v_cndmask_b32_e64 v15, v13, v11, s[12:13]
	v_cndmask_b32_e64 v14, v10, v12, s[12:13]
	v_cmp_ge_i32_e64 s[16:17], v15, v61
	s_waitcnt lgkmcnt(0)
	v_cmp_lt_i64_e64 s[18:19], v[8:9], v[6:7]
	v_cmp_lt_i32_e64 s[14:15], v14, v62
	s_or_b64 s[16:17], s[16:17], s[18:19]
	s_and_b64 s[14:15], s[14:15], s[16:17]
	s_xor_b64 s[16:17], s[14:15], -1
                                        ; implicit-def: $vgpr10_vgpr11
	s_and_saveexec_b64 s[18:19], s[16:17]
	s_xor_b64 s[16:17], exec, s[18:19]
	s_cbranch_execz .LBB136_92
; %bb.91:                               ;   in Loop: Header=BB136_2 Depth=1
	v_lshlrev_b32_e32 v10, 3, v15
	ds_read_b64 v[10:11], v10 offset:8
.LBB136_92:                             ;   in Loop: Header=BB136_2 Depth=1
	s_or_saveexec_b64 s[16:17], s[16:17]
	v_mov_b64_e32 v[12:13], v[8:9]
	s_xor_b64 exec, exec, s[16:17]
	s_cbranch_execz .LBB136_94
; %bb.93:                               ;   in Loop: Header=BB136_2 Depth=1
	s_waitcnt lgkmcnt(0)
	v_lshlrev_b32_e32 v10, 3, v14
	ds_read_b64 v[12:13], v10 offset:8
	v_mov_b64_e32 v[10:11], v[6:7]
.LBB136_94:                             ;   in Loop: Header=BB136_2 Depth=1
	s_or_b64 exec, exec, s[16:17]
	v_add_u32_e32 v17, 1, v15
	v_add_u32_e32 v16, 1, v14
	v_cndmask_b32_e64 v78, v17, v15, s[14:15]
	v_cndmask_b32_e64 v77, v14, v16, s[14:15]
	v_cmp_ge_i32_e64 s[18:19], v78, v61
	s_waitcnt lgkmcnt(0)
	v_cmp_lt_i64_e64 s[20:21], v[12:13], v[10:11]
	v_cmp_lt_i32_e64 s[16:17], v77, v62
	s_or_b64 s[18:19], s[18:19], s[20:21]
	s_and_b64 s[16:17], s[16:17], s[18:19]
	s_xor_b64 s[18:19], s[16:17], -1
                                        ; implicit-def: $vgpr14_vgpr15
	s_and_saveexec_b64 s[20:21], s[18:19]
	s_xor_b64 s[18:19], exec, s[20:21]
	s_cbranch_execz .LBB136_96
; %bb.95:                               ;   in Loop: Header=BB136_2 Depth=1
	v_lshlrev_b32_e32 v14, 3, v78
	ds_read_b64 v[14:15], v14 offset:8
.LBB136_96:                             ;   in Loop: Header=BB136_2 Depth=1
	s_or_saveexec_b64 s[18:19], s[18:19]
	v_mov_b64_e32 v[16:17], v[12:13]
	s_xor_b64 exec, exec, s[18:19]
	s_cbranch_execz .LBB136_98
; %bb.97:                               ;   in Loop: Header=BB136_2 Depth=1
	s_waitcnt lgkmcnt(0)
	v_lshlrev_b32_e32 v14, 3, v77
	ds_read_b64 v[16:17], v14 offset:8
	v_mov_b64_e32 v[14:15], v[10:11]
.LBB136_98:                             ;   in Loop: Header=BB136_2 Depth=1
	s_or_b64 exec, exec, s[18:19]
	v_cndmask_b32_e64 v11, v11, v13, s[16:17]
	v_add_u32_e32 v13, 1, v78
	v_cndmask_b32_e64 v10, v10, v12, s[16:17]
	v_add_u32_e32 v12, 1, v77
	v_cndmask_b32_e64 v13, v13, v78, s[16:17]
	v_cndmask_b32_e64 v12, v77, v12, s[16:17]
	;; [unrolled: 1-line block ×4, first 2 shown]
	v_cmp_ge_i32_e64 s[14:15], v13, v61
	s_waitcnt lgkmcnt(0)
	v_cmp_lt_i64_e64 s[16:17], v[16:17], v[14:15]
	v_cndmask_b32_e64 v3, v3, v5, s[12:13]
	v_cndmask_b32_e64 v2, v2, v4, s[12:13]
	v_cmp_lt_i32_e64 s[12:13], v12, v62
	s_or_b64 s[14:15], s[14:15], s[16:17]
	s_and_b64 s[12:13], s[12:13], s[14:15]
	v_cndmask_b32_e64 v5, v15, v17, s[12:13]
	v_cndmask_b32_e64 v4, v14, v16, s[12:13]
	s_barrier
	ds_write2_b64 v18, v[2:3], v[6:7] offset1:1
	ds_write2_b64 v18, v[10:11], v[4:5] offset0:2 offset1:3
	v_mov_b32_e32 v10, v65
	s_waitcnt lgkmcnt(0)
	s_barrier
	s_and_saveexec_b64 s[14:15], s[10:11]
	s_cbranch_execz .LBB136_102
; %bb.99:                               ;   in Loop: Header=BB136_2 Depth=1
	s_mov_b64 s[16:17], 0
	v_mov_b32_e32 v10, v65
	v_mov_b32_e32 v2, v66
.LBB136_100:                            ;   Parent Loop BB136_2 Depth=1
                                        ; =>  This Inner Loop Header: Depth=2
	v_sub_u32_e32 v3, v2, v10
	v_lshrrev_b32_e32 v4, 31, v3
	v_add_u32_e32 v3, v3, v4
	v_ashrrev_i32_e32 v3, 1, v3
	v_add_u32_e32 v3, v3, v10
	v_xad_u32 v5, v3, -1, v1
	v_mov_b32_e32 v6, 0x800
	v_lshlrev_b32_e32 v4, 3, v3
	v_lshl_add_u32 v6, v5, 3, v6
	ds_read_b64 v[4:5], v4
	ds_read_b64 v[6:7], v6
	v_add_u32_e32 v8, 1, v3
	s_waitcnt lgkmcnt(0)
	v_cmp_lt_i64_e64 s[12:13], v[6:7], v[4:5]
	s_nop 1
	v_cndmask_b32_e64 v2, v2, v3, s[12:13]
	v_cndmask_b32_e64 v10, v8, v10, s[12:13]
	v_cmp_ge_i32_e64 s[12:13], v10, v2
	s_or_b64 s[16:17], s[12:13], s[16:17]
	s_andn2_b64 exec, exec, s[16:17]
	s_cbranch_execnz .LBB136_100
; %bb.101:                              ;   in Loop: Header=BB136_2 Depth=1
	s_or_b64 exec, exec, s[16:17]
.LBB136_102:                            ;   in Loop: Header=BB136_2 Depth=1
	s_or_b64 exec, exec, s[14:15]
	v_sub_u32_e32 v11, v76, v10
	v_lshlrev_b32_e32 v8, 3, v10
	v_lshlrev_b32_e32 v12, 3, v11
	ds_read_b64 v[2:3], v8
	ds_read_b64 v[4:5], v12
	v_cmp_le_i32_e64 s[14:15], v58, v10
	v_cmp_gt_i32_e64 s[12:13], s24, v11
                                        ; implicit-def: $vgpr6_vgpr7
	s_waitcnt lgkmcnt(0)
	v_cmp_lt_i64_e64 s[16:17], v[4:5], v[2:3]
	s_or_b64 s[14:15], s[14:15], s[16:17]
	s_and_b64 s[12:13], s[12:13], s[14:15]
	s_xor_b64 s[14:15], s[12:13], -1
	s_and_saveexec_b64 s[16:17], s[14:15]
	s_xor_b64 s[14:15], exec, s[16:17]
	s_cbranch_execz .LBB136_104
; %bb.103:                              ;   in Loop: Header=BB136_2 Depth=1
	ds_read_b64 v[6:7], v8 offset:8
                                        ; implicit-def: $vgpr12
.LBB136_104:                            ;   in Loop: Header=BB136_2 Depth=1
	s_or_saveexec_b64 s[14:15], s[14:15]
	v_mov_b64_e32 v[8:9], v[4:5]
	s_xor_b64 exec, exec, s[14:15]
	s_cbranch_execz .LBB136_106
; %bb.105:                              ;   in Loop: Header=BB136_2 Depth=1
	ds_read_b64 v[8:9], v12 offset:8
	s_waitcnt lgkmcnt(1)
	v_mov_b64_e32 v[6:7], v[2:3]
.LBB136_106:                            ;   in Loop: Header=BB136_2 Depth=1
	s_or_b64 exec, exec, s[14:15]
	v_add_u32_e32 v13, 1, v10
	v_add_u32_e32 v12, 1, v11
	v_cndmask_b32_e64 v15, v13, v10, s[12:13]
	v_cndmask_b32_e64 v14, v11, v12, s[12:13]
	v_cmp_ge_i32_e64 s[16:17], v15, v58
	s_waitcnt lgkmcnt(0)
	v_cmp_lt_i64_e64 s[18:19], v[8:9], v[6:7]
	v_cmp_gt_i32_e64 s[14:15], s24, v14
	s_or_b64 s[16:17], s[16:17], s[18:19]
	s_and_b64 s[14:15], s[14:15], s[16:17]
	s_xor_b64 s[16:17], s[14:15], -1
                                        ; implicit-def: $vgpr10_vgpr11
	s_and_saveexec_b64 s[18:19], s[16:17]
	s_xor_b64 s[16:17], exec, s[18:19]
	s_cbranch_execz .LBB136_108
; %bb.107:                              ;   in Loop: Header=BB136_2 Depth=1
	v_lshlrev_b32_e32 v10, 3, v15
	ds_read_b64 v[10:11], v10 offset:8
.LBB136_108:                            ;   in Loop: Header=BB136_2 Depth=1
	s_or_saveexec_b64 s[16:17], s[16:17]
	v_mov_b64_e32 v[12:13], v[8:9]
	s_xor_b64 exec, exec, s[16:17]
	s_cbranch_execz .LBB136_110
; %bb.109:                              ;   in Loop: Header=BB136_2 Depth=1
	s_waitcnt lgkmcnt(0)
	v_lshlrev_b32_e32 v10, 3, v14
	ds_read_b64 v[12:13], v10 offset:8
	v_mov_b64_e32 v[10:11], v[6:7]
.LBB136_110:                            ;   in Loop: Header=BB136_2 Depth=1
	s_or_b64 exec, exec, s[16:17]
	v_add_u32_e32 v17, 1, v15
	v_add_u32_e32 v16, 1, v14
	v_cndmask_b32_e64 v79, v17, v15, s[14:15]
	v_cndmask_b32_e64 v77, v14, v16, s[14:15]
	v_cmp_ge_i32_e64 s[18:19], v79, v58
	s_waitcnt lgkmcnt(0)
	v_cmp_lt_i64_e64 s[20:21], v[12:13], v[10:11]
	v_cmp_gt_i32_e64 s[16:17], s24, v77
	s_or_b64 s[18:19], s[18:19], s[20:21]
	s_and_b64 s[16:17], s[16:17], s[18:19]
	s_xor_b64 s[18:19], s[16:17], -1
                                        ; implicit-def: $vgpr14_vgpr15
                                        ; implicit-def: $vgpr78
	s_and_saveexec_b64 s[20:21], s[18:19]
	s_xor_b64 s[18:19], exec, s[20:21]
	s_cbranch_execz .LBB136_112
; %bb.111:                              ;   in Loop: Header=BB136_2 Depth=1
	v_lshlrev_b32_e32 v14, 3, v79
	ds_read_b64 v[14:15], v14 offset:8
	v_add_u32_e32 v78, 1, v79
                                        ; implicit-def: $vgpr79
.LBB136_112:                            ;   in Loop: Header=BB136_2 Depth=1
	s_or_saveexec_b64 s[18:19], s[18:19]
	v_mov_b64_e32 v[16:17], v[12:13]
	s_xor_b64 exec, exec, s[18:19]
	s_cbranch_execz .LBB136_1
; %bb.113:                              ;   in Loop: Header=BB136_2 Depth=1
	s_waitcnt lgkmcnt(0)
	v_lshlrev_b32_e32 v14, 3, v77
	ds_read_b64 v[16:17], v14 offset:8
	v_add_u32_e32 v77, 1, v77
	v_mov_b32_e32 v78, v79
	v_mov_b64_e32 v[14:15], v[10:11]
	s_branch .LBB136_1
.LBB136_114:
	s_add_u32 s0, s22, s26
	s_addc_u32 s1, s23, s27
	v_lshlrev_b32_e32 v0, 3, v0
	global_store_dwordx2 v0, v[4:5], s[0:1]
	global_store_dwordx2 v0, v[6:7], s[0:1] offset:1024
	global_store_dwordx2 v0, v[2:3], s[0:1] offset:2048
	;; [unrolled: 1-line block ×3, first 2 shown]
	s_endpgm
	.section	.rodata,"a",@progbits
	.p2align	6, 0x0
	.amdhsa_kernel _Z16sort_keys_kernelIxLj128ELj4EN10test_utils4lessELj10EEvPKT_PS2_T2_
		.amdhsa_group_segment_fixed_size 4104
		.amdhsa_private_segment_fixed_size 0
		.amdhsa_kernarg_size 20
		.amdhsa_user_sgpr_count 2
		.amdhsa_user_sgpr_dispatch_ptr 0
		.amdhsa_user_sgpr_queue_ptr 0
		.amdhsa_user_sgpr_kernarg_segment_ptr 1
		.amdhsa_user_sgpr_dispatch_id 0
		.amdhsa_user_sgpr_kernarg_preload_length 0
		.amdhsa_user_sgpr_kernarg_preload_offset 0
		.amdhsa_user_sgpr_private_segment_size 0
		.amdhsa_uses_dynamic_stack 0
		.amdhsa_enable_private_segment 0
		.amdhsa_system_sgpr_workgroup_id_x 1
		.amdhsa_system_sgpr_workgroup_id_y 0
		.amdhsa_system_sgpr_workgroup_id_z 0
		.amdhsa_system_sgpr_workgroup_info 0
		.amdhsa_system_vgpr_workitem_id 0
		.amdhsa_next_free_vgpr 81
		.amdhsa_next_free_sgpr 28
		.amdhsa_accum_offset 84
		.amdhsa_reserve_vcc 1
		.amdhsa_float_round_mode_32 0
		.amdhsa_float_round_mode_16_64 0
		.amdhsa_float_denorm_mode_32 3
		.amdhsa_float_denorm_mode_16_64 3
		.amdhsa_dx10_clamp 1
		.amdhsa_ieee_mode 1
		.amdhsa_fp16_overflow 0
		.amdhsa_tg_split 0
		.amdhsa_exception_fp_ieee_invalid_op 0
		.amdhsa_exception_fp_denorm_src 0
		.amdhsa_exception_fp_ieee_div_zero 0
		.amdhsa_exception_fp_ieee_overflow 0
		.amdhsa_exception_fp_ieee_underflow 0
		.amdhsa_exception_fp_ieee_inexact 0
		.amdhsa_exception_int_div_zero 0
	.end_amdhsa_kernel
	.section	.text._Z16sort_keys_kernelIxLj128ELj4EN10test_utils4lessELj10EEvPKT_PS2_T2_,"axG",@progbits,_Z16sort_keys_kernelIxLj128ELj4EN10test_utils4lessELj10EEvPKT_PS2_T2_,comdat
.Lfunc_end136:
	.size	_Z16sort_keys_kernelIxLj128ELj4EN10test_utils4lessELj10EEvPKT_PS2_T2_, .Lfunc_end136-_Z16sort_keys_kernelIxLj128ELj4EN10test_utils4lessELj10EEvPKT_PS2_T2_
                                        ; -- End function
	.section	.AMDGPU.csdata,"",@progbits
; Kernel info:
; codeLenInByte = 5824
; NumSgprs: 34
; NumVgprs: 81
; NumAgprs: 0
; TotalNumVgprs: 81
; ScratchSize: 0
; MemoryBound: 0
; FloatMode: 240
; IeeeMode: 1
; LDSByteSize: 4104 bytes/workgroup (compile time only)
; SGPRBlocks: 4
; VGPRBlocks: 10
; NumSGPRsForWavesPerEU: 34
; NumVGPRsForWavesPerEU: 81
; AccumOffset: 84
; Occupancy: 5
; WaveLimiterHint : 1
; COMPUTE_PGM_RSRC2:SCRATCH_EN: 0
; COMPUTE_PGM_RSRC2:USER_SGPR: 2
; COMPUTE_PGM_RSRC2:TRAP_HANDLER: 0
; COMPUTE_PGM_RSRC2:TGID_X_EN: 1
; COMPUTE_PGM_RSRC2:TGID_Y_EN: 0
; COMPUTE_PGM_RSRC2:TGID_Z_EN: 0
; COMPUTE_PGM_RSRC2:TIDIG_COMP_CNT: 0
; COMPUTE_PGM_RSRC3_GFX90A:ACCUM_OFFSET: 20
; COMPUTE_PGM_RSRC3_GFX90A:TG_SPLIT: 0
	.section	.text._Z17sort_pairs_kernelIxLj128ELj4EN10test_utils4lessELj10EEvPKT_PS2_T2_,"axG",@progbits,_Z17sort_pairs_kernelIxLj128ELj4EN10test_utils4lessELj10EEvPKT_PS2_T2_,comdat
	.protected	_Z17sort_pairs_kernelIxLj128ELj4EN10test_utils4lessELj10EEvPKT_PS2_T2_ ; -- Begin function _Z17sort_pairs_kernelIxLj128ELj4EN10test_utils4lessELj10EEvPKT_PS2_T2_
	.globl	_Z17sort_pairs_kernelIxLj128ELj4EN10test_utils4lessELj10EEvPKT_PS2_T2_
	.p2align	8
	.type	_Z17sort_pairs_kernelIxLj128ELj4EN10test_utils4lessELj10EEvPKT_PS2_T2_,@function
_Z17sort_pairs_kernelIxLj128ELj4EN10test_utils4lessELj10EEvPKT_PS2_T2_: ; @_Z17sort_pairs_kernelIxLj128ELj4EN10test_utils4lessELj10EEvPKT_PS2_T2_
; %bb.0:
	s_load_dwordx4 s[36:39], s[0:1], 0x0
	s_lshl_b32 s42, s2, 9
	s_mov_b32 s43, 0
	s_lshl_b64 s[40:41], s[42:43], 3
	v_lshlrev_b32_e32 v1, 3, v0
	s_waitcnt lgkmcnt(0)
	s_add_u32 s0, s36, s40
	s_addc_u32 s1, s37, s41
	global_load_dwordx2 v[10:11], v1, s[0:1]
	global_load_dwordx2 v[14:15], v1, s[0:1] offset:1024
	global_load_dwordx2 v[12:13], v1, s[0:1] offset:2048
	;; [unrolled: 1-line block ×3, first 2 shown]
	v_lshlrev_b32_e32 v1, 2, v0
	v_and_b32_e32 v27, 0x1f8, v1
	v_or_b32_e32 v29, 4, v27
	v_add_u32_e32 v30, 8, v27
	v_and_b32_e32 v36, 0x1f0, v1
	v_and_b32_e32 v28, 4, v1
	v_sub_u32_e32 v3, v30, v29
	v_or_b32_e32 v38, 8, v36
	v_add_u32_e32 v39, 16, v36
	v_and_b32_e32 v45, 0x1e0, v1
	v_sub_u32_e32 v2, v29, v27
	v_sub_u32_e32 v4, v28, v3
	v_cmp_ge_i32_e32 vcc, v28, v3
	v_and_b32_e32 v37, 12, v1
	v_sub_u32_e32 v3, v39, v38
	v_or_b32_e32 v47, 16, v45
	v_add_u32_e32 v48, 32, v45
	v_and_b32_e32 v54, 0x1c0, v1
	v_cndmask_b32_e32 v33, 0, v4, vcc
	v_min_i32_e32 v34, v28, v2
	v_sub_u32_e32 v2, v38, v36
	v_sub_u32_e32 v4, v37, v3
	v_cmp_ge_i32_e64 s[0:1], v37, v3
	v_and_b32_e32 v46, 28, v1
	v_sub_u32_e32 v3, v48, v47
	v_or_b32_e32 v56, 32, v54
	v_add_u32_e32 v57, 64, v54
	v_and_b32_e32 v60, 0x180, v1
	v_cndmask_b32_e64 v42, 0, v4, s[0:1]
	v_min_i32_e32 v43, v37, v2
	v_sub_u32_e32 v2, v47, v45
	v_sub_u32_e32 v4, v46, v3
	v_cmp_ge_i32_e64 s[2:3], v46, v3
	v_and_b32_e32 v55, 60, v1
	v_sub_u32_e32 v3, v57, v56
	v_or_b32_e32 v62, 64, v60
	v_add_u32_e32 v63, 0x80, v60
	v_and_b32_e32 v67, 0x100, v1
	v_cndmask_b32_e64 v51, 0, v4, s[2:3]
	v_min_i32_e32 v52, v46, v2
	v_sub_u32_e32 v2, v56, v54
	v_sub_u32_e32 v4, v55, v3
	v_cmp_ge_i32_e64 s[4:5], v55, v3
	v_and_b32_e32 v61, 0x7c, v1
	v_sub_u32_e32 v3, v63, v62
	v_or_b32_e32 v69, 0x80, v67
	v_add_u32_e32 v70, 0x100, v67
	v_cndmask_b32_e64 v58, 0, v4, s[4:5]
	v_min_i32_e32 v59, v55, v2
	v_sub_u32_e32 v2, v62, v60
	v_sub_u32_e32 v4, v61, v3
	v_cmp_ge_i32_e64 s[6:7], v61, v3
	v_and_b32_e32 v68, 0xfc, v1
	v_sub_u32_e32 v3, v70, v69
	v_cndmask_b32_e64 v64, 0, v4, s[6:7]
	v_min_i32_e32 v65, v61, v2
	v_mov_b32_e32 v66, 0x100
	v_sub_u32_e32 v2, v69, v67
	v_sub_u32_e32 v4, v68, v3
	v_cmp_ge_i32_e64 s[8:9], v68, v3
	v_min_i32_e32 v72, v68, v2
	v_sub_u32_e64 v73, v1, v66 clamp
	v_cndmask_b32_e64 v71, 0, v4, s[8:9]
	v_min_i32_e32 v74, 0x100, v1
	v_lshlrev_b32_e32 v26, 5, v0
	v_lshlrev_b32_e32 v31, 3, v27
	;; [unrolled: 1-line block ×3, first 2 shown]
	v_cmp_lt_i32_e32 vcc, v33, v34
	v_add_u32_e32 v35, v29, v28
	v_lshlrev_b32_e32 v40, 3, v36
	v_lshlrev_b32_e32 v41, 3, v38
	v_cmp_lt_i32_e64 s[0:1], v42, v43
	v_add_u32_e32 v44, v38, v37
	v_lshlrev_b32_e32 v49, 3, v45
	v_lshlrev_b32_e32 v50, 3, v47
	v_cmp_lt_i32_e64 s[2:3], v51, v52
	v_add_u32_e32 v53, v47, v46
	v_cmp_lt_i32_e64 s[4:5], v58, v59
	v_cmp_lt_i32_e64 s[6:7], v64, v65
	v_cmp_lt_i32_e64 s[8:9], v71, v72
	v_cmp_lt_i32_e64 s[10:11], v73, v74
	s_movk_i32 s33, 0x200
	v_lshlrev_b32_e32 v75, 3, v54
	v_lshlrev_b32_e32 v76, 3, v56
	v_add_u32_e32 v77, v56, v55
	v_lshlrev_b32_e32 v78, 3, v60
	v_lshlrev_b32_e32 v79, 3, v62
	v_add_u32_e32 v80, v62, v61
	;; [unrolled: 3-line block ×3, first 2 shown]
	v_add_u32_e32 v84, 0x100, v1
	s_waitcnt vmcnt(3)
	v_lshl_add_u64 v[6:7], v[10:11], 0, 1
	s_waitcnt vmcnt(2)
	v_lshl_add_u64 v[8:9], v[14:15], 0, 1
	;; [unrolled: 2-line block ×4, first 2 shown]
	s_branch .LBB137_2
.LBB137_1:                              ;   in Loop: Header=BB137_2 Depth=1
	s_or_b64 exec, exec, s[18:19]
	v_cndmask_b32_e64 v11, v11, v15, s[12:13]
	v_cndmask_b32_e64 v10, v10, v14, s[12:13]
	v_cndmask_b32_e64 v15, v17, v21, s[16:17]
	v_cndmask_b32_e64 v14, v16, v20, s[16:17]
	v_cndmask_b32_e64 v16, v88, v87, s[16:17]
	v_cmp_ge_i32_e64 s[16:17], v91, v66
	s_waitcnt lgkmcnt(0)
	v_cmp_lt_i64_e64 s[18:19], v[24:25], v[22:23]
	v_cndmask_b32_e64 v13, v13, v19, s[14:15]
	v_cndmask_b32_e64 v19, v85, v86, s[12:13]
	v_cmp_gt_i32_e64 s[12:13], s33, v89
	s_or_b64 s[16:17], s[16:17], s[18:19]
	s_and_b64 s[12:13], s[12:13], s[16:17]
	v_cndmask_b32_e64 v20, v91, v89, s[12:13]
	s_barrier
	ds_write2_b64 v26, v[6:7], v[8:9] offset1:1
	ds_write2_b64 v26, v[2:3], v[4:5] offset0:2 offset1:3
	v_lshlrev_b32_e32 v2, 3, v19
	v_lshlrev_b32_e32 v3, 3, v16
	;; [unrolled: 1-line block ×4, first 2 shown]
	s_waitcnt lgkmcnt(0)
	s_barrier
	ds_read_b64 v[6:7], v2
	ds_read_b64 v[8:9], v3
	;; [unrolled: 1-line block ×4, first 2 shown]
	s_add_i32 s43, s43, 1
	v_cndmask_b32_e64 v17, v23, v25, s[12:13]
	v_cndmask_b32_e64 v12, v12, v18, s[14:15]
	s_cmp_eq_u32 s43, 10
	v_cndmask_b32_e64 v16, v22, v24, s[12:13]
	s_cbranch_scc1 .LBB137_114
.LBB137_2:                              ; =>This Loop Header: Depth=1
                                        ;     Child Loop BB137_4 Depth 2
                                        ;     Child Loop BB137_20 Depth 2
	;; [unrolled: 1-line block ×7, first 2 shown]
	v_cmp_lt_i64_e64 s[12:13], v[14:15], v[10:11]
	v_cmp_lt_i64_e64 s[14:15], v[16:17], v[12:13]
	s_nop 0
	v_cndmask_b32_e64 v19, v11, v15, s[12:13]
	v_cndmask_b32_e64 v18, v10, v14, s[12:13]
	;; [unrolled: 1-line block ×8, first 2 shown]
	v_cmp_lt_i64_e64 s[16:17], v[12:13], v[10:11]
	s_barrier
	s_nop 0
	v_cndmask_b32_e64 v17, v13, v11, s[16:17]
	v_cndmask_b32_e64 v16, v12, v10, s[16:17]
	;; [unrolled: 1-line block ×4, first 2 shown]
	v_cmp_lt_i64_e64 s[18:19], v[10:11], v[18:19]
	v_cmp_lt_i64_e64 s[20:21], v[14:15], v[16:17]
	s_nop 0
	v_cndmask_b32_e64 v13, v11, v19, s[18:19]
	v_cndmask_b32_e64 v12, v10, v18, s[18:19]
	;; [unrolled: 1-line block ×8, first 2 shown]
	v_cmp_lt_i64_e64 s[22:23], v[14:15], v[12:13]
	s_nop 1
	v_cndmask_b32_e64 v17, v15, v13, s[22:23]
	v_cndmask_b32_e64 v16, v14, v12, s[22:23]
	;; [unrolled: 1-line block ×4, first 2 shown]
	v_mov_b32_e32 v14, v33
	ds_write2_b64 v26, v[10:11], v[12:13] offset1:1
	ds_write2_b64 v26, v[16:17], v[18:19] offset0:2 offset1:3
	s_waitcnt lgkmcnt(0)
	s_barrier
	s_and_saveexec_b64 s[26:27], vcc
	s_cbranch_execz .LBB137_6
; %bb.3:                                ;   in Loop: Header=BB137_2 Depth=1
	s_mov_b64 s[28:29], 0
	v_mov_b32_e32 v14, v33
	v_mov_b32_e32 v10, v34
.LBB137_4:                              ;   Parent Loop BB137_2 Depth=1
                                        ; =>  This Inner Loop Header: Depth=2
	v_sub_u32_e32 v11, v10, v14
	v_lshrrev_b32_e32 v12, 31, v11
	v_add_u32_e32 v11, v11, v12
	v_ashrrev_i32_e32 v11, 1, v11
	v_add_u32_e32 v11, v11, v14
	v_lshl_add_u32 v12, v11, 3, v31
	v_xad_u32 v13, v11, -1, v28
	v_lshl_add_u32 v15, v13, 3, v32
	ds_read_b64 v[12:13], v12
	ds_read_b64 v[16:17], v15
	v_add_u32_e32 v15, 1, v11
	s_waitcnt lgkmcnt(0)
	v_cmp_lt_i64_e64 s[24:25], v[16:17], v[12:13]
	s_nop 1
	v_cndmask_b32_e64 v10, v10, v11, s[24:25]
	v_cndmask_b32_e64 v14, v15, v14, s[24:25]
	v_cmp_ge_i32_e64 s[24:25], v14, v10
	s_or_b64 s[28:29], s[24:25], s[28:29]
	s_andn2_b64 exec, exec, s[28:29]
	s_cbranch_execnz .LBB137_4
; %bb.5:                                ;   in Loop: Header=BB137_2 Depth=1
	s_or_b64 exec, exec, s[28:29]
.LBB137_6:                              ;   in Loop: Header=BB137_2 Depth=1
	s_or_b64 exec, exec, s[26:27]
	v_sub_u32_e32 v85, v35, v14
	v_lshl_add_u32 v16, v14, 3, v31
	v_lshlrev_b32_e32 v18, 3, v85
	ds_read_b64 v[10:11], v16
	ds_read_b64 v[12:13], v18
	v_add_u32_e32 v86, v14, v27
	v_cmp_le_i32_e64 s[26:27], v29, v86
	v_cmp_gt_i32_e64 s[24:25], v30, v85
                                        ; implicit-def: $vgpr14_vgpr15
	s_waitcnt lgkmcnt(0)
	v_cmp_lt_i64_e64 s[28:29], v[12:13], v[10:11]
	s_or_b64 s[26:27], s[26:27], s[28:29]
	s_and_b64 s[24:25], s[24:25], s[26:27]
	s_xor_b64 s[26:27], s[24:25], -1
	s_and_saveexec_b64 s[28:29], s[26:27]
	s_xor_b64 s[26:27], exec, s[28:29]
	s_cbranch_execz .LBB137_8
; %bb.7:                                ;   in Loop: Header=BB137_2 Depth=1
	ds_read_b64 v[14:15], v16 offset:8
                                        ; implicit-def: $vgpr18
.LBB137_8:                              ;   in Loop: Header=BB137_2 Depth=1
	s_or_saveexec_b64 s[26:27], s[26:27]
	v_mov_b64_e32 v[16:17], v[12:13]
	s_xor_b64 exec, exec, s[26:27]
	s_cbranch_execz .LBB137_10
; %bb.9:                                ;   in Loop: Header=BB137_2 Depth=1
	ds_read_b64 v[16:17], v18 offset:8
	s_waitcnt lgkmcnt(1)
	v_mov_b64_e32 v[14:15], v[10:11]
.LBB137_10:                             ;   in Loop: Header=BB137_2 Depth=1
	s_or_b64 exec, exec, s[26:27]
	v_add_u32_e32 v19, 1, v86
	v_add_u32_e32 v18, 1, v85
	v_cndmask_b32_e64 v88, v19, v86, s[24:25]
	v_cndmask_b32_e64 v87, v85, v18, s[24:25]
	v_cmp_ge_i32_e64 s[28:29], v88, v29
	s_waitcnt lgkmcnt(0)
	v_cmp_lt_i64_e64 s[30:31], v[16:17], v[14:15]
	v_cmp_lt_i32_e64 s[26:27], v87, v30
	s_or_b64 s[28:29], s[28:29], s[30:31]
	s_and_b64 s[26:27], s[26:27], s[28:29]
	s_xor_b64 s[28:29], s[26:27], -1
                                        ; implicit-def: $vgpr18_vgpr19
	s_and_saveexec_b64 s[30:31], s[28:29]
	s_xor_b64 s[28:29], exec, s[30:31]
	s_cbranch_execz .LBB137_12
; %bb.11:                               ;   in Loop: Header=BB137_2 Depth=1
	v_lshlrev_b32_e32 v18, 3, v88
	ds_read_b64 v[18:19], v18 offset:8
.LBB137_12:                             ;   in Loop: Header=BB137_2 Depth=1
	s_or_saveexec_b64 s[28:29], s[28:29]
	v_mov_b64_e32 v[22:23], v[16:17]
	s_xor_b64 exec, exec, s[28:29]
	s_cbranch_execz .LBB137_14
; %bb.13:                               ;   in Loop: Header=BB137_2 Depth=1
	s_waitcnt lgkmcnt(0)
	v_lshlrev_b32_e32 v18, 3, v87
	ds_read_b64 v[22:23], v18 offset:8
	v_mov_b64_e32 v[18:19], v[14:15]
.LBB137_14:                             ;   in Loop: Header=BB137_2 Depth=1
	s_or_b64 exec, exec, s[28:29]
	v_add_u32_e32 v21, 1, v88
	v_add_u32_e32 v20, 1, v87
	v_cndmask_b32_e64 v90, v21, v88, s[26:27]
	v_cndmask_b32_e64 v89, v87, v20, s[26:27]
	v_cmp_ge_i32_e64 s[30:31], v90, v29
	s_waitcnt lgkmcnt(0)
	v_cmp_lt_i64_e64 s[34:35], v[22:23], v[18:19]
	v_cmp_lt_i32_e64 s[28:29], v89, v30
	s_or_b64 s[30:31], s[30:31], s[34:35]
	s_and_b64 s[28:29], s[28:29], s[30:31]
	s_xor_b64 s[30:31], s[28:29], -1
                                        ; implicit-def: $vgpr20_vgpr21
	s_and_saveexec_b64 s[34:35], s[30:31]
	s_xor_b64 s[30:31], exec, s[34:35]
	s_cbranch_execz .LBB137_16
; %bb.15:                               ;   in Loop: Header=BB137_2 Depth=1
	v_lshlrev_b32_e32 v20, 3, v90
	ds_read_b64 v[20:21], v20 offset:8
.LBB137_16:                             ;   in Loop: Header=BB137_2 Depth=1
	s_or_saveexec_b64 s[30:31], s[30:31]
	v_mov_b64_e32 v[24:25], v[22:23]
	s_xor_b64 exec, exec, s[30:31]
	s_cbranch_execz .LBB137_18
; %bb.17:                               ;   in Loop: Header=BB137_2 Depth=1
	s_waitcnt lgkmcnt(0)
	v_lshlrev_b32_e32 v20, 3, v89
	ds_read_b64 v[24:25], v20 offset:8
	v_mov_b64_e32 v[20:21], v[18:19]
.LBB137_18:                             ;   in Loop: Header=BB137_2 Depth=1
	s_or_b64 exec, exec, s[30:31]
	v_cndmask_b32_e64 v19, v19, v23, s[28:29]
	v_add_u32_e32 v23, 1, v90
	v_cndmask_b32_e64 v18, v18, v22, s[28:29]
	v_add_u32_e32 v22, 1, v89
	v_cndmask_b32_e64 v23, v23, v90, s[28:29]
	v_cndmask_b32_e64 v11, v11, v13, s[24:25]
	;; [unrolled: 1-line block ×18, first 2 shown]
	v_cmp_ge_i32_e64 s[14:15], v23, v29
	s_waitcnt lgkmcnt(0)
	v_cmp_lt_i64_e64 s[16:17], v[24:25], v[20:21]
	v_cmp_lt_i32_e64 s[12:13], v22, v30
	s_or_b64 s[14:15], s[14:15], s[16:17]
	v_cndmask_b32_e64 v3, v13, v5, s[18:19]
	v_cndmask_b32_e64 v2, v12, v4, s[18:19]
	;; [unrolled: 1-line block ×8, first 2 shown]
	s_and_b64 s[12:13], s[12:13], s[14:15]
	v_cndmask_b32_e64 v89, v90, v89, s[28:29]
	v_cndmask_b32_e64 v14, v14, v16, s[26:27]
	;; [unrolled: 1-line block ×9, first 2 shown]
	s_barrier
	ds_write2_b64 v26, v[2:3], v[8:9] offset1:1
	ds_write2_b64 v26, v[6:7], v[4:5] offset0:2 offset1:3
	v_lshlrev_b32_e32 v2, 3, v17
	v_lshlrev_b32_e32 v3, 3, v16
	;; [unrolled: 1-line block ×4, first 2 shown]
	s_waitcnt lgkmcnt(0)
	s_barrier
	ds_read_b64 v[6:7], v2
	ds_read_b64 v[8:9], v3
	;; [unrolled: 1-line block ×4, first 2 shown]
	v_cndmask_b32_e64 v13, v21, v25, s[12:13]
	s_waitcnt lgkmcnt(0)
	s_barrier
	ds_write2_b64 v26, v[10:11], v[14:15] offset1:1
	ds_write2_b64 v26, v[18:19], v[12:13] offset0:2 offset1:3
	v_mov_b32_e32 v14, v42
	s_waitcnt lgkmcnt(0)
	s_barrier
	s_and_saveexec_b64 s[14:15], s[0:1]
	s_cbranch_execz .LBB137_22
; %bb.19:                               ;   in Loop: Header=BB137_2 Depth=1
	s_mov_b64 s[16:17], 0
	v_mov_b32_e32 v14, v42
	v_mov_b32_e32 v10, v43
.LBB137_20:                             ;   Parent Loop BB137_2 Depth=1
                                        ; =>  This Inner Loop Header: Depth=2
	v_sub_u32_e32 v11, v10, v14
	v_lshrrev_b32_e32 v12, 31, v11
	v_add_u32_e32 v11, v11, v12
	v_ashrrev_i32_e32 v11, 1, v11
	v_add_u32_e32 v11, v11, v14
	v_lshl_add_u32 v12, v11, 3, v40
	v_xad_u32 v13, v11, -1, v37
	v_lshl_add_u32 v15, v13, 3, v41
	ds_read_b64 v[12:13], v12
	ds_read_b64 v[16:17], v15
	v_add_u32_e32 v15, 1, v11
	s_waitcnt lgkmcnt(0)
	v_cmp_lt_i64_e64 s[12:13], v[16:17], v[12:13]
	s_nop 1
	v_cndmask_b32_e64 v10, v10, v11, s[12:13]
	v_cndmask_b32_e64 v14, v15, v14, s[12:13]
	v_cmp_ge_i32_e64 s[12:13], v14, v10
	s_or_b64 s[16:17], s[12:13], s[16:17]
	s_andn2_b64 exec, exec, s[16:17]
	s_cbranch_execnz .LBB137_20
; %bb.21:                               ;   in Loop: Header=BB137_2 Depth=1
	s_or_b64 exec, exec, s[16:17]
.LBB137_22:                             ;   in Loop: Header=BB137_2 Depth=1
	s_or_b64 exec, exec, s[14:15]
	v_sub_u32_e32 v85, v44, v14
	v_lshl_add_u32 v16, v14, 3, v40
	v_lshlrev_b32_e32 v18, 3, v85
	ds_read_b64 v[10:11], v16
	ds_read_b64 v[12:13], v18
	v_add_u32_e32 v86, v14, v36
	v_cmp_le_i32_e64 s[14:15], v38, v86
	v_cmp_gt_i32_e64 s[12:13], v39, v85
                                        ; implicit-def: $vgpr14_vgpr15
	s_waitcnt lgkmcnt(0)
	v_cmp_lt_i64_e64 s[16:17], v[12:13], v[10:11]
	s_or_b64 s[14:15], s[14:15], s[16:17]
	s_and_b64 s[12:13], s[12:13], s[14:15]
	s_xor_b64 s[14:15], s[12:13], -1
	s_and_saveexec_b64 s[16:17], s[14:15]
	s_xor_b64 s[14:15], exec, s[16:17]
	s_cbranch_execz .LBB137_24
; %bb.23:                               ;   in Loop: Header=BB137_2 Depth=1
	ds_read_b64 v[14:15], v16 offset:8
                                        ; implicit-def: $vgpr18
.LBB137_24:                             ;   in Loop: Header=BB137_2 Depth=1
	s_or_saveexec_b64 s[14:15], s[14:15]
	v_mov_b64_e32 v[16:17], v[12:13]
	s_xor_b64 exec, exec, s[14:15]
	s_cbranch_execz .LBB137_26
; %bb.25:                               ;   in Loop: Header=BB137_2 Depth=1
	ds_read_b64 v[16:17], v18 offset:8
	s_waitcnt lgkmcnt(1)
	v_mov_b64_e32 v[14:15], v[10:11]
.LBB137_26:                             ;   in Loop: Header=BB137_2 Depth=1
	s_or_b64 exec, exec, s[14:15]
	v_add_u32_e32 v19, 1, v86
	v_add_u32_e32 v18, 1, v85
	v_cndmask_b32_e64 v88, v19, v86, s[12:13]
	v_cndmask_b32_e64 v87, v85, v18, s[12:13]
	v_cmp_ge_i32_e64 s[16:17], v88, v38
	s_waitcnt lgkmcnt(0)
	v_cmp_lt_i64_e64 s[18:19], v[16:17], v[14:15]
	v_cmp_lt_i32_e64 s[14:15], v87, v39
	s_or_b64 s[16:17], s[16:17], s[18:19]
	s_and_b64 s[14:15], s[14:15], s[16:17]
	s_xor_b64 s[16:17], s[14:15], -1
                                        ; implicit-def: $vgpr18_vgpr19
	s_and_saveexec_b64 s[18:19], s[16:17]
	s_xor_b64 s[16:17], exec, s[18:19]
	s_cbranch_execz .LBB137_28
; %bb.27:                               ;   in Loop: Header=BB137_2 Depth=1
	v_lshlrev_b32_e32 v18, 3, v88
	ds_read_b64 v[18:19], v18 offset:8
.LBB137_28:                             ;   in Loop: Header=BB137_2 Depth=1
	s_or_saveexec_b64 s[16:17], s[16:17]
	v_mov_b64_e32 v[20:21], v[16:17]
	s_xor_b64 exec, exec, s[16:17]
	s_cbranch_execz .LBB137_30
; %bb.29:                               ;   in Loop: Header=BB137_2 Depth=1
	s_waitcnt lgkmcnt(0)
	v_lshlrev_b32_e32 v18, 3, v87
	ds_read_b64 v[20:21], v18 offset:8
	v_mov_b64_e32 v[18:19], v[14:15]
.LBB137_30:                             ;   in Loop: Header=BB137_2 Depth=1
	s_or_b64 exec, exec, s[16:17]
	v_add_u32_e32 v23, 1, v88
	v_add_u32_e32 v22, 1, v87
	v_cndmask_b32_e64 v90, v23, v88, s[14:15]
	v_cndmask_b32_e64 v89, v87, v22, s[14:15]
	v_cmp_ge_i32_e64 s[18:19], v90, v38
	s_waitcnt lgkmcnt(0)
	v_cmp_lt_i64_e64 s[20:21], v[20:21], v[18:19]
	v_cmp_lt_i32_e64 s[16:17], v89, v39
	s_or_b64 s[18:19], s[18:19], s[20:21]
	s_and_b64 s[16:17], s[16:17], s[18:19]
	s_xor_b64 s[18:19], s[16:17], -1
                                        ; implicit-def: $vgpr22_vgpr23
	s_and_saveexec_b64 s[20:21], s[18:19]
	s_xor_b64 s[18:19], exec, s[20:21]
	s_cbranch_execz .LBB137_32
; %bb.31:                               ;   in Loop: Header=BB137_2 Depth=1
	v_lshlrev_b32_e32 v22, 3, v90
	ds_read_b64 v[22:23], v22 offset:8
.LBB137_32:                             ;   in Loop: Header=BB137_2 Depth=1
	s_or_saveexec_b64 s[18:19], s[18:19]
	v_mov_b64_e32 v[24:25], v[20:21]
	s_xor_b64 exec, exec, s[18:19]
	s_cbranch_execz .LBB137_34
; %bb.33:                               ;   in Loop: Header=BB137_2 Depth=1
	s_waitcnt lgkmcnt(0)
	v_lshlrev_b32_e32 v22, 3, v89
	ds_read_b64 v[24:25], v22 offset:8
	v_mov_b64_e32 v[22:23], v[18:19]
.LBB137_34:                             ;   in Loop: Header=BB137_2 Depth=1
	s_or_b64 exec, exec, s[18:19]
	v_cndmask_b32_e64 v19, v19, v21, s[16:17]
	v_add_u32_e32 v21, 1, v90
	v_cndmask_b32_e64 v18, v18, v20, s[16:17]
	v_add_u32_e32 v20, 1, v89
	v_cndmask_b32_e64 v21, v21, v90, s[16:17]
	v_cndmask_b32_e64 v20, v89, v20, s[16:17]
	;; [unrolled: 1-line block ×6, first 2 shown]
	v_cmp_ge_i32_e64 s[14:15], v21, v38
	s_waitcnt lgkmcnt(0)
	v_cmp_lt_i64_e64 s[16:17], v[24:25], v[22:23]
	v_cndmask_b32_e64 v11, v11, v13, s[12:13]
	v_cndmask_b32_e64 v10, v10, v12, s[12:13]
	;; [unrolled: 1-line block ×3, first 2 shown]
	v_cmp_lt_i32_e64 s[12:13], v20, v39
	s_or_b64 s[14:15], s[14:15], s[16:17]
	s_and_b64 s[12:13], s[12:13], s[14:15]
	v_cndmask_b32_e64 v20, v21, v20, s[12:13]
	s_barrier
	ds_write2_b64 v26, v[6:7], v[8:9] offset1:1
	ds_write2_b64 v26, v[2:3], v[4:5] offset0:2 offset1:3
	v_lshlrev_b32_e32 v2, 3, v17
	v_lshlrev_b32_e32 v3, 3, v16
	;; [unrolled: 1-line block ×4, first 2 shown]
	s_waitcnt lgkmcnt(0)
	s_barrier
	ds_read_b64 v[6:7], v2
	ds_read_b64 v[8:9], v3
	;; [unrolled: 1-line block ×4, first 2 shown]
	v_cndmask_b32_e64 v13, v23, v25, s[12:13]
	v_cndmask_b32_e64 v12, v22, v24, s[12:13]
	s_waitcnt lgkmcnt(0)
	s_barrier
	ds_write2_b64 v26, v[10:11], v[14:15] offset1:1
	ds_write2_b64 v26, v[18:19], v[12:13] offset0:2 offset1:3
	v_mov_b32_e32 v14, v51
	s_waitcnt lgkmcnt(0)
	s_barrier
	s_and_saveexec_b64 s[14:15], s[2:3]
	s_cbranch_execz .LBB137_38
; %bb.35:                               ;   in Loop: Header=BB137_2 Depth=1
	s_mov_b64 s[16:17], 0
	v_mov_b32_e32 v14, v51
	v_mov_b32_e32 v10, v52
.LBB137_36:                             ;   Parent Loop BB137_2 Depth=1
                                        ; =>  This Inner Loop Header: Depth=2
	v_sub_u32_e32 v11, v10, v14
	v_lshrrev_b32_e32 v12, 31, v11
	v_add_u32_e32 v11, v11, v12
	v_ashrrev_i32_e32 v11, 1, v11
	v_add_u32_e32 v11, v11, v14
	v_lshl_add_u32 v12, v11, 3, v49
	v_xad_u32 v13, v11, -1, v46
	v_lshl_add_u32 v15, v13, 3, v50
	ds_read_b64 v[12:13], v12
	ds_read_b64 v[16:17], v15
	v_add_u32_e32 v15, 1, v11
	s_waitcnt lgkmcnt(0)
	v_cmp_lt_i64_e64 s[12:13], v[16:17], v[12:13]
	s_nop 1
	v_cndmask_b32_e64 v10, v10, v11, s[12:13]
	v_cndmask_b32_e64 v14, v15, v14, s[12:13]
	v_cmp_ge_i32_e64 s[12:13], v14, v10
	s_or_b64 s[16:17], s[12:13], s[16:17]
	s_andn2_b64 exec, exec, s[16:17]
	s_cbranch_execnz .LBB137_36
; %bb.37:                               ;   in Loop: Header=BB137_2 Depth=1
	s_or_b64 exec, exec, s[16:17]
.LBB137_38:                             ;   in Loop: Header=BB137_2 Depth=1
	s_or_b64 exec, exec, s[14:15]
	v_sub_u32_e32 v85, v53, v14
	v_lshl_add_u32 v16, v14, 3, v49
	v_lshlrev_b32_e32 v18, 3, v85
	ds_read_b64 v[10:11], v16
	ds_read_b64 v[12:13], v18
	v_add_u32_e32 v86, v14, v45
	v_cmp_le_i32_e64 s[14:15], v47, v86
	v_cmp_gt_i32_e64 s[12:13], v48, v85
                                        ; implicit-def: $vgpr14_vgpr15
	s_waitcnt lgkmcnt(0)
	v_cmp_lt_i64_e64 s[16:17], v[12:13], v[10:11]
	s_or_b64 s[14:15], s[14:15], s[16:17]
	s_and_b64 s[12:13], s[12:13], s[14:15]
	s_xor_b64 s[14:15], s[12:13], -1
	s_and_saveexec_b64 s[16:17], s[14:15]
	s_xor_b64 s[14:15], exec, s[16:17]
	s_cbranch_execz .LBB137_40
; %bb.39:                               ;   in Loop: Header=BB137_2 Depth=1
	ds_read_b64 v[14:15], v16 offset:8
                                        ; implicit-def: $vgpr18
.LBB137_40:                             ;   in Loop: Header=BB137_2 Depth=1
	s_or_saveexec_b64 s[14:15], s[14:15]
	v_mov_b64_e32 v[16:17], v[12:13]
	s_xor_b64 exec, exec, s[14:15]
	s_cbranch_execz .LBB137_42
; %bb.41:                               ;   in Loop: Header=BB137_2 Depth=1
	ds_read_b64 v[16:17], v18 offset:8
	s_waitcnt lgkmcnt(1)
	v_mov_b64_e32 v[14:15], v[10:11]
.LBB137_42:                             ;   in Loop: Header=BB137_2 Depth=1
	s_or_b64 exec, exec, s[14:15]
	v_add_u32_e32 v19, 1, v86
	v_add_u32_e32 v18, 1, v85
	v_cndmask_b32_e64 v88, v19, v86, s[12:13]
	v_cndmask_b32_e64 v87, v85, v18, s[12:13]
	v_cmp_ge_i32_e64 s[16:17], v88, v47
	s_waitcnt lgkmcnt(0)
	v_cmp_lt_i64_e64 s[18:19], v[16:17], v[14:15]
	v_cmp_lt_i32_e64 s[14:15], v87, v48
	s_or_b64 s[16:17], s[16:17], s[18:19]
	s_and_b64 s[14:15], s[14:15], s[16:17]
	s_xor_b64 s[16:17], s[14:15], -1
                                        ; implicit-def: $vgpr18_vgpr19
	s_and_saveexec_b64 s[18:19], s[16:17]
	s_xor_b64 s[16:17], exec, s[18:19]
	s_cbranch_execz .LBB137_44
; %bb.43:                               ;   in Loop: Header=BB137_2 Depth=1
	v_lshlrev_b32_e32 v18, 3, v88
	ds_read_b64 v[18:19], v18 offset:8
.LBB137_44:                             ;   in Loop: Header=BB137_2 Depth=1
	s_or_saveexec_b64 s[16:17], s[16:17]
	v_mov_b64_e32 v[20:21], v[16:17]
	s_xor_b64 exec, exec, s[16:17]
	s_cbranch_execz .LBB137_46
; %bb.45:                               ;   in Loop: Header=BB137_2 Depth=1
	s_waitcnt lgkmcnt(0)
	v_lshlrev_b32_e32 v18, 3, v87
	ds_read_b64 v[20:21], v18 offset:8
	v_mov_b64_e32 v[18:19], v[14:15]
.LBB137_46:                             ;   in Loop: Header=BB137_2 Depth=1
	s_or_b64 exec, exec, s[16:17]
	v_add_u32_e32 v23, 1, v88
	v_add_u32_e32 v22, 1, v87
	v_cndmask_b32_e64 v90, v23, v88, s[14:15]
	v_cndmask_b32_e64 v89, v87, v22, s[14:15]
	v_cmp_ge_i32_e64 s[18:19], v90, v47
	s_waitcnt lgkmcnt(0)
	v_cmp_lt_i64_e64 s[20:21], v[20:21], v[18:19]
	v_cmp_lt_i32_e64 s[16:17], v89, v48
	s_or_b64 s[18:19], s[18:19], s[20:21]
	s_and_b64 s[16:17], s[16:17], s[18:19]
	s_xor_b64 s[18:19], s[16:17], -1
                                        ; implicit-def: $vgpr22_vgpr23
	s_and_saveexec_b64 s[20:21], s[18:19]
	s_xor_b64 s[18:19], exec, s[20:21]
	s_cbranch_execz .LBB137_48
; %bb.47:                               ;   in Loop: Header=BB137_2 Depth=1
	v_lshlrev_b32_e32 v22, 3, v90
	ds_read_b64 v[22:23], v22 offset:8
.LBB137_48:                             ;   in Loop: Header=BB137_2 Depth=1
	s_or_saveexec_b64 s[18:19], s[18:19]
	v_mov_b64_e32 v[24:25], v[20:21]
	s_xor_b64 exec, exec, s[18:19]
	s_cbranch_execz .LBB137_50
; %bb.49:                               ;   in Loop: Header=BB137_2 Depth=1
	s_waitcnt lgkmcnt(0)
	v_lshlrev_b32_e32 v22, 3, v89
	ds_read_b64 v[24:25], v22 offset:8
	v_mov_b64_e32 v[22:23], v[18:19]
.LBB137_50:                             ;   in Loop: Header=BB137_2 Depth=1
	s_or_b64 exec, exec, s[18:19]
	v_cndmask_b32_e64 v19, v19, v21, s[16:17]
	v_add_u32_e32 v21, 1, v90
	v_cndmask_b32_e64 v18, v18, v20, s[16:17]
	v_add_u32_e32 v20, 1, v89
	v_cndmask_b32_e64 v21, v21, v90, s[16:17]
	v_cndmask_b32_e64 v20, v89, v20, s[16:17]
	v_cndmask_b32_e64 v89, v90, v89, s[16:17]
	v_cndmask_b32_e64 v15, v15, v17, s[14:15]
	v_cndmask_b32_e64 v14, v14, v16, s[14:15]
	v_cndmask_b32_e64 v16, v88, v87, s[14:15]
	v_cmp_ge_i32_e64 s[14:15], v21, v47
	s_waitcnt lgkmcnt(0)
	v_cmp_lt_i64_e64 s[16:17], v[24:25], v[22:23]
	v_cndmask_b32_e64 v11, v11, v13, s[12:13]
	v_cndmask_b32_e64 v10, v10, v12, s[12:13]
	;; [unrolled: 1-line block ×3, first 2 shown]
	v_cmp_lt_i32_e64 s[12:13], v20, v48
	s_or_b64 s[14:15], s[14:15], s[16:17]
	s_and_b64 s[12:13], s[12:13], s[14:15]
	v_cndmask_b32_e64 v20, v21, v20, s[12:13]
	s_barrier
	ds_write2_b64 v26, v[6:7], v[8:9] offset1:1
	ds_write2_b64 v26, v[2:3], v[4:5] offset0:2 offset1:3
	v_lshlrev_b32_e32 v2, 3, v17
	v_lshlrev_b32_e32 v3, 3, v16
	;; [unrolled: 1-line block ×4, first 2 shown]
	s_waitcnt lgkmcnt(0)
	s_barrier
	ds_read_b64 v[6:7], v2
	ds_read_b64 v[8:9], v3
	;; [unrolled: 1-line block ×4, first 2 shown]
	v_cndmask_b32_e64 v13, v23, v25, s[12:13]
	v_cndmask_b32_e64 v12, v22, v24, s[12:13]
	s_waitcnt lgkmcnt(0)
	s_barrier
	ds_write2_b64 v26, v[10:11], v[14:15] offset1:1
	ds_write2_b64 v26, v[18:19], v[12:13] offset0:2 offset1:3
	v_mov_b32_e32 v14, v58
	s_waitcnt lgkmcnt(0)
	s_barrier
	s_and_saveexec_b64 s[14:15], s[4:5]
	s_cbranch_execz .LBB137_54
; %bb.51:                               ;   in Loop: Header=BB137_2 Depth=1
	s_mov_b64 s[16:17], 0
	v_mov_b32_e32 v14, v58
	v_mov_b32_e32 v10, v59
.LBB137_52:                             ;   Parent Loop BB137_2 Depth=1
                                        ; =>  This Inner Loop Header: Depth=2
	v_sub_u32_e32 v11, v10, v14
	v_lshrrev_b32_e32 v12, 31, v11
	v_add_u32_e32 v11, v11, v12
	v_ashrrev_i32_e32 v11, 1, v11
	v_add_u32_e32 v11, v11, v14
	v_lshl_add_u32 v12, v11, 3, v75
	v_xad_u32 v13, v11, -1, v55
	v_lshl_add_u32 v15, v13, 3, v76
	ds_read_b64 v[12:13], v12
	ds_read_b64 v[16:17], v15
	v_add_u32_e32 v15, 1, v11
	s_waitcnt lgkmcnt(0)
	v_cmp_lt_i64_e64 s[12:13], v[16:17], v[12:13]
	s_nop 1
	v_cndmask_b32_e64 v10, v10, v11, s[12:13]
	v_cndmask_b32_e64 v14, v15, v14, s[12:13]
	v_cmp_ge_i32_e64 s[12:13], v14, v10
	s_or_b64 s[16:17], s[12:13], s[16:17]
	s_andn2_b64 exec, exec, s[16:17]
	s_cbranch_execnz .LBB137_52
; %bb.53:                               ;   in Loop: Header=BB137_2 Depth=1
	s_or_b64 exec, exec, s[16:17]
.LBB137_54:                             ;   in Loop: Header=BB137_2 Depth=1
	s_or_b64 exec, exec, s[14:15]
	v_sub_u32_e32 v85, v77, v14
	v_lshl_add_u32 v16, v14, 3, v75
	v_lshlrev_b32_e32 v18, 3, v85
	ds_read_b64 v[10:11], v16
	ds_read_b64 v[12:13], v18
	v_add_u32_e32 v86, v14, v54
	v_cmp_le_i32_e64 s[14:15], v56, v86
	v_cmp_gt_i32_e64 s[12:13], v57, v85
                                        ; implicit-def: $vgpr14_vgpr15
	s_waitcnt lgkmcnt(0)
	v_cmp_lt_i64_e64 s[16:17], v[12:13], v[10:11]
	s_or_b64 s[14:15], s[14:15], s[16:17]
	s_and_b64 s[12:13], s[12:13], s[14:15]
	s_xor_b64 s[14:15], s[12:13], -1
	s_and_saveexec_b64 s[16:17], s[14:15]
	s_xor_b64 s[14:15], exec, s[16:17]
	s_cbranch_execz .LBB137_56
; %bb.55:                               ;   in Loop: Header=BB137_2 Depth=1
	ds_read_b64 v[14:15], v16 offset:8
                                        ; implicit-def: $vgpr18
.LBB137_56:                             ;   in Loop: Header=BB137_2 Depth=1
	s_or_saveexec_b64 s[14:15], s[14:15]
	v_mov_b64_e32 v[16:17], v[12:13]
	s_xor_b64 exec, exec, s[14:15]
	s_cbranch_execz .LBB137_58
; %bb.57:                               ;   in Loop: Header=BB137_2 Depth=1
	ds_read_b64 v[16:17], v18 offset:8
	s_waitcnt lgkmcnt(1)
	v_mov_b64_e32 v[14:15], v[10:11]
.LBB137_58:                             ;   in Loop: Header=BB137_2 Depth=1
	s_or_b64 exec, exec, s[14:15]
	v_add_u32_e32 v19, 1, v86
	v_add_u32_e32 v18, 1, v85
	v_cndmask_b32_e64 v88, v19, v86, s[12:13]
	v_cndmask_b32_e64 v87, v85, v18, s[12:13]
	v_cmp_ge_i32_e64 s[16:17], v88, v56
	s_waitcnt lgkmcnt(0)
	v_cmp_lt_i64_e64 s[18:19], v[16:17], v[14:15]
	v_cmp_lt_i32_e64 s[14:15], v87, v57
	s_or_b64 s[16:17], s[16:17], s[18:19]
	s_and_b64 s[14:15], s[14:15], s[16:17]
	s_xor_b64 s[16:17], s[14:15], -1
                                        ; implicit-def: $vgpr18_vgpr19
	s_and_saveexec_b64 s[18:19], s[16:17]
	s_xor_b64 s[16:17], exec, s[18:19]
	s_cbranch_execz .LBB137_60
; %bb.59:                               ;   in Loop: Header=BB137_2 Depth=1
	v_lshlrev_b32_e32 v18, 3, v88
	ds_read_b64 v[18:19], v18 offset:8
.LBB137_60:                             ;   in Loop: Header=BB137_2 Depth=1
	s_or_saveexec_b64 s[16:17], s[16:17]
	v_mov_b64_e32 v[20:21], v[16:17]
	s_xor_b64 exec, exec, s[16:17]
	s_cbranch_execz .LBB137_62
; %bb.61:                               ;   in Loop: Header=BB137_2 Depth=1
	s_waitcnt lgkmcnt(0)
	v_lshlrev_b32_e32 v18, 3, v87
	ds_read_b64 v[20:21], v18 offset:8
	v_mov_b64_e32 v[18:19], v[14:15]
.LBB137_62:                             ;   in Loop: Header=BB137_2 Depth=1
	s_or_b64 exec, exec, s[16:17]
	v_add_u32_e32 v23, 1, v88
	v_add_u32_e32 v22, 1, v87
	v_cndmask_b32_e64 v90, v23, v88, s[14:15]
	v_cndmask_b32_e64 v89, v87, v22, s[14:15]
	v_cmp_ge_i32_e64 s[18:19], v90, v56
	s_waitcnt lgkmcnt(0)
	v_cmp_lt_i64_e64 s[20:21], v[20:21], v[18:19]
	v_cmp_lt_i32_e64 s[16:17], v89, v57
	s_or_b64 s[18:19], s[18:19], s[20:21]
	s_and_b64 s[16:17], s[16:17], s[18:19]
	s_xor_b64 s[18:19], s[16:17], -1
                                        ; implicit-def: $vgpr22_vgpr23
	s_and_saveexec_b64 s[20:21], s[18:19]
	s_xor_b64 s[18:19], exec, s[20:21]
	s_cbranch_execz .LBB137_64
; %bb.63:                               ;   in Loop: Header=BB137_2 Depth=1
	v_lshlrev_b32_e32 v22, 3, v90
	ds_read_b64 v[22:23], v22 offset:8
.LBB137_64:                             ;   in Loop: Header=BB137_2 Depth=1
	s_or_saveexec_b64 s[18:19], s[18:19]
	v_mov_b64_e32 v[24:25], v[20:21]
	s_xor_b64 exec, exec, s[18:19]
	s_cbranch_execz .LBB137_66
; %bb.65:                               ;   in Loop: Header=BB137_2 Depth=1
	s_waitcnt lgkmcnt(0)
	v_lshlrev_b32_e32 v22, 3, v89
	ds_read_b64 v[24:25], v22 offset:8
	v_mov_b64_e32 v[22:23], v[18:19]
.LBB137_66:                             ;   in Loop: Header=BB137_2 Depth=1
	s_or_b64 exec, exec, s[18:19]
	v_cndmask_b32_e64 v19, v19, v21, s[16:17]
	v_add_u32_e32 v21, 1, v90
	v_cndmask_b32_e64 v18, v18, v20, s[16:17]
	v_add_u32_e32 v20, 1, v89
	v_cndmask_b32_e64 v21, v21, v90, s[16:17]
	v_cndmask_b32_e64 v20, v89, v20, s[16:17]
	;; [unrolled: 1-line block ×6, first 2 shown]
	v_cmp_ge_i32_e64 s[14:15], v21, v56
	s_waitcnt lgkmcnt(0)
	v_cmp_lt_i64_e64 s[16:17], v[24:25], v[22:23]
	v_cndmask_b32_e64 v11, v11, v13, s[12:13]
	v_cndmask_b32_e64 v10, v10, v12, s[12:13]
	;; [unrolled: 1-line block ×3, first 2 shown]
	v_cmp_lt_i32_e64 s[12:13], v20, v57
	s_or_b64 s[14:15], s[14:15], s[16:17]
	s_and_b64 s[12:13], s[12:13], s[14:15]
	v_cndmask_b32_e64 v20, v21, v20, s[12:13]
	s_barrier
	ds_write2_b64 v26, v[6:7], v[8:9] offset1:1
	ds_write2_b64 v26, v[2:3], v[4:5] offset0:2 offset1:3
	v_lshlrev_b32_e32 v2, 3, v17
	v_lshlrev_b32_e32 v3, 3, v16
	;; [unrolled: 1-line block ×4, first 2 shown]
	s_waitcnt lgkmcnt(0)
	s_barrier
	ds_read_b64 v[6:7], v2
	ds_read_b64 v[8:9], v3
	;; [unrolled: 1-line block ×4, first 2 shown]
	v_cndmask_b32_e64 v13, v23, v25, s[12:13]
	v_cndmask_b32_e64 v12, v22, v24, s[12:13]
	s_waitcnt lgkmcnt(0)
	s_barrier
	ds_write2_b64 v26, v[10:11], v[14:15] offset1:1
	ds_write2_b64 v26, v[18:19], v[12:13] offset0:2 offset1:3
	v_mov_b32_e32 v14, v64
	s_waitcnt lgkmcnt(0)
	s_barrier
	s_and_saveexec_b64 s[14:15], s[6:7]
	s_cbranch_execz .LBB137_70
; %bb.67:                               ;   in Loop: Header=BB137_2 Depth=1
	s_mov_b64 s[16:17], 0
	v_mov_b32_e32 v14, v64
	v_mov_b32_e32 v10, v65
.LBB137_68:                             ;   Parent Loop BB137_2 Depth=1
                                        ; =>  This Inner Loop Header: Depth=2
	v_sub_u32_e32 v11, v10, v14
	v_lshrrev_b32_e32 v12, 31, v11
	v_add_u32_e32 v11, v11, v12
	v_ashrrev_i32_e32 v11, 1, v11
	v_add_u32_e32 v11, v11, v14
	v_lshl_add_u32 v12, v11, 3, v78
	v_xad_u32 v13, v11, -1, v61
	v_lshl_add_u32 v15, v13, 3, v79
	ds_read_b64 v[12:13], v12
	ds_read_b64 v[16:17], v15
	v_add_u32_e32 v15, 1, v11
	s_waitcnt lgkmcnt(0)
	v_cmp_lt_i64_e64 s[12:13], v[16:17], v[12:13]
	s_nop 1
	v_cndmask_b32_e64 v10, v10, v11, s[12:13]
	v_cndmask_b32_e64 v14, v15, v14, s[12:13]
	v_cmp_ge_i32_e64 s[12:13], v14, v10
	s_or_b64 s[16:17], s[12:13], s[16:17]
	s_andn2_b64 exec, exec, s[16:17]
	s_cbranch_execnz .LBB137_68
; %bb.69:                               ;   in Loop: Header=BB137_2 Depth=1
	s_or_b64 exec, exec, s[16:17]
.LBB137_70:                             ;   in Loop: Header=BB137_2 Depth=1
	s_or_b64 exec, exec, s[14:15]
	v_sub_u32_e32 v85, v80, v14
	v_lshl_add_u32 v16, v14, 3, v78
	v_lshlrev_b32_e32 v18, 3, v85
	ds_read_b64 v[10:11], v16
	ds_read_b64 v[12:13], v18
	v_add_u32_e32 v86, v14, v60
	v_cmp_le_i32_e64 s[14:15], v62, v86
	v_cmp_gt_i32_e64 s[12:13], v63, v85
                                        ; implicit-def: $vgpr14_vgpr15
	s_waitcnt lgkmcnt(0)
	v_cmp_lt_i64_e64 s[16:17], v[12:13], v[10:11]
	s_or_b64 s[14:15], s[14:15], s[16:17]
	s_and_b64 s[12:13], s[12:13], s[14:15]
	s_xor_b64 s[14:15], s[12:13], -1
	s_and_saveexec_b64 s[16:17], s[14:15]
	s_xor_b64 s[14:15], exec, s[16:17]
	s_cbranch_execz .LBB137_72
; %bb.71:                               ;   in Loop: Header=BB137_2 Depth=1
	ds_read_b64 v[14:15], v16 offset:8
                                        ; implicit-def: $vgpr18
.LBB137_72:                             ;   in Loop: Header=BB137_2 Depth=1
	s_or_saveexec_b64 s[14:15], s[14:15]
	v_mov_b64_e32 v[16:17], v[12:13]
	s_xor_b64 exec, exec, s[14:15]
	s_cbranch_execz .LBB137_74
; %bb.73:                               ;   in Loop: Header=BB137_2 Depth=1
	ds_read_b64 v[16:17], v18 offset:8
	s_waitcnt lgkmcnt(1)
	v_mov_b64_e32 v[14:15], v[10:11]
.LBB137_74:                             ;   in Loop: Header=BB137_2 Depth=1
	s_or_b64 exec, exec, s[14:15]
	v_add_u32_e32 v19, 1, v86
	v_add_u32_e32 v18, 1, v85
	v_cndmask_b32_e64 v88, v19, v86, s[12:13]
	v_cndmask_b32_e64 v87, v85, v18, s[12:13]
	v_cmp_ge_i32_e64 s[16:17], v88, v62
	s_waitcnt lgkmcnt(0)
	v_cmp_lt_i64_e64 s[18:19], v[16:17], v[14:15]
	v_cmp_lt_i32_e64 s[14:15], v87, v63
	s_or_b64 s[16:17], s[16:17], s[18:19]
	s_and_b64 s[14:15], s[14:15], s[16:17]
	s_xor_b64 s[16:17], s[14:15], -1
                                        ; implicit-def: $vgpr18_vgpr19
	s_and_saveexec_b64 s[18:19], s[16:17]
	s_xor_b64 s[16:17], exec, s[18:19]
	s_cbranch_execz .LBB137_76
; %bb.75:                               ;   in Loop: Header=BB137_2 Depth=1
	v_lshlrev_b32_e32 v18, 3, v88
	ds_read_b64 v[18:19], v18 offset:8
.LBB137_76:                             ;   in Loop: Header=BB137_2 Depth=1
	s_or_saveexec_b64 s[16:17], s[16:17]
	v_mov_b64_e32 v[20:21], v[16:17]
	s_xor_b64 exec, exec, s[16:17]
	s_cbranch_execz .LBB137_78
; %bb.77:                               ;   in Loop: Header=BB137_2 Depth=1
	s_waitcnt lgkmcnt(0)
	v_lshlrev_b32_e32 v18, 3, v87
	ds_read_b64 v[20:21], v18 offset:8
	v_mov_b64_e32 v[18:19], v[14:15]
.LBB137_78:                             ;   in Loop: Header=BB137_2 Depth=1
	s_or_b64 exec, exec, s[16:17]
	v_add_u32_e32 v23, 1, v88
	v_add_u32_e32 v22, 1, v87
	v_cndmask_b32_e64 v90, v23, v88, s[14:15]
	v_cndmask_b32_e64 v89, v87, v22, s[14:15]
	v_cmp_ge_i32_e64 s[18:19], v90, v62
	s_waitcnt lgkmcnt(0)
	v_cmp_lt_i64_e64 s[20:21], v[20:21], v[18:19]
	v_cmp_lt_i32_e64 s[16:17], v89, v63
	s_or_b64 s[18:19], s[18:19], s[20:21]
	s_and_b64 s[16:17], s[16:17], s[18:19]
	s_xor_b64 s[18:19], s[16:17], -1
                                        ; implicit-def: $vgpr22_vgpr23
	s_and_saveexec_b64 s[20:21], s[18:19]
	s_xor_b64 s[18:19], exec, s[20:21]
	s_cbranch_execz .LBB137_80
; %bb.79:                               ;   in Loop: Header=BB137_2 Depth=1
	v_lshlrev_b32_e32 v22, 3, v90
	ds_read_b64 v[22:23], v22 offset:8
.LBB137_80:                             ;   in Loop: Header=BB137_2 Depth=1
	s_or_saveexec_b64 s[18:19], s[18:19]
	v_mov_b64_e32 v[24:25], v[20:21]
	s_xor_b64 exec, exec, s[18:19]
	s_cbranch_execz .LBB137_82
; %bb.81:                               ;   in Loop: Header=BB137_2 Depth=1
	s_waitcnt lgkmcnt(0)
	v_lshlrev_b32_e32 v22, 3, v89
	ds_read_b64 v[24:25], v22 offset:8
	v_mov_b64_e32 v[22:23], v[18:19]
.LBB137_82:                             ;   in Loop: Header=BB137_2 Depth=1
	s_or_b64 exec, exec, s[18:19]
	v_cndmask_b32_e64 v19, v19, v21, s[16:17]
	v_add_u32_e32 v21, 1, v90
	v_cndmask_b32_e64 v18, v18, v20, s[16:17]
	v_add_u32_e32 v20, 1, v89
	v_cndmask_b32_e64 v21, v21, v90, s[16:17]
	v_cndmask_b32_e64 v20, v89, v20, s[16:17]
	;; [unrolled: 1-line block ×6, first 2 shown]
	v_cmp_ge_i32_e64 s[14:15], v21, v62
	s_waitcnt lgkmcnt(0)
	v_cmp_lt_i64_e64 s[16:17], v[24:25], v[22:23]
	v_cndmask_b32_e64 v11, v11, v13, s[12:13]
	v_cndmask_b32_e64 v10, v10, v12, s[12:13]
	;; [unrolled: 1-line block ×3, first 2 shown]
	v_cmp_lt_i32_e64 s[12:13], v20, v63
	s_or_b64 s[14:15], s[14:15], s[16:17]
	s_and_b64 s[12:13], s[12:13], s[14:15]
	v_cndmask_b32_e64 v20, v21, v20, s[12:13]
	s_barrier
	ds_write2_b64 v26, v[6:7], v[8:9] offset1:1
	ds_write2_b64 v26, v[2:3], v[4:5] offset0:2 offset1:3
	v_lshlrev_b32_e32 v2, 3, v17
	v_lshlrev_b32_e32 v3, 3, v16
	;; [unrolled: 1-line block ×4, first 2 shown]
	s_waitcnt lgkmcnt(0)
	s_barrier
	ds_read_b64 v[6:7], v2
	ds_read_b64 v[8:9], v3
	;; [unrolled: 1-line block ×4, first 2 shown]
	v_cndmask_b32_e64 v13, v23, v25, s[12:13]
	v_cndmask_b32_e64 v12, v22, v24, s[12:13]
	s_waitcnt lgkmcnt(0)
	s_barrier
	ds_write2_b64 v26, v[10:11], v[14:15] offset1:1
	ds_write2_b64 v26, v[18:19], v[12:13] offset0:2 offset1:3
	v_mov_b32_e32 v14, v71
	s_waitcnt lgkmcnt(0)
	s_barrier
	s_and_saveexec_b64 s[14:15], s[8:9]
	s_cbranch_execz .LBB137_86
; %bb.83:                               ;   in Loop: Header=BB137_2 Depth=1
	s_mov_b64 s[16:17], 0
	v_mov_b32_e32 v14, v71
	v_mov_b32_e32 v10, v72
.LBB137_84:                             ;   Parent Loop BB137_2 Depth=1
                                        ; =>  This Inner Loop Header: Depth=2
	v_sub_u32_e32 v11, v10, v14
	v_lshrrev_b32_e32 v12, 31, v11
	v_add_u32_e32 v11, v11, v12
	v_ashrrev_i32_e32 v11, 1, v11
	v_add_u32_e32 v11, v11, v14
	v_lshl_add_u32 v12, v11, 3, v81
	v_xad_u32 v13, v11, -1, v68
	v_lshl_add_u32 v15, v13, 3, v82
	ds_read_b64 v[12:13], v12
	ds_read_b64 v[16:17], v15
	v_add_u32_e32 v15, 1, v11
	s_waitcnt lgkmcnt(0)
	v_cmp_lt_i64_e64 s[12:13], v[16:17], v[12:13]
	s_nop 1
	v_cndmask_b32_e64 v10, v10, v11, s[12:13]
	v_cndmask_b32_e64 v14, v15, v14, s[12:13]
	v_cmp_ge_i32_e64 s[12:13], v14, v10
	s_or_b64 s[16:17], s[12:13], s[16:17]
	s_andn2_b64 exec, exec, s[16:17]
	s_cbranch_execnz .LBB137_84
; %bb.85:                               ;   in Loop: Header=BB137_2 Depth=1
	s_or_b64 exec, exec, s[16:17]
.LBB137_86:                             ;   in Loop: Header=BB137_2 Depth=1
	s_or_b64 exec, exec, s[14:15]
	v_sub_u32_e32 v85, v83, v14
	v_lshl_add_u32 v16, v14, 3, v81
	v_lshlrev_b32_e32 v18, 3, v85
	ds_read_b64 v[10:11], v16
	ds_read_b64 v[12:13], v18
	v_add_u32_e32 v86, v14, v67
	v_cmp_le_i32_e64 s[14:15], v69, v86
	v_cmp_gt_i32_e64 s[12:13], v70, v85
                                        ; implicit-def: $vgpr14_vgpr15
	s_waitcnt lgkmcnt(0)
	v_cmp_lt_i64_e64 s[16:17], v[12:13], v[10:11]
	s_or_b64 s[14:15], s[14:15], s[16:17]
	s_and_b64 s[12:13], s[12:13], s[14:15]
	s_xor_b64 s[14:15], s[12:13], -1
	s_and_saveexec_b64 s[16:17], s[14:15]
	s_xor_b64 s[14:15], exec, s[16:17]
	s_cbranch_execz .LBB137_88
; %bb.87:                               ;   in Loop: Header=BB137_2 Depth=1
	ds_read_b64 v[14:15], v16 offset:8
                                        ; implicit-def: $vgpr18
.LBB137_88:                             ;   in Loop: Header=BB137_2 Depth=1
	s_or_saveexec_b64 s[14:15], s[14:15]
	v_mov_b64_e32 v[16:17], v[12:13]
	s_xor_b64 exec, exec, s[14:15]
	s_cbranch_execz .LBB137_90
; %bb.89:                               ;   in Loop: Header=BB137_2 Depth=1
	ds_read_b64 v[16:17], v18 offset:8
	s_waitcnt lgkmcnt(1)
	v_mov_b64_e32 v[14:15], v[10:11]
.LBB137_90:                             ;   in Loop: Header=BB137_2 Depth=1
	s_or_b64 exec, exec, s[14:15]
	v_add_u32_e32 v19, 1, v86
	v_add_u32_e32 v18, 1, v85
	v_cndmask_b32_e64 v88, v19, v86, s[12:13]
	v_cndmask_b32_e64 v87, v85, v18, s[12:13]
	v_cmp_ge_i32_e64 s[16:17], v88, v69
	s_waitcnt lgkmcnt(0)
	v_cmp_lt_i64_e64 s[18:19], v[16:17], v[14:15]
	v_cmp_lt_i32_e64 s[14:15], v87, v70
	s_or_b64 s[16:17], s[16:17], s[18:19]
	s_and_b64 s[14:15], s[14:15], s[16:17]
	s_xor_b64 s[16:17], s[14:15], -1
                                        ; implicit-def: $vgpr18_vgpr19
	s_and_saveexec_b64 s[18:19], s[16:17]
	s_xor_b64 s[16:17], exec, s[18:19]
	s_cbranch_execz .LBB137_92
; %bb.91:                               ;   in Loop: Header=BB137_2 Depth=1
	v_lshlrev_b32_e32 v18, 3, v88
	ds_read_b64 v[18:19], v18 offset:8
.LBB137_92:                             ;   in Loop: Header=BB137_2 Depth=1
	s_or_saveexec_b64 s[16:17], s[16:17]
	v_mov_b64_e32 v[20:21], v[16:17]
	s_xor_b64 exec, exec, s[16:17]
	s_cbranch_execz .LBB137_94
; %bb.93:                               ;   in Loop: Header=BB137_2 Depth=1
	s_waitcnt lgkmcnt(0)
	v_lshlrev_b32_e32 v18, 3, v87
	ds_read_b64 v[20:21], v18 offset:8
	v_mov_b64_e32 v[18:19], v[14:15]
.LBB137_94:                             ;   in Loop: Header=BB137_2 Depth=1
	s_or_b64 exec, exec, s[16:17]
	v_add_u32_e32 v23, 1, v88
	v_add_u32_e32 v22, 1, v87
	v_cndmask_b32_e64 v90, v23, v88, s[14:15]
	v_cndmask_b32_e64 v89, v87, v22, s[14:15]
	v_cmp_ge_i32_e64 s[18:19], v90, v69
	s_waitcnt lgkmcnt(0)
	v_cmp_lt_i64_e64 s[20:21], v[20:21], v[18:19]
	v_cmp_lt_i32_e64 s[16:17], v89, v70
	s_or_b64 s[18:19], s[18:19], s[20:21]
	s_and_b64 s[16:17], s[16:17], s[18:19]
	s_xor_b64 s[18:19], s[16:17], -1
                                        ; implicit-def: $vgpr22_vgpr23
	s_and_saveexec_b64 s[20:21], s[18:19]
	s_xor_b64 s[18:19], exec, s[20:21]
	s_cbranch_execz .LBB137_96
; %bb.95:                               ;   in Loop: Header=BB137_2 Depth=1
	v_lshlrev_b32_e32 v22, 3, v90
	ds_read_b64 v[22:23], v22 offset:8
.LBB137_96:                             ;   in Loop: Header=BB137_2 Depth=1
	s_or_saveexec_b64 s[18:19], s[18:19]
	v_mov_b64_e32 v[24:25], v[20:21]
	s_xor_b64 exec, exec, s[18:19]
	s_cbranch_execz .LBB137_98
; %bb.97:                               ;   in Loop: Header=BB137_2 Depth=1
	s_waitcnt lgkmcnt(0)
	v_lshlrev_b32_e32 v22, 3, v89
	ds_read_b64 v[24:25], v22 offset:8
	v_mov_b64_e32 v[22:23], v[18:19]
.LBB137_98:                             ;   in Loop: Header=BB137_2 Depth=1
	s_or_b64 exec, exec, s[18:19]
	v_cndmask_b32_e64 v19, v19, v21, s[16:17]
	v_add_u32_e32 v21, 1, v90
	v_cndmask_b32_e64 v18, v18, v20, s[16:17]
	v_add_u32_e32 v20, 1, v89
	v_cndmask_b32_e64 v21, v21, v90, s[16:17]
	v_cndmask_b32_e64 v20, v89, v20, s[16:17]
	v_cndmask_b32_e64 v89, v90, v89, s[16:17]
	v_cndmask_b32_e64 v15, v15, v17, s[14:15]
	v_cndmask_b32_e64 v14, v14, v16, s[14:15]
	v_cndmask_b32_e64 v16, v88, v87, s[14:15]
	v_cmp_ge_i32_e64 s[14:15], v21, v69
	s_waitcnt lgkmcnt(0)
	v_cmp_lt_i64_e64 s[16:17], v[24:25], v[22:23]
	v_cndmask_b32_e64 v11, v11, v13, s[12:13]
	v_cndmask_b32_e64 v10, v10, v12, s[12:13]
	;; [unrolled: 1-line block ×3, first 2 shown]
	v_cmp_lt_i32_e64 s[12:13], v20, v70
	s_or_b64 s[14:15], s[14:15], s[16:17]
	s_and_b64 s[12:13], s[12:13], s[14:15]
	v_cndmask_b32_e64 v20, v21, v20, s[12:13]
	s_barrier
	ds_write2_b64 v26, v[6:7], v[8:9] offset1:1
	ds_write2_b64 v26, v[2:3], v[4:5] offset0:2 offset1:3
	v_lshlrev_b32_e32 v2, 3, v17
	v_lshlrev_b32_e32 v3, 3, v16
	;; [unrolled: 1-line block ×4, first 2 shown]
	s_waitcnt lgkmcnt(0)
	s_barrier
	ds_read_b64 v[6:7], v2
	ds_read_b64 v[8:9], v3
	;; [unrolled: 1-line block ×4, first 2 shown]
	v_mov_b32_e32 v85, v73
	v_cndmask_b32_e64 v13, v23, v25, s[12:13]
	v_cndmask_b32_e64 v12, v22, v24, s[12:13]
	s_waitcnt lgkmcnt(0)
	s_barrier
	ds_write2_b64 v26, v[10:11], v[14:15] offset1:1
	ds_write2_b64 v26, v[18:19], v[12:13] offset0:2 offset1:3
	s_waitcnt lgkmcnt(0)
	s_barrier
	s_and_saveexec_b64 s[14:15], s[10:11]
	s_cbranch_execz .LBB137_102
; %bb.99:                               ;   in Loop: Header=BB137_2 Depth=1
	s_mov_b64 s[16:17], 0
	v_mov_b32_e32 v85, v73
	v_mov_b32_e32 v10, v74
.LBB137_100:                            ;   Parent Loop BB137_2 Depth=1
                                        ; =>  This Inner Loop Header: Depth=2
	v_sub_u32_e32 v11, v10, v85
	v_lshrrev_b32_e32 v12, 31, v11
	v_add_u32_e32 v11, v11, v12
	v_ashrrev_i32_e32 v11, 1, v11
	v_add_u32_e32 v11, v11, v85
	v_xad_u32 v13, v11, -1, v1
	v_mov_b32_e32 v14, 0x800
	v_lshlrev_b32_e32 v12, 3, v11
	v_lshl_add_u32 v14, v13, 3, v14
	ds_read_b64 v[12:13], v12
	ds_read_b64 v[14:15], v14
	v_add_u32_e32 v16, 1, v11
	s_waitcnt lgkmcnt(0)
	v_cmp_lt_i64_e64 s[12:13], v[14:15], v[12:13]
	s_nop 1
	v_cndmask_b32_e64 v10, v10, v11, s[12:13]
	v_cndmask_b32_e64 v85, v16, v85, s[12:13]
	v_cmp_ge_i32_e64 s[12:13], v85, v10
	s_or_b64 s[16:17], s[12:13], s[16:17]
	s_andn2_b64 exec, exec, s[16:17]
	s_cbranch_execnz .LBB137_100
; %bb.101:                              ;   in Loop: Header=BB137_2 Depth=1
	s_or_b64 exec, exec, s[16:17]
.LBB137_102:                            ;   in Loop: Header=BB137_2 Depth=1
	s_or_b64 exec, exec, s[14:15]
	v_sub_u32_e32 v86, v84, v85
	v_lshlrev_b32_e32 v13, 3, v85
	v_lshlrev_b32_e32 v12, 3, v86
	ds_read_b64 v[10:11], v13
	ds_read_b64 v[14:15], v12
	v_cmp_le_i32_e64 s[14:15], v66, v85
	v_cmp_gt_i32_e64 s[12:13], s33, v86
                                        ; implicit-def: $vgpr16_vgpr17
	s_waitcnt lgkmcnt(0)
	v_cmp_lt_i64_e64 s[16:17], v[14:15], v[10:11]
	s_or_b64 s[14:15], s[14:15], s[16:17]
	s_and_b64 s[12:13], s[12:13], s[14:15]
	s_xor_b64 s[14:15], s[12:13], -1
	s_and_saveexec_b64 s[16:17], s[14:15]
	s_xor_b64 s[14:15], exec, s[16:17]
	s_cbranch_execz .LBB137_104
; %bb.103:                              ;   in Loop: Header=BB137_2 Depth=1
	ds_read_b64 v[16:17], v13 offset:8
                                        ; implicit-def: $vgpr12
.LBB137_104:                            ;   in Loop: Header=BB137_2 Depth=1
	s_or_saveexec_b64 s[14:15], s[14:15]
	v_mov_b64_e32 v[20:21], v[14:15]
	s_xor_b64 exec, exec, s[14:15]
	s_cbranch_execz .LBB137_106
; %bb.105:                              ;   in Loop: Header=BB137_2 Depth=1
	ds_read_b64 v[20:21], v12 offset:8
	s_waitcnt lgkmcnt(1)
	v_mov_b64_e32 v[16:17], v[10:11]
.LBB137_106:                            ;   in Loop: Header=BB137_2 Depth=1
	s_or_b64 exec, exec, s[14:15]
	v_add_u32_e32 v13, 1, v85
	v_add_u32_e32 v12, 1, v86
	v_cndmask_b32_e64 v88, v13, v85, s[12:13]
	v_cndmask_b32_e64 v87, v86, v12, s[12:13]
	v_cmp_ge_i32_e64 s[16:17], v88, v66
	s_waitcnt lgkmcnt(0)
	v_cmp_lt_i64_e64 s[18:19], v[20:21], v[16:17]
	v_cmp_gt_i32_e64 s[14:15], s33, v87
	s_or_b64 s[16:17], s[16:17], s[18:19]
	s_and_b64 s[16:17], s[14:15], s[16:17]
	s_xor_b64 s[14:15], s[16:17], -1
                                        ; implicit-def: $vgpr12_vgpr13
	s_and_saveexec_b64 s[18:19], s[14:15]
	s_xor_b64 s[14:15], exec, s[18:19]
	s_cbranch_execz .LBB137_108
; %bb.107:                              ;   in Loop: Header=BB137_2 Depth=1
	v_lshlrev_b32_e32 v12, 3, v88
	ds_read_b64 v[12:13], v12 offset:8
.LBB137_108:                            ;   in Loop: Header=BB137_2 Depth=1
	s_or_saveexec_b64 s[14:15], s[14:15]
	v_mov_b64_e32 v[18:19], v[20:21]
	s_xor_b64 exec, exec, s[14:15]
	s_cbranch_execz .LBB137_110
; %bb.109:                              ;   in Loop: Header=BB137_2 Depth=1
	s_waitcnt lgkmcnt(0)
	v_lshlrev_b32_e32 v12, 3, v87
	ds_read_b64 v[18:19], v12 offset:8
	v_mov_b64_e32 v[12:13], v[16:17]
.LBB137_110:                            ;   in Loop: Header=BB137_2 Depth=1
	s_or_b64 exec, exec, s[14:15]
	v_add_u32_e32 v23, 1, v88
	v_add_u32_e32 v22, 1, v87
	v_cndmask_b32_e64 v92, v23, v88, s[16:17]
	v_cndmask_b32_e64 v89, v87, v22, s[16:17]
	v_cmp_ge_i32_e64 s[18:19], v92, v66
	s_waitcnt lgkmcnt(0)
	v_cmp_lt_i64_e64 s[20:21], v[18:19], v[12:13]
	v_cmp_gt_i32_e64 s[14:15], s33, v89
	s_or_b64 s[18:19], s[18:19], s[20:21]
	s_and_b64 s[14:15], s[14:15], s[18:19]
	s_xor_b64 s[18:19], s[14:15], -1
                                        ; implicit-def: $vgpr22_vgpr23
                                        ; implicit-def: $vgpr91
	s_and_saveexec_b64 s[20:21], s[18:19]
	s_xor_b64 s[18:19], exec, s[20:21]
	s_cbranch_execz .LBB137_112
; %bb.111:                              ;   in Loop: Header=BB137_2 Depth=1
	v_lshlrev_b32_e32 v22, 3, v92
	ds_read_b64 v[22:23], v22 offset:8
	v_add_u32_e32 v91, 1, v92
.LBB137_112:                            ;   in Loop: Header=BB137_2 Depth=1
	s_or_saveexec_b64 s[18:19], s[18:19]
	v_mov_b32_e32 v90, v92
	v_mov_b64_e32 v[24:25], v[18:19]
	s_xor_b64 exec, exec, s[18:19]
	s_cbranch_execz .LBB137_1
; %bb.113:                              ;   in Loop: Header=BB137_2 Depth=1
	s_waitcnt lgkmcnt(0)
	v_lshlrev_b32_e32 v23, 3, v89
	ds_read_b64 v[24:25], v23 offset:8
	v_add_u32_e32 v22, 1, v89
	v_mov_b32_e32 v90, v89
	v_mov_b32_e32 v91, v92
	;; [unrolled: 1-line block ×3, first 2 shown]
	v_mov_b64_e32 v[22:23], v[12:13]
	s_branch .LBB137_1
.LBB137_114:
	s_add_u32 s0, s38, s40
	s_waitcnt lgkmcnt(3)
	v_lshl_add_u64 v[6:7], v[10:11], 0, v[6:7]
	s_addc_u32 s1, s39, s41
	v_lshlrev_b32_e32 v0, 3, v0
	s_waitcnt lgkmcnt(2)
	v_lshl_add_u64 v[8:9], v[14:15], 0, v[8:9]
	s_waitcnt lgkmcnt(1)
	v_lshl_add_u64 v[2:3], v[12:13], 0, v[2:3]
	;; [unrolled: 2-line block ×3, first 2 shown]
	global_store_dwordx2 v0, v[6:7], s[0:1]
	global_store_dwordx2 v0, v[8:9], s[0:1] offset:1024
	global_store_dwordx2 v0, v[2:3], s[0:1] offset:2048
	;; [unrolled: 1-line block ×3, first 2 shown]
	s_endpgm
	.section	.rodata,"a",@progbits
	.p2align	6, 0x0
	.amdhsa_kernel _Z17sort_pairs_kernelIxLj128ELj4EN10test_utils4lessELj10EEvPKT_PS2_T2_
		.amdhsa_group_segment_fixed_size 4104
		.amdhsa_private_segment_fixed_size 0
		.amdhsa_kernarg_size 20
		.amdhsa_user_sgpr_count 2
		.amdhsa_user_sgpr_dispatch_ptr 0
		.amdhsa_user_sgpr_queue_ptr 0
		.amdhsa_user_sgpr_kernarg_segment_ptr 1
		.amdhsa_user_sgpr_dispatch_id 0
		.amdhsa_user_sgpr_kernarg_preload_length 0
		.amdhsa_user_sgpr_kernarg_preload_offset 0
		.amdhsa_user_sgpr_private_segment_size 0
		.amdhsa_uses_dynamic_stack 0
		.amdhsa_enable_private_segment 0
		.amdhsa_system_sgpr_workgroup_id_x 1
		.amdhsa_system_sgpr_workgroup_id_y 0
		.amdhsa_system_sgpr_workgroup_id_z 0
		.amdhsa_system_sgpr_workgroup_info 0
		.amdhsa_system_vgpr_workitem_id 0
		.amdhsa_next_free_vgpr 93
		.amdhsa_next_free_sgpr 44
		.amdhsa_accum_offset 96
		.amdhsa_reserve_vcc 1
		.amdhsa_float_round_mode_32 0
		.amdhsa_float_round_mode_16_64 0
		.amdhsa_float_denorm_mode_32 3
		.amdhsa_float_denorm_mode_16_64 3
		.amdhsa_dx10_clamp 1
		.amdhsa_ieee_mode 1
		.amdhsa_fp16_overflow 0
		.amdhsa_tg_split 0
		.amdhsa_exception_fp_ieee_invalid_op 0
		.amdhsa_exception_fp_denorm_src 0
		.amdhsa_exception_fp_ieee_div_zero 0
		.amdhsa_exception_fp_ieee_overflow 0
		.amdhsa_exception_fp_ieee_underflow 0
		.amdhsa_exception_fp_ieee_inexact 0
		.amdhsa_exception_int_div_zero 0
	.end_amdhsa_kernel
	.section	.text._Z17sort_pairs_kernelIxLj128ELj4EN10test_utils4lessELj10EEvPKT_PS2_T2_,"axG",@progbits,_Z17sort_pairs_kernelIxLj128ELj4EN10test_utils4lessELj10EEvPKT_PS2_T2_,comdat
.Lfunc_end137:
	.size	_Z17sort_pairs_kernelIxLj128ELj4EN10test_utils4lessELj10EEvPKT_PS2_T2_, .Lfunc_end137-_Z17sort_pairs_kernelIxLj128ELj4EN10test_utils4lessELj10EEvPKT_PS2_T2_
                                        ; -- End function
	.section	.AMDGPU.csdata,"",@progbits
; Kernel info:
; codeLenInByte = 6756
; NumSgprs: 50
; NumVgprs: 93
; NumAgprs: 0
; TotalNumVgprs: 93
; ScratchSize: 0
; MemoryBound: 0
; FloatMode: 240
; IeeeMode: 1
; LDSByteSize: 4104 bytes/workgroup (compile time only)
; SGPRBlocks: 6
; VGPRBlocks: 11
; NumSGPRsForWavesPerEU: 50
; NumVGPRsForWavesPerEU: 93
; AccumOffset: 96
; Occupancy: 5
; WaveLimiterHint : 1
; COMPUTE_PGM_RSRC2:SCRATCH_EN: 0
; COMPUTE_PGM_RSRC2:USER_SGPR: 2
; COMPUTE_PGM_RSRC2:TRAP_HANDLER: 0
; COMPUTE_PGM_RSRC2:TGID_X_EN: 1
; COMPUTE_PGM_RSRC2:TGID_Y_EN: 0
; COMPUTE_PGM_RSRC2:TGID_Z_EN: 0
; COMPUTE_PGM_RSRC2:TIDIG_COMP_CNT: 0
; COMPUTE_PGM_RSRC3_GFX90A:ACCUM_OFFSET: 23
; COMPUTE_PGM_RSRC3_GFX90A:TG_SPLIT: 0
	.section	.text._Z16sort_keys_kernelIxLj128ELj8EN10test_utils4lessELj10EEvPKT_PS2_T2_,"axG",@progbits,_Z16sort_keys_kernelIxLj128ELj8EN10test_utils4lessELj10EEvPKT_PS2_T2_,comdat
	.protected	_Z16sort_keys_kernelIxLj128ELj8EN10test_utils4lessELj10EEvPKT_PS2_T2_ ; -- Begin function _Z16sort_keys_kernelIxLj128ELj8EN10test_utils4lessELj10EEvPKT_PS2_T2_
	.globl	_Z16sort_keys_kernelIxLj128ELj8EN10test_utils4lessELj10EEvPKT_PS2_T2_
	.p2align	8
	.type	_Z16sort_keys_kernelIxLj128ELj8EN10test_utils4lessELj10EEvPKT_PS2_T2_,@function
_Z16sort_keys_kernelIxLj128ELj8EN10test_utils4lessELj10EEvPKT_PS2_T2_: ; @_Z16sort_keys_kernelIxLj128ELj8EN10test_utils4lessELj10EEvPKT_PS2_T2_
; %bb.0:
	s_load_dwordx4 s[28:31], s[0:1], 0x0
	s_lshl_b32 s34, s2, 10
	s_mov_b32 s35, 0
	s_lshl_b64 s[36:37], s[34:35], 3
	v_mov_b32_e32 v3, 0
	s_waitcnt lgkmcnt(0)
	s_add_u32 s0, s28, s36
	s_addc_u32 s1, s29, s37
	v_lshlrev_b32_e32 v2, 3, v0
	v_lshl_add_u64 v[4:5], s[0:1], 0, v[2:3]
	global_load_dwordx2 v[20:21], v2, s[0:1]
	global_load_dwordx2 v[22:23], v2, s[0:1] offset:1024
	global_load_dwordx2 v[8:9], v2, s[0:1] offset:2048
	global_load_dwordx2 v[12:13], v2, s[0:1] offset:3072
	s_movk_i32 s0, 0x1000
	v_add_co_u32_e32 v16, vcc, s0, v4
	v_and_b32_e32 v3, 0x3f0, v2
	s_nop 0
	v_addc_co_u32_e32 v17, vcc, 0, v5, vcc
	global_load_dwordx2 v[6:7], v[16:17], off
	global_load_dwordx2 v[10:11], v[16:17], off offset:1024
	global_load_dwordx2 v[4:5], v[16:17], off offset:2048
	;; [unrolled: 1-line block ×3, first 2 shown]
	v_or_b32_e32 v41, 8, v3
	v_add_u32_e32 v42, 16, v3
	v_and_b32_e32 v48, 0x3e0, v2
	v_and_b32_e32 v40, 8, v2
	v_sub_u32_e32 v17, v42, v41
	v_or_b32_e32 v50, 16, v48
	v_add_u32_e32 v51, 32, v48
	v_and_b32_e32 v57, 0x3c0, v2
	v_sub_u32_e32 v16, v41, v3
	v_sub_u32_e32 v18, v40, v17
	v_cmp_ge_i32_e32 vcc, v40, v17
	v_and_b32_e32 v49, 24, v2
	v_sub_u32_e32 v17, v51, v50
	v_or_b32_e32 v59, 32, v57
	v_add_u32_e32 v60, 64, v57
	v_and_b32_e32 v66, 0x380, v2
	v_cndmask_b32_e32 v45, 0, v18, vcc
	v_min_i32_e32 v46, v40, v16
	v_sub_u32_e32 v16, v50, v48
	v_sub_u32_e32 v18, v49, v17
	v_cmp_ge_i32_e64 s[0:1], v49, v17
	v_and_b32_e32 v58, 56, v2
	v_sub_u32_e32 v17, v60, v59
	v_or_b32_e32 v68, 64, v66
	v_add_u32_e32 v69, 0x80, v66
	v_and_b32_e32 v75, 0x300, v2
	v_cndmask_b32_e64 v54, 0, v18, s[0:1]
	v_min_i32_e32 v55, v49, v16
	v_sub_u32_e32 v16, v59, v57
	v_sub_u32_e32 v18, v58, v17
	v_cmp_ge_i32_e64 s[2:3], v58, v17
	v_and_b32_e32 v67, 0x78, v2
	v_sub_u32_e32 v17, v69, v68
	v_or_b32_e32 v77, 0x80, v75
	v_add_u32_e32 v78, 0x100, v75
	v_and_b32_e32 v85, 0x200, v2
	v_cndmask_b32_e64 v63, 0, v18, s[2:3]
	v_min_i32_e32 v64, v58, v16
	v_sub_u32_e32 v16, v68, v66
	v_sub_u32_e32 v18, v67, v17
	v_cmp_ge_i32_e64 s[4:5], v67, v17
	v_and_b32_e32 v76, 0xf8, v2
	v_sub_u32_e32 v17, v78, v77
	v_or_b32_e32 v87, 0x100, v85
	v_add_u32_e32 v88, 0x200, v85
	v_cndmask_b32_e64 v72, 0, v18, s[4:5]
	v_min_i32_e32 v73, v67, v16
	v_sub_u32_e32 v16, v77, v75
	v_sub_u32_e32 v18, v76, v17
	v_cmp_ge_i32_e64 s[6:7], v76, v17
	v_and_b32_e32 v86, 0x1f8, v2
	v_sub_u32_e32 v17, v88, v87
	v_cndmask_b32_e64 v81, 0, v18, s[6:7]
	v_min_i32_e32 v82, v76, v16
	v_mov_b32_e32 v84, 0x200
	v_sub_u32_e32 v16, v87, v85
	v_sub_u32_e32 v18, v86, v17
	v_cmp_ge_i32_e64 s[8:9], v86, v17
	v_min_i32_e32 v92, v86, v16
	v_sub_u32_e64 v95, v2, v84 clamp
	v_cndmask_b32_e64 v91, 0, v18, s[8:9]
	v_min_i32_e32 v96, 0x200, v2
	v_lshlrev_b32_e32 v1, 6, v0
	v_lshlrev_b32_e32 v43, 3, v3
	;; [unrolled: 1-line block ×3, first 2 shown]
	v_cmp_lt_i32_e32 vcc, v45, v46
	v_add_u32_e32 v47, v41, v40
	v_lshlrev_b32_e32 v52, 3, v48
	v_lshlrev_b32_e32 v53, 3, v50
	v_cmp_lt_i32_e64 s[0:1], v54, v55
	v_add_u32_e32 v56, v50, v49
	v_lshlrev_b32_e32 v61, 3, v57
	v_lshlrev_b32_e32 v62, 3, v59
	v_cmp_lt_i32_e64 s[2:3], v63, v64
	v_add_u32_e32 v65, v59, v58
	v_lshlrev_b32_e32 v70, 3, v66
	v_lshlrev_b32_e32 v71, 3, v68
	v_cmp_lt_i32_e64 s[4:5], v72, v73
	v_add_u32_e32 v74, v68, v67
	v_lshlrev_b32_e32 v79, 3, v75
	v_lshlrev_b32_e32 v80, 3, v77
	v_cmp_lt_i32_e64 s[6:7], v81, v82
	v_add_u32_e32 v83, v77, v76
	v_lshlrev_b32_e32 v89, 3, v85
	v_lshlrev_b32_e32 v90, 3, v87
	v_cmp_lt_i32_e64 s[8:9], v91, v92
	v_add_u32_e32 v93, v87, v86
	v_mov_b32_e32 v94, 0x1000
	v_cmp_lt_i32_e64 s[10:11], v95, v96
	v_add_u32_e32 v97, 0x200, v2
	s_movk_i32 s33, 0x400
	s_branch .LBB138_2
.LBB138_1:                              ;   in Loop: Header=BB138_2 Depth=1
	s_or_b64 exec, exec, s[26:27]
	v_cndmask_b32_e64 v23, v9, v11, s[14:15]
	v_cndmask_b32_e64 v22, v8, v10, s[14:15]
	;; [unrolled: 1-line block ×4, first 2 shown]
	v_cmp_ge_i32_e64 s[14:15], v99, v84
	s_waitcnt lgkmcnt(0)
	v_cmp_lt_i64_e64 s[16:17], v[38:39], v[36:37]
	v_cndmask_b32_e64 v21, v5, v7, s[12:13]
	v_cndmask_b32_e64 v20, v4, v6, s[12:13]
	v_cmp_gt_i32_e64 s[12:13], s33, v98
	s_or_b64 s[14:15], s[14:15], s[16:17]
	s_and_b64 s[12:13], s[12:13], s[14:15]
	s_add_i32 s35, s35, 1
	v_cndmask_b32_e64 v13, v17, v19, s[18:19]
	v_cndmask_b32_e64 v12, v16, v18, s[18:19]
	;; [unrolled: 1-line block ×9, first 2 shown]
	s_cmp_eq_u32 s35, 10
	v_cndmask_b32_e64 v14, v36, v38, s[12:13]
	s_cbranch_scc1 .LBB138_226
.LBB138_2:                              ; =>This Loop Header: Depth=1
                                        ;     Child Loop BB138_4 Depth 2
                                        ;     Child Loop BB138_36 Depth 2
	;; [unrolled: 1-line block ×7, first 2 shown]
	s_waitcnt vmcnt(6)
	v_cmp_lt_i64_e64 s[12:13], v[22:23], v[20:21]
	s_barrier
	s_nop 0
	v_cndmask_b32_e64 v17, v21, v23, s[12:13]
	v_cndmask_b32_e64 v16, v20, v22, s[12:13]
	;; [unrolled: 1-line block ×4, first 2 shown]
	v_cmp_gt_i64_e64 s[12:13], v[22:23], v[20:21]
	s_nop 1
	v_cndmask_b32_e64 v19, v21, v23, s[12:13]
	v_cndmask_b32_e64 v18, v20, v22, s[12:13]
	s_waitcnt vmcnt(4)
	v_cmp_lt_i64_e64 s[12:13], v[12:13], v[8:9]
	s_nop 1
	v_cndmask_b32_e64 v21, v9, v13, s[12:13]
	v_cndmask_b32_e64 v20, v8, v12, s[12:13]
	;; [unrolled: 1-line block ×4, first 2 shown]
	v_cmp_gt_i64_e64 s[12:13], v[12:13], v[8:9]
	v_cmp_gt_i64_e64 s[14:15], v[20:21], v[18:19]
	s_nop 0
	v_cndmask_b32_e64 v9, v9, v13, s[12:13]
	v_cndmask_b32_e64 v8, v8, v12, s[12:13]
	s_waitcnt vmcnt(2)
	v_cmp_lt_i64_e64 s[12:13], v[10:11], v[6:7]
	s_nop 1
	v_cndmask_b32_e64 v13, v7, v11, s[12:13]
	v_cndmask_b32_e64 v12, v6, v10, s[12:13]
	;; [unrolled: 1-line block ×4, first 2 shown]
	v_cmp_gt_i64_e64 s[12:13], v[10:11], v[6:7]
	s_nop 1
	v_cndmask_b32_e64 v7, v7, v11, s[12:13]
	v_cndmask_b32_e64 v6, v6, v10, s[12:13]
	s_waitcnt vmcnt(0)
	v_cmp_lt_i64_e64 s[12:13], v[14:15], v[4:5]
	s_nop 1
	v_cndmask_b32_e64 v11, v5, v15, s[12:13]
	v_cndmask_b32_e64 v10, v4, v14, s[12:13]
	;; [unrolled: 1-line block ×4, first 2 shown]
	v_cmp_gt_i64_e64 s[12:13], v[14:15], v[4:5]
	s_nop 1
	v_cndmask_b32_e64 v5, v5, v15, s[12:13]
	v_cndmask_b32_e64 v4, v4, v14, s[12:13]
	v_cmp_lt_i64_e64 s[12:13], v[20:21], v[18:19]
	v_cndmask_b32_e64 v15, v19, v21, s[14:15]
	v_cndmask_b32_e64 v14, v18, v20, s[14:15]
	v_cndmask_b32_e64 v30, v21, v19, s[12:13]
	v_cndmask_b32_e64 v31, v20, v18, s[12:13]
	v_cndmask_b32_e64 v25, v25, v21, s[12:13]
	v_cndmask_b32_e64 v24, v24, v20, s[12:13]
	v_cndmask_b32_e64 v32, v18, v20, s[12:13]
	v_cndmask_b32_e64 v33, v19, v21, s[12:13]
	v_cmp_lt_i64_e64 s[12:13], v[12:13], v[8:9]
	v_cmp_gt_i64_e64 s[14:15], v[12:13], v[8:9]
	s_nop 0
	v_cndmask_b32_e64 v34, v13, v9, s[12:13]
	v_cndmask_b32_e64 v35, v12, v8, s[12:13]
	v_cndmask_b32_e64 v23, v23, v13, s[12:13]
	v_cndmask_b32_e64 v22, v22, v12, s[12:13]
	v_cndmask_b32_e64 v19, v9, v13, s[14:15]
	v_cndmask_b32_e64 v18, v8, v12, s[14:15]
	v_cndmask_b32_e64 v9, v9, v13, s[12:13]
	v_cndmask_b32_e64 v8, v8, v12, s[12:13]
	v_cmp_lt_i64_e64 s[12:13], v[10:11], v[6:7]
	v_cmp_gt_i64_e64 s[14:15], v[10:11], v[6:7]
	s_nop 0
	;; [unrolled: 11-line block ×3, first 2 shown]
	v_cndmask_b32_e64 v13, v17, v33, s[12:13]
	v_cndmask_b32_e64 v12, v16, v32, s[12:13]
	;; [unrolled: 1-line block ×6, first 2 shown]
	v_cmp_lt_i64_e64 s[12:13], v[8:9], v[14:15]
	v_cndmask_b32_e64 v21, v15, v9, s[14:15]
	v_cndmask_b32_e64 v20, v14, v8, s[14:15]
	;; [unrolled: 1-line block ×8, first 2 shown]
	v_cmp_lt_i64_e64 s[12:13], v[10:11], v[18:19]
	v_cmp_gt_i64_e64 s[14:15], v[10:11], v[18:19]
	s_nop 0
	v_cndmask_b32_e64 v26, v26, v18, s[12:13]
	v_cndmask_b32_e64 v27, v27, v19, s[12:13]
	;; [unrolled: 1-line block ×8, first 2 shown]
	v_cmp_gt_i64_e64 s[12:13], v[6:7], v[4:5]
	v_cmp_gt_i64_e64 s[14:15], v[8:9], v[16:17]
	s_nop 0
	v_cndmask_b32_e64 v29, v29, v39, s[12:13]
	v_cndmask_b32_e64 v28, v28, v38, s[12:13]
	v_cndmask_b32_e64 v34, v37, v4, s[12:13]
	v_cndmask_b32_e64 v35, v36, v5, s[12:13]
	v_cndmask_b32_e64 v7, v5, v39, s[12:13]
	v_cndmask_b32_e64 v6, v4, v38, s[12:13]
	v_cndmask_b32_e64 v5, v39, v5, s[12:13]
	v_cndmask_b32_e64 v4, v38, v4, s[12:13]
	v_cmp_lt_i64_e64 s[12:13], v[8:9], v[16:17]
	v_cndmask_b32_e64 v19, v17, v9, s[14:15]
	v_cndmask_b32_e64 v18, v16, v8, s[14:15]
	v_cndmask_b32_e64 v30, v30, v17, s[12:13]
	v_cndmask_b32_e64 v31, v31, v16, s[12:13]
	v_cndmask_b32_e64 v25, v25, v9, s[12:13]
	v_cndmask_b32_e64 v24, v24, v8, s[12:13]
	v_cndmask_b32_e64 v9, v17, v9, s[12:13]
	v_cndmask_b32_e64 v8, v16, v8, s[12:13]
	v_cmp_lt_i64_e64 s[12:13], v[10:11], v[20:21]
	v_cmp_gt_i64_e64 s[14:15], v[10:11], v[20:21]
	s_nop 0
	v_cndmask_b32_e64 v33, v33, v21, s[12:13]
	v_cndmask_b32_e64 v32, v32, v20, s[12:13]
	v_cndmask_b32_e64 v23, v23, v11, s[12:13]
	v_cndmask_b32_e64 v22, v22, v10, s[12:13]
	v_cndmask_b32_e64 v17, v21, v11, s[14:15]
	v_cndmask_b32_e64 v16, v20, v10, s[14:15]
	v_cndmask_b32_e64 v11, v21, v11, s[12:13]
	v_cndmask_b32_e64 v10, v20, v10, s[12:13]
	v_cmp_lt_i64_e64 s[12:13], v[4:5], v[14:15]
	v_cmp_gt_i64_e64 s[14:15], v[4:5], v[14:15]
	s_nop 0
	;; [unrolled: 11-line block ×3, first 2 shown]
	v_cndmask_b32_e64 v24, v24, v12, s[12:13]
	v_cndmask_b32_e64 v25, v25, v13, s[12:13]
	;; [unrolled: 1-line block ×4, first 2 shown]
	v_cmp_gt_i64_e64 s[12:13], v[8:9], v[12:13]
	s_nop 1
	v_cndmask_b32_e64 v9, v13, v9, s[12:13]
	v_cndmask_b32_e64 v8, v12, v8, s[12:13]
	v_cmp_lt_i64_e64 s[12:13], v[10:11], v[18:19]
	v_cndmask_b32_e64 v13, v19, v11, s[14:15]
	v_cndmask_b32_e64 v12, v18, v10, s[14:15]
	v_cndmask_b32_e64 v22, v22, v18, s[12:13]
	v_cndmask_b32_e64 v23, v23, v19, s[12:13]
	v_cndmask_b32_e64 v31, v31, v10, s[12:13]
	v_cndmask_b32_e64 v30, v30, v11, s[12:13]
	v_cndmask_b32_e64 v11, v19, v11, s[12:13]
	v_cndmask_b32_e64 v10, v18, v10, s[12:13]
	v_cmp_lt_i64_e64 s[12:13], v[4:5], v[16:17]
	v_cmp_gt_i64_e64 s[14:15], v[4:5], v[16:17]
	s_nop 0
	v_cndmask_b32_e64 v26, v26, v16, s[12:13]
	v_cndmask_b32_e64 v27, v27, v17, s[12:13]
	v_cndmask_b32_e64 v32, v32, v4, s[12:13]
	v_cndmask_b32_e64 v33, v33, v5, s[12:13]
	v_cndmask_b32_e64 v19, v17, v5, s[14:15]
	v_cndmask_b32_e64 v18, v16, v4, s[14:15]
	v_cndmask_b32_e64 v5, v17, v5, s[12:13]
	v_cndmask_b32_e64 v4, v16, v4, s[12:13]
	v_cmp_lt_i64_e64 s[12:13], v[6:7], v[20:21]
	v_cmp_gt_i64_e64 s[14:15], v[6:7], v[20:21]
	s_nop 0
	;; [unrolled: 11-line block ×6, first 2 shown]
	v_cndmask_b32_e64 v11, v15, v37, s[12:13]
	v_cndmask_b32_e64 v10, v14, v36, s[12:13]
	;; [unrolled: 1-line block ×6, first 2 shown]
	v_cmp_lt_i64_e64 s[12:13], v[4:5], v[20:21]
	v_cndmask_b32_e64 v15, v21, v5, s[14:15]
	v_cndmask_b32_e64 v14, v20, v4, s[14:15]
	;; [unrolled: 1-line block ×8, first 2 shown]
	v_cmp_lt_i64_e64 s[12:13], v[6:7], v[8:9]
	v_cmp_gt_i64_e64 s[14:15], v[6:7], v[8:9]
	s_nop 0
	v_cndmask_b32_e64 v26, v26, v8, s[12:13]
	v_cndmask_b32_e64 v27, v27, v9, s[12:13]
	;; [unrolled: 1-line block ×8, first 2 shown]
	v_cmp_gt_i64_e64 s[12:13], v[18:19], v[16:17]
	s_nop 1
	v_cndmask_b32_e64 v9, v29, v39, s[12:13]
	v_cndmask_b32_e64 v8, v28, v38, s[12:13]
	;; [unrolled: 1-line block ×6, first 2 shown]
	v_cmp_lt_i64_e64 s[12:13], v[4:5], v[12:13]
	s_nop 1
	v_cndmask_b32_e64 v13, v30, v13, s[12:13]
	v_cndmask_b32_e64 v12, v31, v12, s[12:13]
	v_cndmask_b32_e64 v5, v25, v5, s[12:13]
	v_cndmask_b32_e64 v4, v24, v4, s[12:13]
	v_cmp_lt_i64_e64 s[12:13], v[6:7], v[14:15]
	s_nop 1
	v_cndmask_b32_e64 v15, v33, v15, s[12:13]
	v_cndmask_b32_e64 v14, v32, v14, s[12:13]
	v_cndmask_b32_e64 v7, v23, v7, s[12:13]
	v_cndmask_b32_e64 v6, v22, v6, s[12:13]
	;; [unrolled: 6-line block ×3, first 2 shown]
	ds_write2_b64 v1, v[10:11], v[4:5] offset1:1
	ds_write2_b64 v1, v[12:13], v[6:7] offset0:2 offset1:3
	ds_write2_b64 v1, v[14:15], v[16:17] offset0:4 offset1:5
	;; [unrolled: 1-line block ×3, first 2 shown]
	v_mov_b32_e32 v8, v45
	s_waitcnt lgkmcnt(0)
	s_barrier
	s_and_saveexec_b64 s[14:15], vcc
	s_cbranch_execz .LBB138_6
; %bb.3:                                ;   in Loop: Header=BB138_2 Depth=1
	s_mov_b64 s[16:17], 0
	v_mov_b32_e32 v8, v45
	v_mov_b32_e32 v4, v46
.LBB138_4:                              ;   Parent Loop BB138_2 Depth=1
                                        ; =>  This Inner Loop Header: Depth=2
	v_sub_u32_e32 v5, v4, v8
	v_lshrrev_b32_e32 v6, 31, v5
	v_add_u32_e32 v5, v5, v6
	v_ashrrev_i32_e32 v5, 1, v5
	v_add_u32_e32 v5, v5, v8
	v_lshl_add_u32 v6, v5, 3, v43
	v_xad_u32 v7, v5, -1, v40
	v_lshl_add_u32 v9, v7, 3, v44
	ds_read_b64 v[6:7], v6
	ds_read_b64 v[10:11], v9
	v_add_u32_e32 v9, 1, v5
	s_waitcnt lgkmcnt(0)
	v_cmp_lt_i64_e64 s[12:13], v[10:11], v[6:7]
	s_nop 1
	v_cndmask_b32_e64 v4, v4, v5, s[12:13]
	v_cndmask_b32_e64 v8, v9, v8, s[12:13]
	v_cmp_ge_i32_e64 s[12:13], v8, v4
	s_or_b64 s[16:17], s[12:13], s[16:17]
	s_andn2_b64 exec, exec, s[16:17]
	s_cbranch_execnz .LBB138_4
; %bb.5:                                ;   in Loop: Header=BB138_2 Depth=1
	s_or_b64 exec, exec, s[16:17]
.LBB138_6:                              ;   in Loop: Header=BB138_2 Depth=1
	s_or_b64 exec, exec, s[14:15]
	v_sub_u32_e32 v12, v47, v8
	v_lshl_add_u32 v10, v8, 3, v43
	v_lshlrev_b32_e32 v14, 3, v12
	ds_read_b64 v[4:5], v10
	ds_read_b64 v[6:7], v14
	v_add_u32_e32 v13, v8, v3
	v_cmp_le_i32_e64 s[14:15], v41, v13
	v_cmp_gt_i32_e64 s[12:13], v42, v12
                                        ; implicit-def: $vgpr8_vgpr9
	s_waitcnt lgkmcnt(0)
	v_cmp_lt_i64_e64 s[16:17], v[6:7], v[4:5]
	s_or_b64 s[14:15], s[14:15], s[16:17]
	s_and_b64 s[12:13], s[12:13], s[14:15]
	s_xor_b64 s[14:15], s[12:13], -1
	s_and_saveexec_b64 s[16:17], s[14:15]
	s_xor_b64 s[14:15], exec, s[16:17]
	s_cbranch_execz .LBB138_8
; %bb.7:                                ;   in Loop: Header=BB138_2 Depth=1
	ds_read_b64 v[8:9], v10 offset:8
                                        ; implicit-def: $vgpr14
.LBB138_8:                              ;   in Loop: Header=BB138_2 Depth=1
	s_or_saveexec_b64 s[14:15], s[14:15]
	v_mov_b64_e32 v[10:11], v[6:7]
	s_xor_b64 exec, exec, s[14:15]
	s_cbranch_execz .LBB138_10
; %bb.9:                                ;   in Loop: Header=BB138_2 Depth=1
	ds_read_b64 v[10:11], v14 offset:8
	s_waitcnt lgkmcnt(1)
	v_mov_b64_e32 v[8:9], v[4:5]
.LBB138_10:                             ;   in Loop: Header=BB138_2 Depth=1
	s_or_b64 exec, exec, s[14:15]
	v_add_u32_e32 v15, 1, v13
	v_add_u32_e32 v14, 1, v12
	v_cndmask_b32_e64 v17, v15, v13, s[12:13]
	v_cndmask_b32_e64 v16, v12, v14, s[12:13]
	v_cmp_ge_i32_e64 s[16:17], v17, v41
	s_waitcnt lgkmcnt(0)
	v_cmp_lt_i64_e64 s[18:19], v[10:11], v[8:9]
	v_cmp_lt_i32_e64 s[14:15], v16, v42
	s_or_b64 s[16:17], s[16:17], s[18:19]
	s_and_b64 s[14:15], s[14:15], s[16:17]
	s_xor_b64 s[16:17], s[14:15], -1
                                        ; implicit-def: $vgpr12_vgpr13
	s_and_saveexec_b64 s[18:19], s[16:17]
	s_xor_b64 s[16:17], exec, s[18:19]
	s_cbranch_execz .LBB138_12
; %bb.11:                               ;   in Loop: Header=BB138_2 Depth=1
	v_lshlrev_b32_e32 v12, 3, v17
	ds_read_b64 v[12:13], v12 offset:8
.LBB138_12:                             ;   in Loop: Header=BB138_2 Depth=1
	s_or_saveexec_b64 s[16:17], s[16:17]
	v_mov_b64_e32 v[14:15], v[10:11]
	s_xor_b64 exec, exec, s[16:17]
	s_cbranch_execz .LBB138_14
; %bb.13:                               ;   in Loop: Header=BB138_2 Depth=1
	s_waitcnt lgkmcnt(0)
	v_lshlrev_b32_e32 v12, 3, v16
	ds_read_b64 v[14:15], v12 offset:8
	v_mov_b64_e32 v[12:13], v[8:9]
.LBB138_14:                             ;   in Loop: Header=BB138_2 Depth=1
	s_or_b64 exec, exec, s[16:17]
	v_add_u32_e32 v19, 1, v17
	v_add_u32_e32 v18, 1, v16
	v_cndmask_b32_e64 v21, v19, v17, s[14:15]
	v_cndmask_b32_e64 v20, v16, v18, s[14:15]
	v_cmp_ge_i32_e64 s[18:19], v21, v41
	s_waitcnt lgkmcnt(0)
	v_cmp_lt_i64_e64 s[20:21], v[14:15], v[12:13]
	v_cmp_lt_i32_e64 s[16:17], v20, v42
	s_or_b64 s[18:19], s[18:19], s[20:21]
	s_and_b64 s[16:17], s[16:17], s[18:19]
	s_xor_b64 s[18:19], s[16:17], -1
                                        ; implicit-def: $vgpr16_vgpr17
	s_and_saveexec_b64 s[20:21], s[18:19]
	s_xor_b64 s[18:19], exec, s[20:21]
	s_cbranch_execz .LBB138_16
; %bb.15:                               ;   in Loop: Header=BB138_2 Depth=1
	v_lshlrev_b32_e32 v16, 3, v21
	ds_read_b64 v[16:17], v16 offset:8
.LBB138_16:                             ;   in Loop: Header=BB138_2 Depth=1
	s_or_saveexec_b64 s[18:19], s[18:19]
	v_mov_b64_e32 v[18:19], v[14:15]
	s_xor_b64 exec, exec, s[18:19]
	s_cbranch_execz .LBB138_18
; %bb.17:                               ;   in Loop: Header=BB138_2 Depth=1
	s_waitcnt lgkmcnt(0)
	v_lshlrev_b32_e32 v16, 3, v20
	ds_read_b64 v[18:19], v16 offset:8
	v_mov_b64_e32 v[16:17], v[12:13]
.LBB138_18:                             ;   in Loop: Header=BB138_2 Depth=1
	s_or_b64 exec, exec, s[18:19]
	v_add_u32_e32 v23, 1, v21
	v_add_u32_e32 v22, 1, v20
	v_cndmask_b32_e64 v25, v23, v21, s[16:17]
	v_cndmask_b32_e64 v24, v20, v22, s[16:17]
	v_cmp_ge_i32_e64 s[20:21], v25, v41
	s_waitcnt lgkmcnt(0)
	v_cmp_lt_i64_e64 s[22:23], v[18:19], v[16:17]
	v_cmp_lt_i32_e64 s[18:19], v24, v42
	s_or_b64 s[20:21], s[20:21], s[22:23]
	s_and_b64 s[18:19], s[18:19], s[20:21]
	s_xor_b64 s[20:21], s[18:19], -1
                                        ; implicit-def: $vgpr20_vgpr21
	s_and_saveexec_b64 s[22:23], s[20:21]
	s_xor_b64 s[20:21], exec, s[22:23]
	s_cbranch_execz .LBB138_20
; %bb.19:                               ;   in Loop: Header=BB138_2 Depth=1
	v_lshlrev_b32_e32 v20, 3, v25
	ds_read_b64 v[20:21], v20 offset:8
.LBB138_20:                             ;   in Loop: Header=BB138_2 Depth=1
	s_or_saveexec_b64 s[20:21], s[20:21]
	v_mov_b64_e32 v[22:23], v[18:19]
	s_xor_b64 exec, exec, s[20:21]
	s_cbranch_execz .LBB138_22
; %bb.21:                               ;   in Loop: Header=BB138_2 Depth=1
	s_waitcnt lgkmcnt(0)
	v_lshlrev_b32_e32 v20, 3, v24
	ds_read_b64 v[22:23], v20 offset:8
	v_mov_b64_e32 v[20:21], v[16:17]
.LBB138_22:                             ;   in Loop: Header=BB138_2 Depth=1
	s_or_b64 exec, exec, s[20:21]
	v_add_u32_e32 v27, 1, v25
	v_add_u32_e32 v26, 1, v24
	v_cndmask_b32_e64 v29, v27, v25, s[18:19]
	v_cndmask_b32_e64 v28, v24, v26, s[18:19]
	v_cmp_ge_i32_e64 s[22:23], v29, v41
	s_waitcnt lgkmcnt(0)
	v_cmp_lt_i64_e64 s[24:25], v[22:23], v[20:21]
	v_cmp_lt_i32_e64 s[20:21], v28, v42
	s_or_b64 s[22:23], s[22:23], s[24:25]
	s_and_b64 s[20:21], s[20:21], s[22:23]
	s_xor_b64 s[22:23], s[20:21], -1
                                        ; implicit-def: $vgpr24_vgpr25
	s_and_saveexec_b64 s[24:25], s[22:23]
	s_xor_b64 s[22:23], exec, s[24:25]
	s_cbranch_execz .LBB138_24
; %bb.23:                               ;   in Loop: Header=BB138_2 Depth=1
	v_lshlrev_b32_e32 v24, 3, v29
	ds_read_b64 v[24:25], v24 offset:8
.LBB138_24:                             ;   in Loop: Header=BB138_2 Depth=1
	s_or_saveexec_b64 s[22:23], s[22:23]
	v_mov_b64_e32 v[26:27], v[22:23]
	s_xor_b64 exec, exec, s[22:23]
	s_cbranch_execz .LBB138_26
; %bb.25:                               ;   in Loop: Header=BB138_2 Depth=1
	s_waitcnt lgkmcnt(0)
	v_lshlrev_b32_e32 v24, 3, v28
	ds_read_b64 v[26:27], v24 offset:8
	v_mov_b64_e32 v[24:25], v[20:21]
.LBB138_26:                             ;   in Loop: Header=BB138_2 Depth=1
	s_or_b64 exec, exec, s[22:23]
	v_add_u32_e32 v31, 1, v29
	v_add_u32_e32 v30, 1, v28
	v_cndmask_b32_e64 v33, v31, v29, s[20:21]
	v_cndmask_b32_e64 v32, v28, v30, s[20:21]
	v_cmp_ge_i32_e64 s[24:25], v33, v41
	s_waitcnt lgkmcnt(0)
	v_cmp_lt_i64_e64 s[26:27], v[26:27], v[24:25]
	v_cmp_lt_i32_e64 s[22:23], v32, v42
	s_or_b64 s[24:25], s[24:25], s[26:27]
	s_and_b64 s[22:23], s[22:23], s[24:25]
	s_xor_b64 s[24:25], s[22:23], -1
                                        ; implicit-def: $vgpr28_vgpr29
	s_and_saveexec_b64 s[26:27], s[24:25]
	s_xor_b64 s[24:25], exec, s[26:27]
	s_cbranch_execz .LBB138_28
; %bb.27:                               ;   in Loop: Header=BB138_2 Depth=1
	v_lshlrev_b32_e32 v28, 3, v33
	ds_read_b64 v[28:29], v28 offset:8
.LBB138_28:                             ;   in Loop: Header=BB138_2 Depth=1
	s_or_saveexec_b64 s[24:25], s[24:25]
	v_mov_b64_e32 v[30:31], v[26:27]
	s_xor_b64 exec, exec, s[24:25]
	s_cbranch_execz .LBB138_30
; %bb.29:                               ;   in Loop: Header=BB138_2 Depth=1
	s_waitcnt lgkmcnt(0)
	v_lshlrev_b32_e32 v28, 3, v32
	ds_read_b64 v[30:31], v28 offset:8
	v_mov_b64_e32 v[28:29], v[24:25]
.LBB138_30:                             ;   in Loop: Header=BB138_2 Depth=1
	s_or_b64 exec, exec, s[24:25]
	v_add_u32_e32 v35, 1, v33
	v_add_u32_e32 v34, 1, v32
	v_cndmask_b32_e64 v37, v35, v33, s[22:23]
	v_cndmask_b32_e64 v36, v32, v34, s[22:23]
	v_cmp_ge_i32_e64 s[26:27], v37, v41
	s_waitcnt lgkmcnt(0)
	v_cmp_lt_i64_e64 s[28:29], v[30:31], v[28:29]
	v_cmp_lt_i32_e64 s[24:25], v36, v42
	s_or_b64 s[26:27], s[26:27], s[28:29]
	s_and_b64 s[24:25], s[24:25], s[26:27]
	s_xor_b64 s[26:27], s[24:25], -1
                                        ; implicit-def: $vgpr32_vgpr33
	s_and_saveexec_b64 s[28:29], s[26:27]
	s_xor_b64 s[26:27], exec, s[28:29]
	s_cbranch_execz .LBB138_32
; %bb.31:                               ;   in Loop: Header=BB138_2 Depth=1
	v_lshlrev_b32_e32 v32, 3, v37
	ds_read_b64 v[32:33], v32 offset:8
.LBB138_32:                             ;   in Loop: Header=BB138_2 Depth=1
	s_or_saveexec_b64 s[26:27], s[26:27]
	v_mov_b64_e32 v[34:35], v[30:31]
	s_xor_b64 exec, exec, s[26:27]
	s_cbranch_execz .LBB138_34
; %bb.33:                               ;   in Loop: Header=BB138_2 Depth=1
	s_waitcnt lgkmcnt(0)
	v_lshlrev_b32_e32 v32, 3, v36
	ds_read_b64 v[34:35], v32 offset:8
	v_mov_b64_e32 v[32:33], v[28:29]
.LBB138_34:                             ;   in Loop: Header=BB138_2 Depth=1
	s_or_b64 exec, exec, s[26:27]
	v_cndmask_b32_e64 v29, v29, v31, s[24:25]
	v_add_u32_e32 v31, 1, v37
	v_cndmask_b32_e64 v28, v28, v30, s[24:25]
	v_add_u32_e32 v30, 1, v36
	v_cndmask_b32_e64 v31, v31, v37, s[24:25]
	v_cndmask_b32_e64 v30, v36, v30, s[24:25]
	;; [unrolled: 1-line block ×6, first 2 shown]
	v_cmp_ge_i32_e64 s[14:15], v31, v41
	s_waitcnt lgkmcnt(0)
	v_cmp_lt_i64_e64 s[16:17], v[34:35], v[32:33]
	v_cndmask_b32_e64 v5, v5, v7, s[12:13]
	v_cndmask_b32_e64 v4, v4, v6, s[12:13]
	v_cmp_lt_i32_e64 s[12:13], v30, v42
	s_or_b64 s[14:15], s[14:15], s[16:17]
	s_and_b64 s[12:13], s[12:13], s[14:15]
	v_cndmask_b32_e64 v25, v25, v27, s[22:23]
	v_cndmask_b32_e64 v24, v24, v26, s[22:23]
	;; [unrolled: 1-line block ×8, first 2 shown]
	s_barrier
	ds_write2_b64 v1, v[4:5], v[8:9] offset1:1
	ds_write2_b64 v1, v[12:13], v[16:17] offset0:2 offset1:3
	ds_write2_b64 v1, v[20:21], v[24:25] offset0:4 offset1:5
	;; [unrolled: 1-line block ×3, first 2 shown]
	v_mov_b32_e32 v8, v54
	s_waitcnt lgkmcnt(0)
	s_barrier
	s_and_saveexec_b64 s[14:15], s[0:1]
	s_cbranch_execz .LBB138_38
; %bb.35:                               ;   in Loop: Header=BB138_2 Depth=1
	s_mov_b64 s[16:17], 0
	v_mov_b32_e32 v8, v54
	v_mov_b32_e32 v4, v55
.LBB138_36:                             ;   Parent Loop BB138_2 Depth=1
                                        ; =>  This Inner Loop Header: Depth=2
	v_sub_u32_e32 v5, v4, v8
	v_lshrrev_b32_e32 v6, 31, v5
	v_add_u32_e32 v5, v5, v6
	v_ashrrev_i32_e32 v5, 1, v5
	v_add_u32_e32 v5, v5, v8
	v_lshl_add_u32 v6, v5, 3, v52
	v_xad_u32 v7, v5, -1, v49
	v_lshl_add_u32 v9, v7, 3, v53
	ds_read_b64 v[6:7], v6
	ds_read_b64 v[10:11], v9
	v_add_u32_e32 v9, 1, v5
	s_waitcnt lgkmcnt(0)
	v_cmp_lt_i64_e64 s[12:13], v[10:11], v[6:7]
	s_nop 1
	v_cndmask_b32_e64 v4, v4, v5, s[12:13]
	v_cndmask_b32_e64 v8, v9, v8, s[12:13]
	v_cmp_ge_i32_e64 s[12:13], v8, v4
	s_or_b64 s[16:17], s[12:13], s[16:17]
	s_andn2_b64 exec, exec, s[16:17]
	s_cbranch_execnz .LBB138_36
; %bb.37:                               ;   in Loop: Header=BB138_2 Depth=1
	s_or_b64 exec, exec, s[16:17]
.LBB138_38:                             ;   in Loop: Header=BB138_2 Depth=1
	s_or_b64 exec, exec, s[14:15]
	v_sub_u32_e32 v12, v56, v8
	v_lshl_add_u32 v10, v8, 3, v52
	v_lshlrev_b32_e32 v14, 3, v12
	ds_read_b64 v[4:5], v10
	ds_read_b64 v[6:7], v14
	v_add_u32_e32 v13, v8, v48
	v_cmp_le_i32_e64 s[14:15], v50, v13
	v_cmp_gt_i32_e64 s[12:13], v51, v12
                                        ; implicit-def: $vgpr8_vgpr9
	s_waitcnt lgkmcnt(0)
	v_cmp_lt_i64_e64 s[16:17], v[6:7], v[4:5]
	s_or_b64 s[14:15], s[14:15], s[16:17]
	s_and_b64 s[12:13], s[12:13], s[14:15]
	s_xor_b64 s[14:15], s[12:13], -1
	s_and_saveexec_b64 s[16:17], s[14:15]
	s_xor_b64 s[14:15], exec, s[16:17]
	s_cbranch_execz .LBB138_40
; %bb.39:                               ;   in Loop: Header=BB138_2 Depth=1
	ds_read_b64 v[8:9], v10 offset:8
                                        ; implicit-def: $vgpr14
.LBB138_40:                             ;   in Loop: Header=BB138_2 Depth=1
	s_or_saveexec_b64 s[14:15], s[14:15]
	v_mov_b64_e32 v[10:11], v[6:7]
	s_xor_b64 exec, exec, s[14:15]
	s_cbranch_execz .LBB138_42
; %bb.41:                               ;   in Loop: Header=BB138_2 Depth=1
	ds_read_b64 v[10:11], v14 offset:8
	s_waitcnt lgkmcnt(1)
	v_mov_b64_e32 v[8:9], v[4:5]
.LBB138_42:                             ;   in Loop: Header=BB138_2 Depth=1
	s_or_b64 exec, exec, s[14:15]
	v_add_u32_e32 v15, 1, v13
	v_add_u32_e32 v14, 1, v12
	v_cndmask_b32_e64 v17, v15, v13, s[12:13]
	v_cndmask_b32_e64 v16, v12, v14, s[12:13]
	v_cmp_ge_i32_e64 s[16:17], v17, v50
	s_waitcnt lgkmcnt(0)
	v_cmp_lt_i64_e64 s[18:19], v[10:11], v[8:9]
	v_cmp_lt_i32_e64 s[14:15], v16, v51
	s_or_b64 s[16:17], s[16:17], s[18:19]
	s_and_b64 s[14:15], s[14:15], s[16:17]
	s_xor_b64 s[16:17], s[14:15], -1
                                        ; implicit-def: $vgpr12_vgpr13
	s_and_saveexec_b64 s[18:19], s[16:17]
	s_xor_b64 s[16:17], exec, s[18:19]
	s_cbranch_execz .LBB138_44
; %bb.43:                               ;   in Loop: Header=BB138_2 Depth=1
	v_lshlrev_b32_e32 v12, 3, v17
	ds_read_b64 v[12:13], v12 offset:8
.LBB138_44:                             ;   in Loop: Header=BB138_2 Depth=1
	s_or_saveexec_b64 s[16:17], s[16:17]
	v_mov_b64_e32 v[14:15], v[10:11]
	s_xor_b64 exec, exec, s[16:17]
	s_cbranch_execz .LBB138_46
; %bb.45:                               ;   in Loop: Header=BB138_2 Depth=1
	s_waitcnt lgkmcnt(0)
	v_lshlrev_b32_e32 v12, 3, v16
	ds_read_b64 v[14:15], v12 offset:8
	v_mov_b64_e32 v[12:13], v[8:9]
.LBB138_46:                             ;   in Loop: Header=BB138_2 Depth=1
	s_or_b64 exec, exec, s[16:17]
	v_add_u32_e32 v19, 1, v17
	v_add_u32_e32 v18, 1, v16
	v_cndmask_b32_e64 v21, v19, v17, s[14:15]
	v_cndmask_b32_e64 v20, v16, v18, s[14:15]
	v_cmp_ge_i32_e64 s[18:19], v21, v50
	s_waitcnt lgkmcnt(0)
	v_cmp_lt_i64_e64 s[20:21], v[14:15], v[12:13]
	v_cmp_lt_i32_e64 s[16:17], v20, v51
	s_or_b64 s[18:19], s[18:19], s[20:21]
	s_and_b64 s[16:17], s[16:17], s[18:19]
	s_xor_b64 s[18:19], s[16:17], -1
                                        ; implicit-def: $vgpr16_vgpr17
	s_and_saveexec_b64 s[20:21], s[18:19]
	s_xor_b64 s[18:19], exec, s[20:21]
	s_cbranch_execz .LBB138_48
; %bb.47:                               ;   in Loop: Header=BB138_2 Depth=1
	v_lshlrev_b32_e32 v16, 3, v21
	ds_read_b64 v[16:17], v16 offset:8
.LBB138_48:                             ;   in Loop: Header=BB138_2 Depth=1
	s_or_saveexec_b64 s[18:19], s[18:19]
	v_mov_b64_e32 v[18:19], v[14:15]
	s_xor_b64 exec, exec, s[18:19]
	s_cbranch_execz .LBB138_50
; %bb.49:                               ;   in Loop: Header=BB138_2 Depth=1
	s_waitcnt lgkmcnt(0)
	v_lshlrev_b32_e32 v16, 3, v20
	ds_read_b64 v[18:19], v16 offset:8
	v_mov_b64_e32 v[16:17], v[12:13]
.LBB138_50:                             ;   in Loop: Header=BB138_2 Depth=1
	s_or_b64 exec, exec, s[18:19]
	v_add_u32_e32 v23, 1, v21
	v_add_u32_e32 v22, 1, v20
	v_cndmask_b32_e64 v25, v23, v21, s[16:17]
	v_cndmask_b32_e64 v24, v20, v22, s[16:17]
	v_cmp_ge_i32_e64 s[20:21], v25, v50
	s_waitcnt lgkmcnt(0)
	v_cmp_lt_i64_e64 s[22:23], v[18:19], v[16:17]
	v_cmp_lt_i32_e64 s[18:19], v24, v51
	s_or_b64 s[20:21], s[20:21], s[22:23]
	s_and_b64 s[18:19], s[18:19], s[20:21]
	s_xor_b64 s[20:21], s[18:19], -1
                                        ; implicit-def: $vgpr20_vgpr21
	s_and_saveexec_b64 s[22:23], s[20:21]
	s_xor_b64 s[20:21], exec, s[22:23]
	s_cbranch_execz .LBB138_52
; %bb.51:                               ;   in Loop: Header=BB138_2 Depth=1
	v_lshlrev_b32_e32 v20, 3, v25
	ds_read_b64 v[20:21], v20 offset:8
.LBB138_52:                             ;   in Loop: Header=BB138_2 Depth=1
	s_or_saveexec_b64 s[20:21], s[20:21]
	v_mov_b64_e32 v[22:23], v[18:19]
	s_xor_b64 exec, exec, s[20:21]
	s_cbranch_execz .LBB138_54
; %bb.53:                               ;   in Loop: Header=BB138_2 Depth=1
	s_waitcnt lgkmcnt(0)
	v_lshlrev_b32_e32 v20, 3, v24
	ds_read_b64 v[22:23], v20 offset:8
	v_mov_b64_e32 v[20:21], v[16:17]
.LBB138_54:                             ;   in Loop: Header=BB138_2 Depth=1
	s_or_b64 exec, exec, s[20:21]
	v_add_u32_e32 v27, 1, v25
	v_add_u32_e32 v26, 1, v24
	v_cndmask_b32_e64 v29, v27, v25, s[18:19]
	v_cndmask_b32_e64 v28, v24, v26, s[18:19]
	v_cmp_ge_i32_e64 s[22:23], v29, v50
	s_waitcnt lgkmcnt(0)
	v_cmp_lt_i64_e64 s[24:25], v[22:23], v[20:21]
	v_cmp_lt_i32_e64 s[20:21], v28, v51
	s_or_b64 s[22:23], s[22:23], s[24:25]
	s_and_b64 s[20:21], s[20:21], s[22:23]
	s_xor_b64 s[22:23], s[20:21], -1
                                        ; implicit-def: $vgpr24_vgpr25
	s_and_saveexec_b64 s[24:25], s[22:23]
	s_xor_b64 s[22:23], exec, s[24:25]
	s_cbranch_execz .LBB138_56
; %bb.55:                               ;   in Loop: Header=BB138_2 Depth=1
	v_lshlrev_b32_e32 v24, 3, v29
	ds_read_b64 v[24:25], v24 offset:8
.LBB138_56:                             ;   in Loop: Header=BB138_2 Depth=1
	s_or_saveexec_b64 s[22:23], s[22:23]
	v_mov_b64_e32 v[26:27], v[22:23]
	s_xor_b64 exec, exec, s[22:23]
	s_cbranch_execz .LBB138_58
; %bb.57:                               ;   in Loop: Header=BB138_2 Depth=1
	s_waitcnt lgkmcnt(0)
	v_lshlrev_b32_e32 v24, 3, v28
	ds_read_b64 v[26:27], v24 offset:8
	v_mov_b64_e32 v[24:25], v[20:21]
.LBB138_58:                             ;   in Loop: Header=BB138_2 Depth=1
	s_or_b64 exec, exec, s[22:23]
	v_add_u32_e32 v31, 1, v29
	v_add_u32_e32 v30, 1, v28
	v_cndmask_b32_e64 v33, v31, v29, s[20:21]
	v_cndmask_b32_e64 v32, v28, v30, s[20:21]
	v_cmp_ge_i32_e64 s[24:25], v33, v50
	s_waitcnt lgkmcnt(0)
	v_cmp_lt_i64_e64 s[26:27], v[26:27], v[24:25]
	v_cmp_lt_i32_e64 s[22:23], v32, v51
	s_or_b64 s[24:25], s[24:25], s[26:27]
	s_and_b64 s[22:23], s[22:23], s[24:25]
	s_xor_b64 s[24:25], s[22:23], -1
                                        ; implicit-def: $vgpr28_vgpr29
	s_and_saveexec_b64 s[26:27], s[24:25]
	s_xor_b64 s[24:25], exec, s[26:27]
	s_cbranch_execz .LBB138_60
; %bb.59:                               ;   in Loop: Header=BB138_2 Depth=1
	v_lshlrev_b32_e32 v28, 3, v33
	ds_read_b64 v[28:29], v28 offset:8
.LBB138_60:                             ;   in Loop: Header=BB138_2 Depth=1
	s_or_saveexec_b64 s[24:25], s[24:25]
	v_mov_b64_e32 v[30:31], v[26:27]
	s_xor_b64 exec, exec, s[24:25]
	s_cbranch_execz .LBB138_62
; %bb.61:                               ;   in Loop: Header=BB138_2 Depth=1
	s_waitcnt lgkmcnt(0)
	v_lshlrev_b32_e32 v28, 3, v32
	ds_read_b64 v[30:31], v28 offset:8
	v_mov_b64_e32 v[28:29], v[24:25]
.LBB138_62:                             ;   in Loop: Header=BB138_2 Depth=1
	s_or_b64 exec, exec, s[24:25]
	v_add_u32_e32 v35, 1, v33
	v_add_u32_e32 v34, 1, v32
	v_cndmask_b32_e64 v37, v35, v33, s[22:23]
	v_cndmask_b32_e64 v36, v32, v34, s[22:23]
	v_cmp_ge_i32_e64 s[26:27], v37, v50
	s_waitcnt lgkmcnt(0)
	v_cmp_lt_i64_e64 s[28:29], v[30:31], v[28:29]
	v_cmp_lt_i32_e64 s[24:25], v36, v51
	s_or_b64 s[26:27], s[26:27], s[28:29]
	s_and_b64 s[24:25], s[24:25], s[26:27]
	s_xor_b64 s[26:27], s[24:25], -1
                                        ; implicit-def: $vgpr32_vgpr33
	s_and_saveexec_b64 s[28:29], s[26:27]
	s_xor_b64 s[26:27], exec, s[28:29]
	s_cbranch_execz .LBB138_64
; %bb.63:                               ;   in Loop: Header=BB138_2 Depth=1
	v_lshlrev_b32_e32 v32, 3, v37
	ds_read_b64 v[32:33], v32 offset:8
.LBB138_64:                             ;   in Loop: Header=BB138_2 Depth=1
	s_or_saveexec_b64 s[26:27], s[26:27]
	v_mov_b64_e32 v[34:35], v[30:31]
	s_xor_b64 exec, exec, s[26:27]
	s_cbranch_execz .LBB138_66
; %bb.65:                               ;   in Loop: Header=BB138_2 Depth=1
	s_waitcnt lgkmcnt(0)
	v_lshlrev_b32_e32 v32, 3, v36
	ds_read_b64 v[34:35], v32 offset:8
	v_mov_b64_e32 v[32:33], v[28:29]
.LBB138_66:                             ;   in Loop: Header=BB138_2 Depth=1
	s_or_b64 exec, exec, s[26:27]
	v_cndmask_b32_e64 v29, v29, v31, s[24:25]
	v_add_u32_e32 v31, 1, v37
	v_cndmask_b32_e64 v28, v28, v30, s[24:25]
	v_add_u32_e32 v30, 1, v36
	v_cndmask_b32_e64 v31, v31, v37, s[24:25]
	v_cndmask_b32_e64 v30, v36, v30, s[24:25]
	;; [unrolled: 1-line block ×6, first 2 shown]
	v_cmp_ge_i32_e64 s[14:15], v31, v50
	s_waitcnt lgkmcnt(0)
	v_cmp_lt_i64_e64 s[16:17], v[34:35], v[32:33]
	v_cndmask_b32_e64 v5, v5, v7, s[12:13]
	v_cndmask_b32_e64 v4, v4, v6, s[12:13]
	v_cmp_lt_i32_e64 s[12:13], v30, v51
	s_or_b64 s[14:15], s[14:15], s[16:17]
	s_and_b64 s[12:13], s[12:13], s[14:15]
	v_cndmask_b32_e64 v25, v25, v27, s[22:23]
	v_cndmask_b32_e64 v24, v24, v26, s[22:23]
	;; [unrolled: 1-line block ×8, first 2 shown]
	s_barrier
	ds_write2_b64 v1, v[4:5], v[8:9] offset1:1
	ds_write2_b64 v1, v[12:13], v[16:17] offset0:2 offset1:3
	ds_write2_b64 v1, v[20:21], v[24:25] offset0:4 offset1:5
	;; [unrolled: 1-line block ×3, first 2 shown]
	v_mov_b32_e32 v8, v63
	s_waitcnt lgkmcnt(0)
	s_barrier
	s_and_saveexec_b64 s[14:15], s[2:3]
	s_cbranch_execz .LBB138_70
; %bb.67:                               ;   in Loop: Header=BB138_2 Depth=1
	s_mov_b64 s[16:17], 0
	v_mov_b32_e32 v8, v63
	v_mov_b32_e32 v4, v64
.LBB138_68:                             ;   Parent Loop BB138_2 Depth=1
                                        ; =>  This Inner Loop Header: Depth=2
	v_sub_u32_e32 v5, v4, v8
	v_lshrrev_b32_e32 v6, 31, v5
	v_add_u32_e32 v5, v5, v6
	v_ashrrev_i32_e32 v5, 1, v5
	v_add_u32_e32 v5, v5, v8
	v_lshl_add_u32 v6, v5, 3, v61
	v_xad_u32 v7, v5, -1, v58
	v_lshl_add_u32 v9, v7, 3, v62
	ds_read_b64 v[6:7], v6
	ds_read_b64 v[10:11], v9
	v_add_u32_e32 v9, 1, v5
	s_waitcnt lgkmcnt(0)
	v_cmp_lt_i64_e64 s[12:13], v[10:11], v[6:7]
	s_nop 1
	v_cndmask_b32_e64 v4, v4, v5, s[12:13]
	v_cndmask_b32_e64 v8, v9, v8, s[12:13]
	v_cmp_ge_i32_e64 s[12:13], v8, v4
	s_or_b64 s[16:17], s[12:13], s[16:17]
	s_andn2_b64 exec, exec, s[16:17]
	s_cbranch_execnz .LBB138_68
; %bb.69:                               ;   in Loop: Header=BB138_2 Depth=1
	s_or_b64 exec, exec, s[16:17]
.LBB138_70:                             ;   in Loop: Header=BB138_2 Depth=1
	s_or_b64 exec, exec, s[14:15]
	v_sub_u32_e32 v12, v65, v8
	v_lshl_add_u32 v10, v8, 3, v61
	v_lshlrev_b32_e32 v14, 3, v12
	ds_read_b64 v[4:5], v10
	ds_read_b64 v[6:7], v14
	v_add_u32_e32 v13, v8, v57
	v_cmp_le_i32_e64 s[14:15], v59, v13
	v_cmp_gt_i32_e64 s[12:13], v60, v12
                                        ; implicit-def: $vgpr8_vgpr9
	s_waitcnt lgkmcnt(0)
	v_cmp_lt_i64_e64 s[16:17], v[6:7], v[4:5]
	s_or_b64 s[14:15], s[14:15], s[16:17]
	s_and_b64 s[12:13], s[12:13], s[14:15]
	s_xor_b64 s[14:15], s[12:13], -1
	s_and_saveexec_b64 s[16:17], s[14:15]
	s_xor_b64 s[14:15], exec, s[16:17]
	s_cbranch_execz .LBB138_72
; %bb.71:                               ;   in Loop: Header=BB138_2 Depth=1
	ds_read_b64 v[8:9], v10 offset:8
                                        ; implicit-def: $vgpr14
.LBB138_72:                             ;   in Loop: Header=BB138_2 Depth=1
	s_or_saveexec_b64 s[14:15], s[14:15]
	v_mov_b64_e32 v[10:11], v[6:7]
	s_xor_b64 exec, exec, s[14:15]
	s_cbranch_execz .LBB138_74
; %bb.73:                               ;   in Loop: Header=BB138_2 Depth=1
	ds_read_b64 v[10:11], v14 offset:8
	s_waitcnt lgkmcnt(1)
	v_mov_b64_e32 v[8:9], v[4:5]
.LBB138_74:                             ;   in Loop: Header=BB138_2 Depth=1
	s_or_b64 exec, exec, s[14:15]
	v_add_u32_e32 v15, 1, v13
	v_add_u32_e32 v14, 1, v12
	v_cndmask_b32_e64 v17, v15, v13, s[12:13]
	v_cndmask_b32_e64 v16, v12, v14, s[12:13]
	v_cmp_ge_i32_e64 s[16:17], v17, v59
	s_waitcnt lgkmcnt(0)
	v_cmp_lt_i64_e64 s[18:19], v[10:11], v[8:9]
	v_cmp_lt_i32_e64 s[14:15], v16, v60
	s_or_b64 s[16:17], s[16:17], s[18:19]
	s_and_b64 s[14:15], s[14:15], s[16:17]
	s_xor_b64 s[16:17], s[14:15], -1
                                        ; implicit-def: $vgpr12_vgpr13
	s_and_saveexec_b64 s[18:19], s[16:17]
	s_xor_b64 s[16:17], exec, s[18:19]
	s_cbranch_execz .LBB138_76
; %bb.75:                               ;   in Loop: Header=BB138_2 Depth=1
	v_lshlrev_b32_e32 v12, 3, v17
	ds_read_b64 v[12:13], v12 offset:8
.LBB138_76:                             ;   in Loop: Header=BB138_2 Depth=1
	s_or_saveexec_b64 s[16:17], s[16:17]
	v_mov_b64_e32 v[14:15], v[10:11]
	s_xor_b64 exec, exec, s[16:17]
	s_cbranch_execz .LBB138_78
; %bb.77:                               ;   in Loop: Header=BB138_2 Depth=1
	s_waitcnt lgkmcnt(0)
	v_lshlrev_b32_e32 v12, 3, v16
	ds_read_b64 v[14:15], v12 offset:8
	v_mov_b64_e32 v[12:13], v[8:9]
.LBB138_78:                             ;   in Loop: Header=BB138_2 Depth=1
	s_or_b64 exec, exec, s[16:17]
	v_add_u32_e32 v19, 1, v17
	v_add_u32_e32 v18, 1, v16
	v_cndmask_b32_e64 v21, v19, v17, s[14:15]
	v_cndmask_b32_e64 v20, v16, v18, s[14:15]
	v_cmp_ge_i32_e64 s[18:19], v21, v59
	s_waitcnt lgkmcnt(0)
	v_cmp_lt_i64_e64 s[20:21], v[14:15], v[12:13]
	v_cmp_lt_i32_e64 s[16:17], v20, v60
	s_or_b64 s[18:19], s[18:19], s[20:21]
	s_and_b64 s[16:17], s[16:17], s[18:19]
	s_xor_b64 s[18:19], s[16:17], -1
                                        ; implicit-def: $vgpr16_vgpr17
	s_and_saveexec_b64 s[20:21], s[18:19]
	s_xor_b64 s[18:19], exec, s[20:21]
	s_cbranch_execz .LBB138_80
; %bb.79:                               ;   in Loop: Header=BB138_2 Depth=1
	v_lshlrev_b32_e32 v16, 3, v21
	ds_read_b64 v[16:17], v16 offset:8
.LBB138_80:                             ;   in Loop: Header=BB138_2 Depth=1
	s_or_saveexec_b64 s[18:19], s[18:19]
	v_mov_b64_e32 v[18:19], v[14:15]
	s_xor_b64 exec, exec, s[18:19]
	s_cbranch_execz .LBB138_82
; %bb.81:                               ;   in Loop: Header=BB138_2 Depth=1
	s_waitcnt lgkmcnt(0)
	v_lshlrev_b32_e32 v16, 3, v20
	ds_read_b64 v[18:19], v16 offset:8
	v_mov_b64_e32 v[16:17], v[12:13]
.LBB138_82:                             ;   in Loop: Header=BB138_2 Depth=1
	s_or_b64 exec, exec, s[18:19]
	v_add_u32_e32 v23, 1, v21
	v_add_u32_e32 v22, 1, v20
	v_cndmask_b32_e64 v25, v23, v21, s[16:17]
	v_cndmask_b32_e64 v24, v20, v22, s[16:17]
	v_cmp_ge_i32_e64 s[20:21], v25, v59
	s_waitcnt lgkmcnt(0)
	v_cmp_lt_i64_e64 s[22:23], v[18:19], v[16:17]
	v_cmp_lt_i32_e64 s[18:19], v24, v60
	s_or_b64 s[20:21], s[20:21], s[22:23]
	s_and_b64 s[18:19], s[18:19], s[20:21]
	s_xor_b64 s[20:21], s[18:19], -1
                                        ; implicit-def: $vgpr20_vgpr21
	s_and_saveexec_b64 s[22:23], s[20:21]
	s_xor_b64 s[20:21], exec, s[22:23]
	s_cbranch_execz .LBB138_84
; %bb.83:                               ;   in Loop: Header=BB138_2 Depth=1
	v_lshlrev_b32_e32 v20, 3, v25
	ds_read_b64 v[20:21], v20 offset:8
.LBB138_84:                             ;   in Loop: Header=BB138_2 Depth=1
	s_or_saveexec_b64 s[20:21], s[20:21]
	v_mov_b64_e32 v[22:23], v[18:19]
	s_xor_b64 exec, exec, s[20:21]
	s_cbranch_execz .LBB138_86
; %bb.85:                               ;   in Loop: Header=BB138_2 Depth=1
	s_waitcnt lgkmcnt(0)
	v_lshlrev_b32_e32 v20, 3, v24
	ds_read_b64 v[22:23], v20 offset:8
	v_mov_b64_e32 v[20:21], v[16:17]
.LBB138_86:                             ;   in Loop: Header=BB138_2 Depth=1
	s_or_b64 exec, exec, s[20:21]
	v_add_u32_e32 v27, 1, v25
	v_add_u32_e32 v26, 1, v24
	v_cndmask_b32_e64 v29, v27, v25, s[18:19]
	v_cndmask_b32_e64 v28, v24, v26, s[18:19]
	v_cmp_ge_i32_e64 s[22:23], v29, v59
	s_waitcnt lgkmcnt(0)
	v_cmp_lt_i64_e64 s[24:25], v[22:23], v[20:21]
	v_cmp_lt_i32_e64 s[20:21], v28, v60
	s_or_b64 s[22:23], s[22:23], s[24:25]
	s_and_b64 s[20:21], s[20:21], s[22:23]
	s_xor_b64 s[22:23], s[20:21], -1
                                        ; implicit-def: $vgpr24_vgpr25
	s_and_saveexec_b64 s[24:25], s[22:23]
	s_xor_b64 s[22:23], exec, s[24:25]
	s_cbranch_execz .LBB138_88
; %bb.87:                               ;   in Loop: Header=BB138_2 Depth=1
	v_lshlrev_b32_e32 v24, 3, v29
	ds_read_b64 v[24:25], v24 offset:8
.LBB138_88:                             ;   in Loop: Header=BB138_2 Depth=1
	s_or_saveexec_b64 s[22:23], s[22:23]
	v_mov_b64_e32 v[26:27], v[22:23]
	s_xor_b64 exec, exec, s[22:23]
	s_cbranch_execz .LBB138_90
; %bb.89:                               ;   in Loop: Header=BB138_2 Depth=1
	s_waitcnt lgkmcnt(0)
	v_lshlrev_b32_e32 v24, 3, v28
	ds_read_b64 v[26:27], v24 offset:8
	v_mov_b64_e32 v[24:25], v[20:21]
.LBB138_90:                             ;   in Loop: Header=BB138_2 Depth=1
	s_or_b64 exec, exec, s[22:23]
	v_add_u32_e32 v31, 1, v29
	v_add_u32_e32 v30, 1, v28
	v_cndmask_b32_e64 v33, v31, v29, s[20:21]
	v_cndmask_b32_e64 v32, v28, v30, s[20:21]
	v_cmp_ge_i32_e64 s[24:25], v33, v59
	s_waitcnt lgkmcnt(0)
	v_cmp_lt_i64_e64 s[26:27], v[26:27], v[24:25]
	v_cmp_lt_i32_e64 s[22:23], v32, v60
	s_or_b64 s[24:25], s[24:25], s[26:27]
	s_and_b64 s[22:23], s[22:23], s[24:25]
	s_xor_b64 s[24:25], s[22:23], -1
                                        ; implicit-def: $vgpr28_vgpr29
	s_and_saveexec_b64 s[26:27], s[24:25]
	s_xor_b64 s[24:25], exec, s[26:27]
	s_cbranch_execz .LBB138_92
; %bb.91:                               ;   in Loop: Header=BB138_2 Depth=1
	v_lshlrev_b32_e32 v28, 3, v33
	ds_read_b64 v[28:29], v28 offset:8
.LBB138_92:                             ;   in Loop: Header=BB138_2 Depth=1
	s_or_saveexec_b64 s[24:25], s[24:25]
	v_mov_b64_e32 v[30:31], v[26:27]
	s_xor_b64 exec, exec, s[24:25]
	s_cbranch_execz .LBB138_94
; %bb.93:                               ;   in Loop: Header=BB138_2 Depth=1
	s_waitcnt lgkmcnt(0)
	v_lshlrev_b32_e32 v28, 3, v32
	ds_read_b64 v[30:31], v28 offset:8
	v_mov_b64_e32 v[28:29], v[24:25]
.LBB138_94:                             ;   in Loop: Header=BB138_2 Depth=1
	s_or_b64 exec, exec, s[24:25]
	v_add_u32_e32 v35, 1, v33
	v_add_u32_e32 v34, 1, v32
	v_cndmask_b32_e64 v37, v35, v33, s[22:23]
	v_cndmask_b32_e64 v36, v32, v34, s[22:23]
	v_cmp_ge_i32_e64 s[26:27], v37, v59
	s_waitcnt lgkmcnt(0)
	v_cmp_lt_i64_e64 s[28:29], v[30:31], v[28:29]
	v_cmp_lt_i32_e64 s[24:25], v36, v60
	s_or_b64 s[26:27], s[26:27], s[28:29]
	s_and_b64 s[24:25], s[24:25], s[26:27]
	s_xor_b64 s[26:27], s[24:25], -1
                                        ; implicit-def: $vgpr32_vgpr33
	s_and_saveexec_b64 s[28:29], s[26:27]
	s_xor_b64 s[26:27], exec, s[28:29]
	s_cbranch_execz .LBB138_96
; %bb.95:                               ;   in Loop: Header=BB138_2 Depth=1
	v_lshlrev_b32_e32 v32, 3, v37
	ds_read_b64 v[32:33], v32 offset:8
.LBB138_96:                             ;   in Loop: Header=BB138_2 Depth=1
	s_or_saveexec_b64 s[26:27], s[26:27]
	v_mov_b64_e32 v[34:35], v[30:31]
	s_xor_b64 exec, exec, s[26:27]
	s_cbranch_execz .LBB138_98
; %bb.97:                               ;   in Loop: Header=BB138_2 Depth=1
	s_waitcnt lgkmcnt(0)
	v_lshlrev_b32_e32 v32, 3, v36
	ds_read_b64 v[34:35], v32 offset:8
	v_mov_b64_e32 v[32:33], v[28:29]
.LBB138_98:                             ;   in Loop: Header=BB138_2 Depth=1
	s_or_b64 exec, exec, s[26:27]
	v_cndmask_b32_e64 v29, v29, v31, s[24:25]
	v_add_u32_e32 v31, 1, v37
	v_cndmask_b32_e64 v28, v28, v30, s[24:25]
	v_add_u32_e32 v30, 1, v36
	v_cndmask_b32_e64 v31, v31, v37, s[24:25]
	v_cndmask_b32_e64 v30, v36, v30, s[24:25]
	;; [unrolled: 1-line block ×6, first 2 shown]
	v_cmp_ge_i32_e64 s[14:15], v31, v59
	s_waitcnt lgkmcnt(0)
	v_cmp_lt_i64_e64 s[16:17], v[34:35], v[32:33]
	v_cndmask_b32_e64 v5, v5, v7, s[12:13]
	v_cndmask_b32_e64 v4, v4, v6, s[12:13]
	v_cmp_lt_i32_e64 s[12:13], v30, v60
	s_or_b64 s[14:15], s[14:15], s[16:17]
	s_and_b64 s[12:13], s[12:13], s[14:15]
	v_cndmask_b32_e64 v25, v25, v27, s[22:23]
	v_cndmask_b32_e64 v24, v24, v26, s[22:23]
	;; [unrolled: 1-line block ×8, first 2 shown]
	s_barrier
	ds_write2_b64 v1, v[4:5], v[8:9] offset1:1
	ds_write2_b64 v1, v[12:13], v[16:17] offset0:2 offset1:3
	ds_write2_b64 v1, v[20:21], v[24:25] offset0:4 offset1:5
	;; [unrolled: 1-line block ×3, first 2 shown]
	v_mov_b32_e32 v8, v72
	s_waitcnt lgkmcnt(0)
	s_barrier
	s_and_saveexec_b64 s[14:15], s[4:5]
	s_cbranch_execz .LBB138_102
; %bb.99:                               ;   in Loop: Header=BB138_2 Depth=1
	s_mov_b64 s[16:17], 0
	v_mov_b32_e32 v8, v72
	v_mov_b32_e32 v4, v73
.LBB138_100:                            ;   Parent Loop BB138_2 Depth=1
                                        ; =>  This Inner Loop Header: Depth=2
	v_sub_u32_e32 v5, v4, v8
	v_lshrrev_b32_e32 v6, 31, v5
	v_add_u32_e32 v5, v5, v6
	v_ashrrev_i32_e32 v5, 1, v5
	v_add_u32_e32 v5, v5, v8
	v_lshl_add_u32 v6, v5, 3, v70
	v_xad_u32 v7, v5, -1, v67
	v_lshl_add_u32 v9, v7, 3, v71
	ds_read_b64 v[6:7], v6
	ds_read_b64 v[10:11], v9
	v_add_u32_e32 v9, 1, v5
	s_waitcnt lgkmcnt(0)
	v_cmp_lt_i64_e64 s[12:13], v[10:11], v[6:7]
	s_nop 1
	v_cndmask_b32_e64 v4, v4, v5, s[12:13]
	v_cndmask_b32_e64 v8, v9, v8, s[12:13]
	v_cmp_ge_i32_e64 s[12:13], v8, v4
	s_or_b64 s[16:17], s[12:13], s[16:17]
	s_andn2_b64 exec, exec, s[16:17]
	s_cbranch_execnz .LBB138_100
; %bb.101:                              ;   in Loop: Header=BB138_2 Depth=1
	s_or_b64 exec, exec, s[16:17]
.LBB138_102:                            ;   in Loop: Header=BB138_2 Depth=1
	s_or_b64 exec, exec, s[14:15]
	v_sub_u32_e32 v12, v74, v8
	v_lshl_add_u32 v10, v8, 3, v70
	v_lshlrev_b32_e32 v14, 3, v12
	ds_read_b64 v[4:5], v10
	ds_read_b64 v[6:7], v14
	v_add_u32_e32 v13, v8, v66
	v_cmp_le_i32_e64 s[14:15], v68, v13
	v_cmp_gt_i32_e64 s[12:13], v69, v12
                                        ; implicit-def: $vgpr8_vgpr9
	s_waitcnt lgkmcnt(0)
	v_cmp_lt_i64_e64 s[16:17], v[6:7], v[4:5]
	s_or_b64 s[14:15], s[14:15], s[16:17]
	s_and_b64 s[12:13], s[12:13], s[14:15]
	s_xor_b64 s[14:15], s[12:13], -1
	s_and_saveexec_b64 s[16:17], s[14:15]
	s_xor_b64 s[14:15], exec, s[16:17]
	s_cbranch_execz .LBB138_104
; %bb.103:                              ;   in Loop: Header=BB138_2 Depth=1
	ds_read_b64 v[8:9], v10 offset:8
                                        ; implicit-def: $vgpr14
.LBB138_104:                            ;   in Loop: Header=BB138_2 Depth=1
	s_or_saveexec_b64 s[14:15], s[14:15]
	v_mov_b64_e32 v[10:11], v[6:7]
	s_xor_b64 exec, exec, s[14:15]
	s_cbranch_execz .LBB138_106
; %bb.105:                              ;   in Loop: Header=BB138_2 Depth=1
	ds_read_b64 v[10:11], v14 offset:8
	s_waitcnt lgkmcnt(1)
	v_mov_b64_e32 v[8:9], v[4:5]
.LBB138_106:                            ;   in Loop: Header=BB138_2 Depth=1
	s_or_b64 exec, exec, s[14:15]
	v_add_u32_e32 v15, 1, v13
	v_add_u32_e32 v14, 1, v12
	v_cndmask_b32_e64 v17, v15, v13, s[12:13]
	v_cndmask_b32_e64 v16, v12, v14, s[12:13]
	v_cmp_ge_i32_e64 s[16:17], v17, v68
	s_waitcnt lgkmcnt(0)
	v_cmp_lt_i64_e64 s[18:19], v[10:11], v[8:9]
	v_cmp_lt_i32_e64 s[14:15], v16, v69
	s_or_b64 s[16:17], s[16:17], s[18:19]
	s_and_b64 s[14:15], s[14:15], s[16:17]
	s_xor_b64 s[16:17], s[14:15], -1
                                        ; implicit-def: $vgpr12_vgpr13
	s_and_saveexec_b64 s[18:19], s[16:17]
	s_xor_b64 s[16:17], exec, s[18:19]
	s_cbranch_execz .LBB138_108
; %bb.107:                              ;   in Loop: Header=BB138_2 Depth=1
	v_lshlrev_b32_e32 v12, 3, v17
	ds_read_b64 v[12:13], v12 offset:8
.LBB138_108:                            ;   in Loop: Header=BB138_2 Depth=1
	s_or_saveexec_b64 s[16:17], s[16:17]
	v_mov_b64_e32 v[14:15], v[10:11]
	s_xor_b64 exec, exec, s[16:17]
	s_cbranch_execz .LBB138_110
; %bb.109:                              ;   in Loop: Header=BB138_2 Depth=1
	s_waitcnt lgkmcnt(0)
	v_lshlrev_b32_e32 v12, 3, v16
	ds_read_b64 v[14:15], v12 offset:8
	v_mov_b64_e32 v[12:13], v[8:9]
.LBB138_110:                            ;   in Loop: Header=BB138_2 Depth=1
	s_or_b64 exec, exec, s[16:17]
	v_add_u32_e32 v19, 1, v17
	v_add_u32_e32 v18, 1, v16
	v_cndmask_b32_e64 v21, v19, v17, s[14:15]
	v_cndmask_b32_e64 v20, v16, v18, s[14:15]
	v_cmp_ge_i32_e64 s[18:19], v21, v68
	s_waitcnt lgkmcnt(0)
	v_cmp_lt_i64_e64 s[20:21], v[14:15], v[12:13]
	v_cmp_lt_i32_e64 s[16:17], v20, v69
	s_or_b64 s[18:19], s[18:19], s[20:21]
	s_and_b64 s[16:17], s[16:17], s[18:19]
	s_xor_b64 s[18:19], s[16:17], -1
                                        ; implicit-def: $vgpr16_vgpr17
	s_and_saveexec_b64 s[20:21], s[18:19]
	s_xor_b64 s[18:19], exec, s[20:21]
	s_cbranch_execz .LBB138_112
; %bb.111:                              ;   in Loop: Header=BB138_2 Depth=1
	v_lshlrev_b32_e32 v16, 3, v21
	ds_read_b64 v[16:17], v16 offset:8
.LBB138_112:                            ;   in Loop: Header=BB138_2 Depth=1
	s_or_saveexec_b64 s[18:19], s[18:19]
	v_mov_b64_e32 v[18:19], v[14:15]
	s_xor_b64 exec, exec, s[18:19]
	s_cbranch_execz .LBB138_114
; %bb.113:                              ;   in Loop: Header=BB138_2 Depth=1
	s_waitcnt lgkmcnt(0)
	v_lshlrev_b32_e32 v16, 3, v20
	ds_read_b64 v[18:19], v16 offset:8
	v_mov_b64_e32 v[16:17], v[12:13]
.LBB138_114:                            ;   in Loop: Header=BB138_2 Depth=1
	s_or_b64 exec, exec, s[18:19]
	v_add_u32_e32 v23, 1, v21
	v_add_u32_e32 v22, 1, v20
	v_cndmask_b32_e64 v25, v23, v21, s[16:17]
	v_cndmask_b32_e64 v24, v20, v22, s[16:17]
	v_cmp_ge_i32_e64 s[20:21], v25, v68
	s_waitcnt lgkmcnt(0)
	v_cmp_lt_i64_e64 s[22:23], v[18:19], v[16:17]
	v_cmp_lt_i32_e64 s[18:19], v24, v69
	s_or_b64 s[20:21], s[20:21], s[22:23]
	s_and_b64 s[18:19], s[18:19], s[20:21]
	s_xor_b64 s[20:21], s[18:19], -1
                                        ; implicit-def: $vgpr20_vgpr21
	s_and_saveexec_b64 s[22:23], s[20:21]
	s_xor_b64 s[20:21], exec, s[22:23]
	s_cbranch_execz .LBB138_116
; %bb.115:                              ;   in Loop: Header=BB138_2 Depth=1
	v_lshlrev_b32_e32 v20, 3, v25
	ds_read_b64 v[20:21], v20 offset:8
.LBB138_116:                            ;   in Loop: Header=BB138_2 Depth=1
	s_or_saveexec_b64 s[20:21], s[20:21]
	v_mov_b64_e32 v[22:23], v[18:19]
	s_xor_b64 exec, exec, s[20:21]
	s_cbranch_execz .LBB138_118
; %bb.117:                              ;   in Loop: Header=BB138_2 Depth=1
	s_waitcnt lgkmcnt(0)
	v_lshlrev_b32_e32 v20, 3, v24
	ds_read_b64 v[22:23], v20 offset:8
	v_mov_b64_e32 v[20:21], v[16:17]
.LBB138_118:                            ;   in Loop: Header=BB138_2 Depth=1
	s_or_b64 exec, exec, s[20:21]
	v_add_u32_e32 v27, 1, v25
	v_add_u32_e32 v26, 1, v24
	v_cndmask_b32_e64 v29, v27, v25, s[18:19]
	v_cndmask_b32_e64 v28, v24, v26, s[18:19]
	v_cmp_ge_i32_e64 s[22:23], v29, v68
	s_waitcnt lgkmcnt(0)
	v_cmp_lt_i64_e64 s[24:25], v[22:23], v[20:21]
	v_cmp_lt_i32_e64 s[20:21], v28, v69
	s_or_b64 s[22:23], s[22:23], s[24:25]
	s_and_b64 s[20:21], s[20:21], s[22:23]
	s_xor_b64 s[22:23], s[20:21], -1
                                        ; implicit-def: $vgpr24_vgpr25
	s_and_saveexec_b64 s[24:25], s[22:23]
	s_xor_b64 s[22:23], exec, s[24:25]
	s_cbranch_execz .LBB138_120
; %bb.119:                              ;   in Loop: Header=BB138_2 Depth=1
	v_lshlrev_b32_e32 v24, 3, v29
	ds_read_b64 v[24:25], v24 offset:8
.LBB138_120:                            ;   in Loop: Header=BB138_2 Depth=1
	s_or_saveexec_b64 s[22:23], s[22:23]
	v_mov_b64_e32 v[26:27], v[22:23]
	s_xor_b64 exec, exec, s[22:23]
	s_cbranch_execz .LBB138_122
; %bb.121:                              ;   in Loop: Header=BB138_2 Depth=1
	s_waitcnt lgkmcnt(0)
	v_lshlrev_b32_e32 v24, 3, v28
	ds_read_b64 v[26:27], v24 offset:8
	v_mov_b64_e32 v[24:25], v[20:21]
.LBB138_122:                            ;   in Loop: Header=BB138_2 Depth=1
	s_or_b64 exec, exec, s[22:23]
	v_add_u32_e32 v31, 1, v29
	v_add_u32_e32 v30, 1, v28
	v_cndmask_b32_e64 v33, v31, v29, s[20:21]
	v_cndmask_b32_e64 v32, v28, v30, s[20:21]
	v_cmp_ge_i32_e64 s[24:25], v33, v68
	s_waitcnt lgkmcnt(0)
	v_cmp_lt_i64_e64 s[26:27], v[26:27], v[24:25]
	v_cmp_lt_i32_e64 s[22:23], v32, v69
	s_or_b64 s[24:25], s[24:25], s[26:27]
	s_and_b64 s[22:23], s[22:23], s[24:25]
	s_xor_b64 s[24:25], s[22:23], -1
                                        ; implicit-def: $vgpr28_vgpr29
	s_and_saveexec_b64 s[26:27], s[24:25]
	s_xor_b64 s[24:25], exec, s[26:27]
	s_cbranch_execz .LBB138_124
; %bb.123:                              ;   in Loop: Header=BB138_2 Depth=1
	v_lshlrev_b32_e32 v28, 3, v33
	ds_read_b64 v[28:29], v28 offset:8
.LBB138_124:                            ;   in Loop: Header=BB138_2 Depth=1
	s_or_saveexec_b64 s[24:25], s[24:25]
	v_mov_b64_e32 v[30:31], v[26:27]
	s_xor_b64 exec, exec, s[24:25]
	s_cbranch_execz .LBB138_126
; %bb.125:                              ;   in Loop: Header=BB138_2 Depth=1
	s_waitcnt lgkmcnt(0)
	v_lshlrev_b32_e32 v28, 3, v32
	ds_read_b64 v[30:31], v28 offset:8
	v_mov_b64_e32 v[28:29], v[24:25]
.LBB138_126:                            ;   in Loop: Header=BB138_2 Depth=1
	s_or_b64 exec, exec, s[24:25]
	v_add_u32_e32 v35, 1, v33
	v_add_u32_e32 v34, 1, v32
	v_cndmask_b32_e64 v37, v35, v33, s[22:23]
	v_cndmask_b32_e64 v36, v32, v34, s[22:23]
	v_cmp_ge_i32_e64 s[26:27], v37, v68
	s_waitcnt lgkmcnt(0)
	v_cmp_lt_i64_e64 s[28:29], v[30:31], v[28:29]
	v_cmp_lt_i32_e64 s[24:25], v36, v69
	s_or_b64 s[26:27], s[26:27], s[28:29]
	s_and_b64 s[24:25], s[24:25], s[26:27]
	s_xor_b64 s[26:27], s[24:25], -1
                                        ; implicit-def: $vgpr32_vgpr33
	s_and_saveexec_b64 s[28:29], s[26:27]
	s_xor_b64 s[26:27], exec, s[28:29]
	s_cbranch_execz .LBB138_128
; %bb.127:                              ;   in Loop: Header=BB138_2 Depth=1
	v_lshlrev_b32_e32 v32, 3, v37
	ds_read_b64 v[32:33], v32 offset:8
.LBB138_128:                            ;   in Loop: Header=BB138_2 Depth=1
	s_or_saveexec_b64 s[26:27], s[26:27]
	v_mov_b64_e32 v[34:35], v[30:31]
	s_xor_b64 exec, exec, s[26:27]
	s_cbranch_execz .LBB138_130
; %bb.129:                              ;   in Loop: Header=BB138_2 Depth=1
	s_waitcnt lgkmcnt(0)
	v_lshlrev_b32_e32 v32, 3, v36
	ds_read_b64 v[34:35], v32 offset:8
	v_mov_b64_e32 v[32:33], v[28:29]
.LBB138_130:                            ;   in Loop: Header=BB138_2 Depth=1
	s_or_b64 exec, exec, s[26:27]
	v_cndmask_b32_e64 v29, v29, v31, s[24:25]
	v_add_u32_e32 v31, 1, v37
	v_cndmask_b32_e64 v28, v28, v30, s[24:25]
	v_add_u32_e32 v30, 1, v36
	v_cndmask_b32_e64 v31, v31, v37, s[24:25]
	v_cndmask_b32_e64 v30, v36, v30, s[24:25]
	;; [unrolled: 1-line block ×6, first 2 shown]
	v_cmp_ge_i32_e64 s[14:15], v31, v68
	s_waitcnt lgkmcnt(0)
	v_cmp_lt_i64_e64 s[16:17], v[34:35], v[32:33]
	v_cndmask_b32_e64 v5, v5, v7, s[12:13]
	v_cndmask_b32_e64 v4, v4, v6, s[12:13]
	v_cmp_lt_i32_e64 s[12:13], v30, v69
	s_or_b64 s[14:15], s[14:15], s[16:17]
	s_and_b64 s[12:13], s[12:13], s[14:15]
	v_cndmask_b32_e64 v25, v25, v27, s[22:23]
	v_cndmask_b32_e64 v24, v24, v26, s[22:23]
	;; [unrolled: 1-line block ×8, first 2 shown]
	s_barrier
	ds_write2_b64 v1, v[4:5], v[8:9] offset1:1
	ds_write2_b64 v1, v[12:13], v[16:17] offset0:2 offset1:3
	ds_write2_b64 v1, v[20:21], v[24:25] offset0:4 offset1:5
	;; [unrolled: 1-line block ×3, first 2 shown]
	v_mov_b32_e32 v8, v81
	s_waitcnt lgkmcnt(0)
	s_barrier
	s_and_saveexec_b64 s[14:15], s[6:7]
	s_cbranch_execz .LBB138_134
; %bb.131:                              ;   in Loop: Header=BB138_2 Depth=1
	s_mov_b64 s[16:17], 0
	v_mov_b32_e32 v8, v81
	v_mov_b32_e32 v4, v82
.LBB138_132:                            ;   Parent Loop BB138_2 Depth=1
                                        ; =>  This Inner Loop Header: Depth=2
	v_sub_u32_e32 v5, v4, v8
	v_lshrrev_b32_e32 v6, 31, v5
	v_add_u32_e32 v5, v5, v6
	v_ashrrev_i32_e32 v5, 1, v5
	v_add_u32_e32 v5, v5, v8
	v_lshl_add_u32 v6, v5, 3, v79
	v_xad_u32 v7, v5, -1, v76
	v_lshl_add_u32 v9, v7, 3, v80
	ds_read_b64 v[6:7], v6
	ds_read_b64 v[10:11], v9
	v_add_u32_e32 v9, 1, v5
	s_waitcnt lgkmcnt(0)
	v_cmp_lt_i64_e64 s[12:13], v[10:11], v[6:7]
	s_nop 1
	v_cndmask_b32_e64 v4, v4, v5, s[12:13]
	v_cndmask_b32_e64 v8, v9, v8, s[12:13]
	v_cmp_ge_i32_e64 s[12:13], v8, v4
	s_or_b64 s[16:17], s[12:13], s[16:17]
	s_andn2_b64 exec, exec, s[16:17]
	s_cbranch_execnz .LBB138_132
; %bb.133:                              ;   in Loop: Header=BB138_2 Depth=1
	s_or_b64 exec, exec, s[16:17]
.LBB138_134:                            ;   in Loop: Header=BB138_2 Depth=1
	s_or_b64 exec, exec, s[14:15]
	v_sub_u32_e32 v12, v83, v8
	v_lshl_add_u32 v10, v8, 3, v79
	v_lshlrev_b32_e32 v14, 3, v12
	ds_read_b64 v[4:5], v10
	ds_read_b64 v[6:7], v14
	v_add_u32_e32 v13, v8, v75
	v_cmp_le_i32_e64 s[14:15], v77, v13
	v_cmp_gt_i32_e64 s[12:13], v78, v12
                                        ; implicit-def: $vgpr8_vgpr9
	s_waitcnt lgkmcnt(0)
	v_cmp_lt_i64_e64 s[16:17], v[6:7], v[4:5]
	s_or_b64 s[14:15], s[14:15], s[16:17]
	s_and_b64 s[12:13], s[12:13], s[14:15]
	s_xor_b64 s[14:15], s[12:13], -1
	s_and_saveexec_b64 s[16:17], s[14:15]
	s_xor_b64 s[14:15], exec, s[16:17]
	s_cbranch_execz .LBB138_136
; %bb.135:                              ;   in Loop: Header=BB138_2 Depth=1
	ds_read_b64 v[8:9], v10 offset:8
                                        ; implicit-def: $vgpr14
.LBB138_136:                            ;   in Loop: Header=BB138_2 Depth=1
	s_or_saveexec_b64 s[14:15], s[14:15]
	v_mov_b64_e32 v[10:11], v[6:7]
	s_xor_b64 exec, exec, s[14:15]
	s_cbranch_execz .LBB138_138
; %bb.137:                              ;   in Loop: Header=BB138_2 Depth=1
	ds_read_b64 v[10:11], v14 offset:8
	s_waitcnt lgkmcnt(1)
	v_mov_b64_e32 v[8:9], v[4:5]
.LBB138_138:                            ;   in Loop: Header=BB138_2 Depth=1
	s_or_b64 exec, exec, s[14:15]
	v_add_u32_e32 v15, 1, v13
	v_add_u32_e32 v14, 1, v12
	v_cndmask_b32_e64 v17, v15, v13, s[12:13]
	v_cndmask_b32_e64 v16, v12, v14, s[12:13]
	v_cmp_ge_i32_e64 s[16:17], v17, v77
	s_waitcnt lgkmcnt(0)
	v_cmp_lt_i64_e64 s[18:19], v[10:11], v[8:9]
	v_cmp_lt_i32_e64 s[14:15], v16, v78
	s_or_b64 s[16:17], s[16:17], s[18:19]
	s_and_b64 s[14:15], s[14:15], s[16:17]
	s_xor_b64 s[16:17], s[14:15], -1
                                        ; implicit-def: $vgpr12_vgpr13
	s_and_saveexec_b64 s[18:19], s[16:17]
	s_xor_b64 s[16:17], exec, s[18:19]
	s_cbranch_execz .LBB138_140
; %bb.139:                              ;   in Loop: Header=BB138_2 Depth=1
	v_lshlrev_b32_e32 v12, 3, v17
	ds_read_b64 v[12:13], v12 offset:8
.LBB138_140:                            ;   in Loop: Header=BB138_2 Depth=1
	s_or_saveexec_b64 s[16:17], s[16:17]
	v_mov_b64_e32 v[14:15], v[10:11]
	s_xor_b64 exec, exec, s[16:17]
	s_cbranch_execz .LBB138_142
; %bb.141:                              ;   in Loop: Header=BB138_2 Depth=1
	s_waitcnt lgkmcnt(0)
	v_lshlrev_b32_e32 v12, 3, v16
	ds_read_b64 v[14:15], v12 offset:8
	v_mov_b64_e32 v[12:13], v[8:9]
.LBB138_142:                            ;   in Loop: Header=BB138_2 Depth=1
	s_or_b64 exec, exec, s[16:17]
	v_add_u32_e32 v19, 1, v17
	v_add_u32_e32 v18, 1, v16
	v_cndmask_b32_e64 v21, v19, v17, s[14:15]
	v_cndmask_b32_e64 v20, v16, v18, s[14:15]
	v_cmp_ge_i32_e64 s[18:19], v21, v77
	s_waitcnt lgkmcnt(0)
	v_cmp_lt_i64_e64 s[20:21], v[14:15], v[12:13]
	v_cmp_lt_i32_e64 s[16:17], v20, v78
	s_or_b64 s[18:19], s[18:19], s[20:21]
	s_and_b64 s[16:17], s[16:17], s[18:19]
	s_xor_b64 s[18:19], s[16:17], -1
                                        ; implicit-def: $vgpr16_vgpr17
	s_and_saveexec_b64 s[20:21], s[18:19]
	s_xor_b64 s[18:19], exec, s[20:21]
	s_cbranch_execz .LBB138_144
; %bb.143:                              ;   in Loop: Header=BB138_2 Depth=1
	v_lshlrev_b32_e32 v16, 3, v21
	ds_read_b64 v[16:17], v16 offset:8
.LBB138_144:                            ;   in Loop: Header=BB138_2 Depth=1
	s_or_saveexec_b64 s[18:19], s[18:19]
	v_mov_b64_e32 v[18:19], v[14:15]
	s_xor_b64 exec, exec, s[18:19]
	s_cbranch_execz .LBB138_146
; %bb.145:                              ;   in Loop: Header=BB138_2 Depth=1
	s_waitcnt lgkmcnt(0)
	v_lshlrev_b32_e32 v16, 3, v20
	ds_read_b64 v[18:19], v16 offset:8
	v_mov_b64_e32 v[16:17], v[12:13]
.LBB138_146:                            ;   in Loop: Header=BB138_2 Depth=1
	s_or_b64 exec, exec, s[18:19]
	v_add_u32_e32 v23, 1, v21
	v_add_u32_e32 v22, 1, v20
	v_cndmask_b32_e64 v25, v23, v21, s[16:17]
	v_cndmask_b32_e64 v24, v20, v22, s[16:17]
	v_cmp_ge_i32_e64 s[20:21], v25, v77
	s_waitcnt lgkmcnt(0)
	v_cmp_lt_i64_e64 s[22:23], v[18:19], v[16:17]
	v_cmp_lt_i32_e64 s[18:19], v24, v78
	s_or_b64 s[20:21], s[20:21], s[22:23]
	s_and_b64 s[18:19], s[18:19], s[20:21]
	s_xor_b64 s[20:21], s[18:19], -1
                                        ; implicit-def: $vgpr20_vgpr21
	s_and_saveexec_b64 s[22:23], s[20:21]
	s_xor_b64 s[20:21], exec, s[22:23]
	s_cbranch_execz .LBB138_148
; %bb.147:                              ;   in Loop: Header=BB138_2 Depth=1
	v_lshlrev_b32_e32 v20, 3, v25
	ds_read_b64 v[20:21], v20 offset:8
.LBB138_148:                            ;   in Loop: Header=BB138_2 Depth=1
	s_or_saveexec_b64 s[20:21], s[20:21]
	v_mov_b64_e32 v[22:23], v[18:19]
	s_xor_b64 exec, exec, s[20:21]
	s_cbranch_execz .LBB138_150
; %bb.149:                              ;   in Loop: Header=BB138_2 Depth=1
	s_waitcnt lgkmcnt(0)
	v_lshlrev_b32_e32 v20, 3, v24
	ds_read_b64 v[22:23], v20 offset:8
	v_mov_b64_e32 v[20:21], v[16:17]
.LBB138_150:                            ;   in Loop: Header=BB138_2 Depth=1
	s_or_b64 exec, exec, s[20:21]
	v_add_u32_e32 v27, 1, v25
	v_add_u32_e32 v26, 1, v24
	v_cndmask_b32_e64 v29, v27, v25, s[18:19]
	v_cndmask_b32_e64 v28, v24, v26, s[18:19]
	v_cmp_ge_i32_e64 s[22:23], v29, v77
	s_waitcnt lgkmcnt(0)
	v_cmp_lt_i64_e64 s[24:25], v[22:23], v[20:21]
	v_cmp_lt_i32_e64 s[20:21], v28, v78
	s_or_b64 s[22:23], s[22:23], s[24:25]
	s_and_b64 s[20:21], s[20:21], s[22:23]
	s_xor_b64 s[22:23], s[20:21], -1
                                        ; implicit-def: $vgpr24_vgpr25
	s_and_saveexec_b64 s[24:25], s[22:23]
	s_xor_b64 s[22:23], exec, s[24:25]
	s_cbranch_execz .LBB138_152
; %bb.151:                              ;   in Loop: Header=BB138_2 Depth=1
	v_lshlrev_b32_e32 v24, 3, v29
	ds_read_b64 v[24:25], v24 offset:8
.LBB138_152:                            ;   in Loop: Header=BB138_2 Depth=1
	s_or_saveexec_b64 s[22:23], s[22:23]
	v_mov_b64_e32 v[26:27], v[22:23]
	s_xor_b64 exec, exec, s[22:23]
	s_cbranch_execz .LBB138_154
; %bb.153:                              ;   in Loop: Header=BB138_2 Depth=1
	s_waitcnt lgkmcnt(0)
	v_lshlrev_b32_e32 v24, 3, v28
	ds_read_b64 v[26:27], v24 offset:8
	v_mov_b64_e32 v[24:25], v[20:21]
.LBB138_154:                            ;   in Loop: Header=BB138_2 Depth=1
	s_or_b64 exec, exec, s[22:23]
	v_add_u32_e32 v31, 1, v29
	v_add_u32_e32 v30, 1, v28
	v_cndmask_b32_e64 v33, v31, v29, s[20:21]
	v_cndmask_b32_e64 v32, v28, v30, s[20:21]
	v_cmp_ge_i32_e64 s[24:25], v33, v77
	s_waitcnt lgkmcnt(0)
	v_cmp_lt_i64_e64 s[26:27], v[26:27], v[24:25]
	v_cmp_lt_i32_e64 s[22:23], v32, v78
	s_or_b64 s[24:25], s[24:25], s[26:27]
	s_and_b64 s[22:23], s[22:23], s[24:25]
	s_xor_b64 s[24:25], s[22:23], -1
                                        ; implicit-def: $vgpr28_vgpr29
	s_and_saveexec_b64 s[26:27], s[24:25]
	s_xor_b64 s[24:25], exec, s[26:27]
	s_cbranch_execz .LBB138_156
; %bb.155:                              ;   in Loop: Header=BB138_2 Depth=1
	v_lshlrev_b32_e32 v28, 3, v33
	ds_read_b64 v[28:29], v28 offset:8
.LBB138_156:                            ;   in Loop: Header=BB138_2 Depth=1
	s_or_saveexec_b64 s[24:25], s[24:25]
	v_mov_b64_e32 v[30:31], v[26:27]
	s_xor_b64 exec, exec, s[24:25]
	s_cbranch_execz .LBB138_158
; %bb.157:                              ;   in Loop: Header=BB138_2 Depth=1
	s_waitcnt lgkmcnt(0)
	v_lshlrev_b32_e32 v28, 3, v32
	ds_read_b64 v[30:31], v28 offset:8
	v_mov_b64_e32 v[28:29], v[24:25]
.LBB138_158:                            ;   in Loop: Header=BB138_2 Depth=1
	s_or_b64 exec, exec, s[24:25]
	v_add_u32_e32 v35, 1, v33
	v_add_u32_e32 v34, 1, v32
	v_cndmask_b32_e64 v37, v35, v33, s[22:23]
	v_cndmask_b32_e64 v36, v32, v34, s[22:23]
	v_cmp_ge_i32_e64 s[26:27], v37, v77
	s_waitcnt lgkmcnt(0)
	v_cmp_lt_i64_e64 s[28:29], v[30:31], v[28:29]
	v_cmp_lt_i32_e64 s[24:25], v36, v78
	s_or_b64 s[26:27], s[26:27], s[28:29]
	s_and_b64 s[24:25], s[24:25], s[26:27]
	s_xor_b64 s[26:27], s[24:25], -1
                                        ; implicit-def: $vgpr32_vgpr33
	s_and_saveexec_b64 s[28:29], s[26:27]
	s_xor_b64 s[26:27], exec, s[28:29]
	s_cbranch_execz .LBB138_160
; %bb.159:                              ;   in Loop: Header=BB138_2 Depth=1
	v_lshlrev_b32_e32 v32, 3, v37
	ds_read_b64 v[32:33], v32 offset:8
.LBB138_160:                            ;   in Loop: Header=BB138_2 Depth=1
	s_or_saveexec_b64 s[26:27], s[26:27]
	v_mov_b64_e32 v[34:35], v[30:31]
	s_xor_b64 exec, exec, s[26:27]
	s_cbranch_execz .LBB138_162
; %bb.161:                              ;   in Loop: Header=BB138_2 Depth=1
	s_waitcnt lgkmcnt(0)
	v_lshlrev_b32_e32 v32, 3, v36
	ds_read_b64 v[34:35], v32 offset:8
	v_mov_b64_e32 v[32:33], v[28:29]
.LBB138_162:                            ;   in Loop: Header=BB138_2 Depth=1
	s_or_b64 exec, exec, s[26:27]
	v_cndmask_b32_e64 v29, v29, v31, s[24:25]
	v_add_u32_e32 v31, 1, v37
	v_cndmask_b32_e64 v28, v28, v30, s[24:25]
	v_add_u32_e32 v30, 1, v36
	v_cndmask_b32_e64 v31, v31, v37, s[24:25]
	v_cndmask_b32_e64 v30, v36, v30, s[24:25]
	;; [unrolled: 1-line block ×6, first 2 shown]
	v_cmp_ge_i32_e64 s[14:15], v31, v77
	s_waitcnt lgkmcnt(0)
	v_cmp_lt_i64_e64 s[16:17], v[34:35], v[32:33]
	v_cndmask_b32_e64 v5, v5, v7, s[12:13]
	v_cndmask_b32_e64 v4, v4, v6, s[12:13]
	v_cmp_lt_i32_e64 s[12:13], v30, v78
	s_or_b64 s[14:15], s[14:15], s[16:17]
	s_and_b64 s[12:13], s[12:13], s[14:15]
	v_cndmask_b32_e64 v25, v25, v27, s[22:23]
	v_cndmask_b32_e64 v24, v24, v26, s[22:23]
	;; [unrolled: 1-line block ×8, first 2 shown]
	s_barrier
	ds_write2_b64 v1, v[4:5], v[8:9] offset1:1
	ds_write2_b64 v1, v[12:13], v[16:17] offset0:2 offset1:3
	ds_write2_b64 v1, v[20:21], v[24:25] offset0:4 offset1:5
	;; [unrolled: 1-line block ×3, first 2 shown]
	v_mov_b32_e32 v8, v91
	s_waitcnt lgkmcnt(0)
	s_barrier
	s_and_saveexec_b64 s[14:15], s[8:9]
	s_cbranch_execz .LBB138_166
; %bb.163:                              ;   in Loop: Header=BB138_2 Depth=1
	s_mov_b64 s[16:17], 0
	v_mov_b32_e32 v8, v91
	v_mov_b32_e32 v4, v92
.LBB138_164:                            ;   Parent Loop BB138_2 Depth=1
                                        ; =>  This Inner Loop Header: Depth=2
	v_sub_u32_e32 v5, v4, v8
	v_lshrrev_b32_e32 v6, 31, v5
	v_add_u32_e32 v5, v5, v6
	v_ashrrev_i32_e32 v5, 1, v5
	v_add_u32_e32 v5, v5, v8
	v_lshl_add_u32 v6, v5, 3, v89
	v_xad_u32 v7, v5, -1, v86
	v_lshl_add_u32 v9, v7, 3, v90
	ds_read_b64 v[6:7], v6
	ds_read_b64 v[10:11], v9
	v_add_u32_e32 v9, 1, v5
	s_waitcnt lgkmcnt(0)
	v_cmp_lt_i64_e64 s[12:13], v[10:11], v[6:7]
	s_nop 1
	v_cndmask_b32_e64 v4, v4, v5, s[12:13]
	v_cndmask_b32_e64 v8, v9, v8, s[12:13]
	v_cmp_ge_i32_e64 s[12:13], v8, v4
	s_or_b64 s[16:17], s[12:13], s[16:17]
	s_andn2_b64 exec, exec, s[16:17]
	s_cbranch_execnz .LBB138_164
; %bb.165:                              ;   in Loop: Header=BB138_2 Depth=1
	s_or_b64 exec, exec, s[16:17]
.LBB138_166:                            ;   in Loop: Header=BB138_2 Depth=1
	s_or_b64 exec, exec, s[14:15]
	v_sub_u32_e32 v12, v93, v8
	v_lshl_add_u32 v10, v8, 3, v89
	v_lshlrev_b32_e32 v14, 3, v12
	ds_read_b64 v[4:5], v10
	ds_read_b64 v[6:7], v14
	v_add_u32_e32 v13, v8, v85
	v_cmp_le_i32_e64 s[14:15], v87, v13
	v_cmp_gt_i32_e64 s[12:13], v88, v12
                                        ; implicit-def: $vgpr8_vgpr9
	s_waitcnt lgkmcnt(0)
	v_cmp_lt_i64_e64 s[16:17], v[6:7], v[4:5]
	s_or_b64 s[14:15], s[14:15], s[16:17]
	s_and_b64 s[12:13], s[12:13], s[14:15]
	s_xor_b64 s[14:15], s[12:13], -1
	s_and_saveexec_b64 s[16:17], s[14:15]
	s_xor_b64 s[14:15], exec, s[16:17]
	s_cbranch_execz .LBB138_168
; %bb.167:                              ;   in Loop: Header=BB138_2 Depth=1
	ds_read_b64 v[8:9], v10 offset:8
                                        ; implicit-def: $vgpr14
.LBB138_168:                            ;   in Loop: Header=BB138_2 Depth=1
	s_or_saveexec_b64 s[14:15], s[14:15]
	v_mov_b64_e32 v[10:11], v[6:7]
	s_xor_b64 exec, exec, s[14:15]
	s_cbranch_execz .LBB138_170
; %bb.169:                              ;   in Loop: Header=BB138_2 Depth=1
	ds_read_b64 v[10:11], v14 offset:8
	s_waitcnt lgkmcnt(1)
	v_mov_b64_e32 v[8:9], v[4:5]
.LBB138_170:                            ;   in Loop: Header=BB138_2 Depth=1
	s_or_b64 exec, exec, s[14:15]
	v_add_u32_e32 v15, 1, v13
	v_add_u32_e32 v14, 1, v12
	v_cndmask_b32_e64 v17, v15, v13, s[12:13]
	v_cndmask_b32_e64 v16, v12, v14, s[12:13]
	v_cmp_ge_i32_e64 s[16:17], v17, v87
	s_waitcnt lgkmcnt(0)
	v_cmp_lt_i64_e64 s[18:19], v[10:11], v[8:9]
	v_cmp_lt_i32_e64 s[14:15], v16, v88
	s_or_b64 s[16:17], s[16:17], s[18:19]
	s_and_b64 s[14:15], s[14:15], s[16:17]
	s_xor_b64 s[16:17], s[14:15], -1
                                        ; implicit-def: $vgpr12_vgpr13
	s_and_saveexec_b64 s[18:19], s[16:17]
	s_xor_b64 s[16:17], exec, s[18:19]
	s_cbranch_execz .LBB138_172
; %bb.171:                              ;   in Loop: Header=BB138_2 Depth=1
	v_lshlrev_b32_e32 v12, 3, v17
	ds_read_b64 v[12:13], v12 offset:8
.LBB138_172:                            ;   in Loop: Header=BB138_2 Depth=1
	s_or_saveexec_b64 s[16:17], s[16:17]
	v_mov_b64_e32 v[14:15], v[10:11]
	s_xor_b64 exec, exec, s[16:17]
	s_cbranch_execz .LBB138_174
; %bb.173:                              ;   in Loop: Header=BB138_2 Depth=1
	s_waitcnt lgkmcnt(0)
	v_lshlrev_b32_e32 v12, 3, v16
	ds_read_b64 v[14:15], v12 offset:8
	v_mov_b64_e32 v[12:13], v[8:9]
.LBB138_174:                            ;   in Loop: Header=BB138_2 Depth=1
	s_or_b64 exec, exec, s[16:17]
	v_add_u32_e32 v19, 1, v17
	v_add_u32_e32 v18, 1, v16
	v_cndmask_b32_e64 v21, v19, v17, s[14:15]
	v_cndmask_b32_e64 v20, v16, v18, s[14:15]
	v_cmp_ge_i32_e64 s[18:19], v21, v87
	s_waitcnt lgkmcnt(0)
	v_cmp_lt_i64_e64 s[20:21], v[14:15], v[12:13]
	v_cmp_lt_i32_e64 s[16:17], v20, v88
	s_or_b64 s[18:19], s[18:19], s[20:21]
	s_and_b64 s[16:17], s[16:17], s[18:19]
	s_xor_b64 s[18:19], s[16:17], -1
                                        ; implicit-def: $vgpr16_vgpr17
	s_and_saveexec_b64 s[20:21], s[18:19]
	s_xor_b64 s[18:19], exec, s[20:21]
	s_cbranch_execz .LBB138_176
; %bb.175:                              ;   in Loop: Header=BB138_2 Depth=1
	v_lshlrev_b32_e32 v16, 3, v21
	ds_read_b64 v[16:17], v16 offset:8
.LBB138_176:                            ;   in Loop: Header=BB138_2 Depth=1
	s_or_saveexec_b64 s[18:19], s[18:19]
	v_mov_b64_e32 v[18:19], v[14:15]
	s_xor_b64 exec, exec, s[18:19]
	s_cbranch_execz .LBB138_178
; %bb.177:                              ;   in Loop: Header=BB138_2 Depth=1
	s_waitcnt lgkmcnt(0)
	v_lshlrev_b32_e32 v16, 3, v20
	ds_read_b64 v[18:19], v16 offset:8
	v_mov_b64_e32 v[16:17], v[12:13]
.LBB138_178:                            ;   in Loop: Header=BB138_2 Depth=1
	s_or_b64 exec, exec, s[18:19]
	v_add_u32_e32 v23, 1, v21
	v_add_u32_e32 v22, 1, v20
	v_cndmask_b32_e64 v25, v23, v21, s[16:17]
	v_cndmask_b32_e64 v24, v20, v22, s[16:17]
	v_cmp_ge_i32_e64 s[20:21], v25, v87
	s_waitcnt lgkmcnt(0)
	v_cmp_lt_i64_e64 s[22:23], v[18:19], v[16:17]
	v_cmp_lt_i32_e64 s[18:19], v24, v88
	s_or_b64 s[20:21], s[20:21], s[22:23]
	s_and_b64 s[18:19], s[18:19], s[20:21]
	s_xor_b64 s[20:21], s[18:19], -1
                                        ; implicit-def: $vgpr20_vgpr21
	s_and_saveexec_b64 s[22:23], s[20:21]
	s_xor_b64 s[20:21], exec, s[22:23]
	s_cbranch_execz .LBB138_180
; %bb.179:                              ;   in Loop: Header=BB138_2 Depth=1
	v_lshlrev_b32_e32 v20, 3, v25
	ds_read_b64 v[20:21], v20 offset:8
.LBB138_180:                            ;   in Loop: Header=BB138_2 Depth=1
	s_or_saveexec_b64 s[20:21], s[20:21]
	v_mov_b64_e32 v[22:23], v[18:19]
	s_xor_b64 exec, exec, s[20:21]
	s_cbranch_execz .LBB138_182
; %bb.181:                              ;   in Loop: Header=BB138_2 Depth=1
	s_waitcnt lgkmcnt(0)
	v_lshlrev_b32_e32 v20, 3, v24
	ds_read_b64 v[22:23], v20 offset:8
	v_mov_b64_e32 v[20:21], v[16:17]
.LBB138_182:                            ;   in Loop: Header=BB138_2 Depth=1
	s_or_b64 exec, exec, s[20:21]
	v_add_u32_e32 v27, 1, v25
	v_add_u32_e32 v26, 1, v24
	v_cndmask_b32_e64 v29, v27, v25, s[18:19]
	v_cndmask_b32_e64 v28, v24, v26, s[18:19]
	v_cmp_ge_i32_e64 s[22:23], v29, v87
	s_waitcnt lgkmcnt(0)
	v_cmp_lt_i64_e64 s[24:25], v[22:23], v[20:21]
	v_cmp_lt_i32_e64 s[20:21], v28, v88
	s_or_b64 s[22:23], s[22:23], s[24:25]
	s_and_b64 s[20:21], s[20:21], s[22:23]
	s_xor_b64 s[22:23], s[20:21], -1
                                        ; implicit-def: $vgpr24_vgpr25
	s_and_saveexec_b64 s[24:25], s[22:23]
	s_xor_b64 s[22:23], exec, s[24:25]
	s_cbranch_execz .LBB138_184
; %bb.183:                              ;   in Loop: Header=BB138_2 Depth=1
	v_lshlrev_b32_e32 v24, 3, v29
	ds_read_b64 v[24:25], v24 offset:8
.LBB138_184:                            ;   in Loop: Header=BB138_2 Depth=1
	s_or_saveexec_b64 s[22:23], s[22:23]
	v_mov_b64_e32 v[26:27], v[22:23]
	s_xor_b64 exec, exec, s[22:23]
	s_cbranch_execz .LBB138_186
; %bb.185:                              ;   in Loop: Header=BB138_2 Depth=1
	s_waitcnt lgkmcnt(0)
	v_lshlrev_b32_e32 v24, 3, v28
	ds_read_b64 v[26:27], v24 offset:8
	v_mov_b64_e32 v[24:25], v[20:21]
.LBB138_186:                            ;   in Loop: Header=BB138_2 Depth=1
	s_or_b64 exec, exec, s[22:23]
	v_add_u32_e32 v31, 1, v29
	v_add_u32_e32 v30, 1, v28
	v_cndmask_b32_e64 v33, v31, v29, s[20:21]
	v_cndmask_b32_e64 v32, v28, v30, s[20:21]
	v_cmp_ge_i32_e64 s[24:25], v33, v87
	s_waitcnt lgkmcnt(0)
	v_cmp_lt_i64_e64 s[26:27], v[26:27], v[24:25]
	v_cmp_lt_i32_e64 s[22:23], v32, v88
	s_or_b64 s[24:25], s[24:25], s[26:27]
	s_and_b64 s[22:23], s[22:23], s[24:25]
	s_xor_b64 s[24:25], s[22:23], -1
                                        ; implicit-def: $vgpr28_vgpr29
	s_and_saveexec_b64 s[26:27], s[24:25]
	s_xor_b64 s[24:25], exec, s[26:27]
	s_cbranch_execz .LBB138_188
; %bb.187:                              ;   in Loop: Header=BB138_2 Depth=1
	v_lshlrev_b32_e32 v28, 3, v33
	ds_read_b64 v[28:29], v28 offset:8
.LBB138_188:                            ;   in Loop: Header=BB138_2 Depth=1
	s_or_saveexec_b64 s[24:25], s[24:25]
	v_mov_b64_e32 v[30:31], v[26:27]
	s_xor_b64 exec, exec, s[24:25]
	s_cbranch_execz .LBB138_190
; %bb.189:                              ;   in Loop: Header=BB138_2 Depth=1
	s_waitcnt lgkmcnt(0)
	v_lshlrev_b32_e32 v28, 3, v32
	ds_read_b64 v[30:31], v28 offset:8
	v_mov_b64_e32 v[28:29], v[24:25]
.LBB138_190:                            ;   in Loop: Header=BB138_2 Depth=1
	s_or_b64 exec, exec, s[24:25]
	v_add_u32_e32 v35, 1, v33
	v_add_u32_e32 v34, 1, v32
	v_cndmask_b32_e64 v37, v35, v33, s[22:23]
	v_cndmask_b32_e64 v36, v32, v34, s[22:23]
	v_cmp_ge_i32_e64 s[26:27], v37, v87
	s_waitcnt lgkmcnt(0)
	v_cmp_lt_i64_e64 s[28:29], v[30:31], v[28:29]
	v_cmp_lt_i32_e64 s[24:25], v36, v88
	s_or_b64 s[26:27], s[26:27], s[28:29]
	s_and_b64 s[24:25], s[24:25], s[26:27]
	s_xor_b64 s[26:27], s[24:25], -1
                                        ; implicit-def: $vgpr32_vgpr33
	s_and_saveexec_b64 s[28:29], s[26:27]
	s_xor_b64 s[26:27], exec, s[28:29]
	s_cbranch_execz .LBB138_192
; %bb.191:                              ;   in Loop: Header=BB138_2 Depth=1
	v_lshlrev_b32_e32 v32, 3, v37
	ds_read_b64 v[32:33], v32 offset:8
.LBB138_192:                            ;   in Loop: Header=BB138_2 Depth=1
	s_or_saveexec_b64 s[26:27], s[26:27]
	v_mov_b64_e32 v[34:35], v[30:31]
	s_xor_b64 exec, exec, s[26:27]
	s_cbranch_execz .LBB138_194
; %bb.193:                              ;   in Loop: Header=BB138_2 Depth=1
	s_waitcnt lgkmcnt(0)
	v_lshlrev_b32_e32 v32, 3, v36
	ds_read_b64 v[34:35], v32 offset:8
	v_mov_b64_e32 v[32:33], v[28:29]
.LBB138_194:                            ;   in Loop: Header=BB138_2 Depth=1
	s_or_b64 exec, exec, s[26:27]
	v_cndmask_b32_e64 v29, v29, v31, s[24:25]
	v_add_u32_e32 v31, 1, v37
	v_cndmask_b32_e64 v28, v28, v30, s[24:25]
	v_add_u32_e32 v30, 1, v36
	v_cndmask_b32_e64 v31, v31, v37, s[24:25]
	v_cndmask_b32_e64 v30, v36, v30, s[24:25]
	;; [unrolled: 1-line block ×6, first 2 shown]
	v_cmp_ge_i32_e64 s[14:15], v31, v87
	s_waitcnt lgkmcnt(0)
	v_cmp_lt_i64_e64 s[16:17], v[34:35], v[32:33]
	v_cndmask_b32_e64 v5, v5, v7, s[12:13]
	v_cndmask_b32_e64 v4, v4, v6, s[12:13]
	v_cmp_lt_i32_e64 s[12:13], v30, v88
	s_or_b64 s[14:15], s[14:15], s[16:17]
	s_and_b64 s[12:13], s[12:13], s[14:15]
	v_cndmask_b32_e64 v25, v25, v27, s[22:23]
	v_cndmask_b32_e64 v24, v24, v26, s[22:23]
	;; [unrolled: 1-line block ×8, first 2 shown]
	s_barrier
	ds_write2_b64 v1, v[4:5], v[8:9] offset1:1
	ds_write2_b64 v1, v[12:13], v[16:17] offset0:2 offset1:3
	ds_write2_b64 v1, v[20:21], v[24:25] offset0:4 offset1:5
	;; [unrolled: 1-line block ×3, first 2 shown]
	v_mov_b32_e32 v12, v95
	s_waitcnt lgkmcnt(0)
	s_barrier
	s_and_saveexec_b64 s[14:15], s[10:11]
	s_cbranch_execz .LBB138_198
; %bb.195:                              ;   in Loop: Header=BB138_2 Depth=1
	s_mov_b64 s[16:17], 0
	v_mov_b32_e32 v12, v95
	v_mov_b32_e32 v4, v96
.LBB138_196:                            ;   Parent Loop BB138_2 Depth=1
                                        ; =>  This Inner Loop Header: Depth=2
	v_sub_u32_e32 v5, v4, v12
	v_lshrrev_b32_e32 v6, 31, v5
	v_add_u32_e32 v5, v5, v6
	v_ashrrev_i32_e32 v5, 1, v5
	v_add_u32_e32 v5, v5, v12
	v_xad_u32 v7, v5, -1, v2
	v_lshlrev_b32_e32 v6, 3, v5
	v_lshl_add_u32 v8, v7, 3, v94
	ds_read_b64 v[6:7], v6
	ds_read_b64 v[8:9], v8
	v_add_u32_e32 v10, 1, v5
	s_waitcnt lgkmcnt(0)
	v_cmp_lt_i64_e64 s[12:13], v[8:9], v[6:7]
	s_nop 1
	v_cndmask_b32_e64 v4, v4, v5, s[12:13]
	v_cndmask_b32_e64 v12, v10, v12, s[12:13]
	v_cmp_ge_i32_e64 s[12:13], v12, v4
	s_or_b64 s[16:17], s[12:13], s[16:17]
	s_andn2_b64 exec, exec, s[16:17]
	s_cbranch_execnz .LBB138_196
; %bb.197:                              ;   in Loop: Header=BB138_2 Depth=1
	s_or_b64 exec, exec, s[16:17]
.LBB138_198:                            ;   in Loop: Header=BB138_2 Depth=1
	s_or_b64 exec, exec, s[14:15]
	v_sub_u32_e32 v13, v97, v12
	v_lshlrev_b32_e32 v10, 3, v12
	v_lshlrev_b32_e32 v14, 3, v13
	ds_read_b64 v[4:5], v10
	ds_read_b64 v[6:7], v14
	v_cmp_le_i32_e64 s[14:15], v84, v12
	v_cmp_gt_i32_e64 s[12:13], s33, v13
                                        ; implicit-def: $vgpr8_vgpr9
	s_waitcnt lgkmcnt(0)
	v_cmp_lt_i64_e64 s[16:17], v[6:7], v[4:5]
	s_or_b64 s[14:15], s[14:15], s[16:17]
	s_and_b64 s[12:13], s[12:13], s[14:15]
	s_xor_b64 s[14:15], s[12:13], -1
	s_and_saveexec_b64 s[16:17], s[14:15]
	s_xor_b64 s[14:15], exec, s[16:17]
	s_cbranch_execz .LBB138_200
; %bb.199:                              ;   in Loop: Header=BB138_2 Depth=1
	ds_read_b64 v[8:9], v10 offset:8
                                        ; implicit-def: $vgpr14
.LBB138_200:                            ;   in Loop: Header=BB138_2 Depth=1
	s_or_saveexec_b64 s[14:15], s[14:15]
	v_mov_b64_e32 v[10:11], v[6:7]
	s_xor_b64 exec, exec, s[14:15]
	s_cbranch_execz .LBB138_202
; %bb.201:                              ;   in Loop: Header=BB138_2 Depth=1
	ds_read_b64 v[10:11], v14 offset:8
	s_waitcnt lgkmcnt(1)
	v_mov_b64_e32 v[8:9], v[4:5]
.LBB138_202:                            ;   in Loop: Header=BB138_2 Depth=1
	s_or_b64 exec, exec, s[14:15]
	v_add_u32_e32 v15, 1, v12
	v_add_u32_e32 v14, 1, v13
	v_cndmask_b32_e64 v17, v15, v12, s[12:13]
	v_cndmask_b32_e64 v16, v13, v14, s[12:13]
	v_cmp_ge_i32_e64 s[16:17], v17, v84
	s_waitcnt lgkmcnt(0)
	v_cmp_lt_i64_e64 s[18:19], v[10:11], v[8:9]
	v_cmp_gt_i32_e64 s[14:15], s33, v16
	s_or_b64 s[16:17], s[16:17], s[18:19]
	s_and_b64 s[14:15], s[14:15], s[16:17]
	s_xor_b64 s[16:17], s[14:15], -1
                                        ; implicit-def: $vgpr12_vgpr13
	s_and_saveexec_b64 s[18:19], s[16:17]
	s_xor_b64 s[16:17], exec, s[18:19]
	s_cbranch_execz .LBB138_204
; %bb.203:                              ;   in Loop: Header=BB138_2 Depth=1
	v_lshlrev_b32_e32 v12, 3, v17
	ds_read_b64 v[12:13], v12 offset:8
.LBB138_204:                            ;   in Loop: Header=BB138_2 Depth=1
	s_or_saveexec_b64 s[16:17], s[16:17]
	v_mov_b64_e32 v[14:15], v[10:11]
	s_xor_b64 exec, exec, s[16:17]
	s_cbranch_execz .LBB138_206
; %bb.205:                              ;   in Loop: Header=BB138_2 Depth=1
	s_waitcnt lgkmcnt(0)
	v_lshlrev_b32_e32 v12, 3, v16
	ds_read_b64 v[14:15], v12 offset:8
	v_mov_b64_e32 v[12:13], v[8:9]
.LBB138_206:                            ;   in Loop: Header=BB138_2 Depth=1
	s_or_b64 exec, exec, s[16:17]
	v_add_u32_e32 v19, 1, v17
	v_add_u32_e32 v18, 1, v16
	v_cndmask_b32_e64 v21, v19, v17, s[14:15]
	v_cndmask_b32_e64 v20, v16, v18, s[14:15]
	v_cmp_ge_i32_e64 s[18:19], v21, v84
	s_waitcnt lgkmcnt(0)
	v_cmp_lt_i64_e64 s[20:21], v[14:15], v[12:13]
	v_cmp_gt_i32_e64 s[16:17], s33, v20
	s_or_b64 s[18:19], s[18:19], s[20:21]
	s_and_b64 s[16:17], s[16:17], s[18:19]
	s_xor_b64 s[18:19], s[16:17], -1
                                        ; implicit-def: $vgpr16_vgpr17
	s_and_saveexec_b64 s[20:21], s[18:19]
	s_xor_b64 s[18:19], exec, s[20:21]
	s_cbranch_execz .LBB138_208
; %bb.207:                              ;   in Loop: Header=BB138_2 Depth=1
	v_lshlrev_b32_e32 v16, 3, v21
	ds_read_b64 v[16:17], v16 offset:8
.LBB138_208:                            ;   in Loop: Header=BB138_2 Depth=1
	s_or_saveexec_b64 s[18:19], s[18:19]
	v_mov_b64_e32 v[18:19], v[14:15]
	s_xor_b64 exec, exec, s[18:19]
	s_cbranch_execz .LBB138_210
; %bb.209:                              ;   in Loop: Header=BB138_2 Depth=1
	s_waitcnt lgkmcnt(0)
	v_lshlrev_b32_e32 v16, 3, v20
	ds_read_b64 v[18:19], v16 offset:8
	v_mov_b64_e32 v[16:17], v[12:13]
.LBB138_210:                            ;   in Loop: Header=BB138_2 Depth=1
	s_or_b64 exec, exec, s[18:19]
	v_add_u32_e32 v23, 1, v21
	v_add_u32_e32 v22, 1, v20
	v_cndmask_b32_e64 v21, v23, v21, s[16:17]
	v_cndmask_b32_e64 v20, v20, v22, s[16:17]
	v_cmp_ge_i32_e64 s[20:21], v21, v84
	s_waitcnt lgkmcnt(0)
	v_cmp_lt_i64_e64 s[22:23], v[18:19], v[16:17]
	v_cmp_gt_i32_e64 s[18:19], s33, v20
	s_or_b64 s[20:21], s[20:21], s[22:23]
	s_and_b64 s[18:19], s[18:19], s[20:21]
	s_xor_b64 s[20:21], s[18:19], -1
                                        ; implicit-def: $vgpr24_vgpr25
	s_and_saveexec_b64 s[22:23], s[20:21]
	s_xor_b64 s[20:21], exec, s[22:23]
	s_cbranch_execz .LBB138_212
; %bb.211:                              ;   in Loop: Header=BB138_2 Depth=1
	v_lshlrev_b32_e32 v22, 3, v21
	ds_read_b64 v[24:25], v22 offset:8
.LBB138_212:                            ;   in Loop: Header=BB138_2 Depth=1
	s_or_saveexec_b64 s[20:21], s[20:21]
	v_mov_b64_e32 v[26:27], v[18:19]
	s_xor_b64 exec, exec, s[20:21]
	s_cbranch_execz .LBB138_214
; %bb.213:                              ;   in Loop: Header=BB138_2 Depth=1
	v_lshlrev_b32_e32 v22, 3, v20
	ds_read_b64 v[26:27], v22 offset:8
	s_waitcnt lgkmcnt(1)
	v_mov_b64_e32 v[24:25], v[16:17]
.LBB138_214:                            ;   in Loop: Header=BB138_2 Depth=1
	s_or_b64 exec, exec, s[20:21]
	v_add_u32_e32 v23, 1, v21
	v_add_u32_e32 v22, 1, v20
	v_cndmask_b32_e64 v21, v23, v21, s[18:19]
	v_cndmask_b32_e64 v20, v20, v22, s[18:19]
	v_cmp_ge_i32_e64 s[22:23], v21, v84
	s_waitcnt lgkmcnt(0)
	v_cmp_lt_i64_e64 s[24:25], v[26:27], v[24:25]
	v_cmp_gt_i32_e64 s[20:21], s33, v20
	s_or_b64 s[22:23], s[22:23], s[24:25]
	s_and_b64 s[20:21], s[20:21], s[22:23]
	s_xor_b64 s[22:23], s[20:21], -1
                                        ; implicit-def: $vgpr28_vgpr29
	s_and_saveexec_b64 s[24:25], s[22:23]
	s_xor_b64 s[22:23], exec, s[24:25]
	s_cbranch_execz .LBB138_216
; %bb.215:                              ;   in Loop: Header=BB138_2 Depth=1
	v_lshlrev_b32_e32 v22, 3, v21
	ds_read_b64 v[28:29], v22 offset:8
.LBB138_216:                            ;   in Loop: Header=BB138_2 Depth=1
	s_or_saveexec_b64 s[22:23], s[22:23]
	v_mov_b64_e32 v[30:31], v[26:27]
	s_xor_b64 exec, exec, s[22:23]
	s_cbranch_execz .LBB138_218
; %bb.217:                              ;   in Loop: Header=BB138_2 Depth=1
	v_lshlrev_b32_e32 v22, 3, v20
	ds_read_b64 v[30:31], v22 offset:8
	s_waitcnt lgkmcnt(1)
	v_mov_b64_e32 v[28:29], v[24:25]
.LBB138_218:                            ;   in Loop: Header=BB138_2 Depth=1
	s_or_b64 exec, exec, s[22:23]
	v_add_u32_e32 v23, 1, v21
	v_add_u32_e32 v22, 1, v20
	v_cndmask_b32_e64 v21, v23, v21, s[20:21]
	v_cndmask_b32_e64 v20, v20, v22, s[20:21]
	v_cmp_ge_i32_e64 s[24:25], v21, v84
	s_waitcnt lgkmcnt(0)
	v_cmp_lt_i64_e64 s[26:27], v[30:31], v[28:29]
	v_cmp_gt_i32_e64 s[22:23], s33, v20
	s_or_b64 s[24:25], s[24:25], s[26:27]
	s_and_b64 s[22:23], s[22:23], s[24:25]
	s_xor_b64 s[24:25], s[22:23], -1
                                        ; implicit-def: $vgpr32_vgpr33
	s_and_saveexec_b64 s[26:27], s[24:25]
	s_xor_b64 s[24:25], exec, s[26:27]
	s_cbranch_execz .LBB138_220
; %bb.219:                              ;   in Loop: Header=BB138_2 Depth=1
	v_lshlrev_b32_e32 v22, 3, v21
	ds_read_b64 v[32:33], v22 offset:8
.LBB138_220:                            ;   in Loop: Header=BB138_2 Depth=1
	s_or_saveexec_b64 s[24:25], s[24:25]
	v_mov_b64_e32 v[34:35], v[30:31]
	s_xor_b64 exec, exec, s[24:25]
	s_cbranch_execz .LBB138_222
; %bb.221:                              ;   in Loop: Header=BB138_2 Depth=1
	v_lshlrev_b32_e32 v22, 3, v20
	ds_read_b64 v[34:35], v22 offset:8
	s_waitcnt lgkmcnt(1)
	v_mov_b64_e32 v[32:33], v[28:29]
.LBB138_222:                            ;   in Loop: Header=BB138_2 Depth=1
	s_or_b64 exec, exec, s[24:25]
	v_add_u32_e32 v22, 1, v20
	v_add_u32_e32 v23, 1, v21
	v_cndmask_b32_e64 v98, v20, v22, s[22:23]
	v_cndmask_b32_e64 v20, v23, v21, s[22:23]
	v_cmp_ge_i32_e64 s[26:27], v20, v84
	s_waitcnt lgkmcnt(0)
	v_cmp_lt_i64_e64 s[28:29], v[34:35], v[32:33]
	v_cmp_gt_i32_e64 s[24:25], s33, v98
	s_or_b64 s[26:27], s[26:27], s[28:29]
	s_and_b64 s[24:25], s[24:25], s[26:27]
	s_xor_b64 s[26:27], s[24:25], -1
                                        ; implicit-def: $vgpr36_vgpr37
                                        ; implicit-def: $vgpr99
	s_and_saveexec_b64 s[28:29], s[26:27]
	s_xor_b64 s[26:27], exec, s[28:29]
	s_cbranch_execz .LBB138_224
; %bb.223:                              ;   in Loop: Header=BB138_2 Depth=1
	v_lshlrev_b32_e32 v21, 3, v20
	ds_read_b64 v[36:37], v21 offset:8
	v_add_u32_e32 v99, 1, v20
                                        ; implicit-def: $vgpr20
.LBB138_224:                            ;   in Loop: Header=BB138_2 Depth=1
	s_or_saveexec_b64 s[26:27], s[26:27]
	v_mov_b64_e32 v[38:39], v[34:35]
	s_xor_b64 exec, exec, s[26:27]
	s_cbranch_execz .LBB138_1
; %bb.225:                              ;   in Loop: Header=BB138_2 Depth=1
	v_lshlrev_b32_e32 v21, 3, v98
	ds_read_b64 v[38:39], v21 offset:8
	v_add_u32_e32 v98, 1, v98
	v_mov_b32_e32 v99, v20
	s_waitcnt lgkmcnt(1)
	v_mov_b64_e32 v[36:37], v[32:33]
	s_branch .LBB138_1
.LBB138_226:
	s_add_u32 s0, s30, s36
	s_addc_u32 s1, s31, s37
	v_lshlrev_b32_e32 v0, 3, v0
	v_mov_b32_e32 v1, 0
	v_lshl_add_u64 v[2:3], s[0:1], 0, v[0:1]
	global_store_dwordx2 v0, v[20:21], s[0:1]
	global_store_dwordx2 v0, v[22:23], s[0:1] offset:1024
	global_store_dwordx2 v0, v[8:9], s[0:1] offset:2048
	;; [unrolled: 1-line block ×3, first 2 shown]
	v_add_co_u32_e32 v0, vcc, 0x1000, v2
	s_nop 1
	v_addc_co_u32_e32 v1, vcc, 0, v3, vcc
	global_store_dwordx2 v[0:1], v[6:7], off
	global_store_dwordx2 v[0:1], v[10:11], off offset:1024
	global_store_dwordx2 v[0:1], v[4:5], off offset:2048
	;; [unrolled: 1-line block ×3, first 2 shown]
	s_endpgm
	.section	.rodata,"a",@progbits
	.p2align	6, 0x0
	.amdhsa_kernel _Z16sort_keys_kernelIxLj128ELj8EN10test_utils4lessELj10EEvPKT_PS2_T2_
		.amdhsa_group_segment_fixed_size 8200
		.amdhsa_private_segment_fixed_size 0
		.amdhsa_kernarg_size 20
		.amdhsa_user_sgpr_count 2
		.amdhsa_user_sgpr_dispatch_ptr 0
		.amdhsa_user_sgpr_queue_ptr 0
		.amdhsa_user_sgpr_kernarg_segment_ptr 1
		.amdhsa_user_sgpr_dispatch_id 0
		.amdhsa_user_sgpr_kernarg_preload_length 0
		.amdhsa_user_sgpr_kernarg_preload_offset 0
		.amdhsa_user_sgpr_private_segment_size 0
		.amdhsa_uses_dynamic_stack 0
		.amdhsa_enable_private_segment 0
		.amdhsa_system_sgpr_workgroup_id_x 1
		.amdhsa_system_sgpr_workgroup_id_y 0
		.amdhsa_system_sgpr_workgroup_id_z 0
		.amdhsa_system_sgpr_workgroup_info 0
		.amdhsa_system_vgpr_workitem_id 0
		.amdhsa_next_free_vgpr 100
		.amdhsa_next_free_sgpr 38
		.amdhsa_accum_offset 100
		.amdhsa_reserve_vcc 1
		.amdhsa_float_round_mode_32 0
		.amdhsa_float_round_mode_16_64 0
		.amdhsa_float_denorm_mode_32 3
		.amdhsa_float_denorm_mode_16_64 3
		.amdhsa_dx10_clamp 1
		.amdhsa_ieee_mode 1
		.amdhsa_fp16_overflow 0
		.amdhsa_tg_split 0
		.amdhsa_exception_fp_ieee_invalid_op 0
		.amdhsa_exception_fp_denorm_src 0
		.amdhsa_exception_fp_ieee_div_zero 0
		.amdhsa_exception_fp_ieee_overflow 0
		.amdhsa_exception_fp_ieee_underflow 0
		.amdhsa_exception_fp_ieee_inexact 0
		.amdhsa_exception_int_div_zero 0
	.end_amdhsa_kernel
	.section	.text._Z16sort_keys_kernelIxLj128ELj8EN10test_utils4lessELj10EEvPKT_PS2_T2_,"axG",@progbits,_Z16sort_keys_kernelIxLj128ELj8EN10test_utils4lessELj10EEvPKT_PS2_T2_,comdat
.Lfunc_end138:
	.size	_Z16sort_keys_kernelIxLj128ELj8EN10test_utils4lessELj10EEvPKT_PS2_T2_, .Lfunc_end138-_Z16sort_keys_kernelIxLj128ELj8EN10test_utils4lessELj10EEvPKT_PS2_T2_
                                        ; -- End function
	.section	.AMDGPU.csdata,"",@progbits
; Kernel info:
; codeLenInByte = 11788
; NumSgprs: 44
; NumVgprs: 100
; NumAgprs: 0
; TotalNumVgprs: 100
; ScratchSize: 0
; MemoryBound: 0
; FloatMode: 240
; IeeeMode: 1
; LDSByteSize: 8200 bytes/workgroup (compile time only)
; SGPRBlocks: 5
; VGPRBlocks: 12
; NumSGPRsForWavesPerEU: 44
; NumVGPRsForWavesPerEU: 100
; AccumOffset: 100
; Occupancy: 4
; WaveLimiterHint : 1
; COMPUTE_PGM_RSRC2:SCRATCH_EN: 0
; COMPUTE_PGM_RSRC2:USER_SGPR: 2
; COMPUTE_PGM_RSRC2:TRAP_HANDLER: 0
; COMPUTE_PGM_RSRC2:TGID_X_EN: 1
; COMPUTE_PGM_RSRC2:TGID_Y_EN: 0
; COMPUTE_PGM_RSRC2:TGID_Z_EN: 0
; COMPUTE_PGM_RSRC2:TIDIG_COMP_CNT: 0
; COMPUTE_PGM_RSRC3_GFX90A:ACCUM_OFFSET: 24
; COMPUTE_PGM_RSRC3_GFX90A:TG_SPLIT: 0
	.section	.text._Z17sort_pairs_kernelIxLj128ELj8EN10test_utils4lessELj10EEvPKT_PS2_T2_,"axG",@progbits,_Z17sort_pairs_kernelIxLj128ELj8EN10test_utils4lessELj10EEvPKT_PS2_T2_,comdat
	.protected	_Z17sort_pairs_kernelIxLj128ELj8EN10test_utils4lessELj10EEvPKT_PS2_T2_ ; -- Begin function _Z17sort_pairs_kernelIxLj128ELj8EN10test_utils4lessELj10EEvPKT_PS2_T2_
	.globl	_Z17sort_pairs_kernelIxLj128ELj8EN10test_utils4lessELj10EEvPKT_PS2_T2_
	.p2align	8
	.type	_Z17sort_pairs_kernelIxLj128ELj8EN10test_utils4lessELj10EEvPKT_PS2_T2_,@function
_Z17sort_pairs_kernelIxLj128ELj8EN10test_utils4lessELj10EEvPKT_PS2_T2_: ; @_Z17sort_pairs_kernelIxLj128ELj8EN10test_utils4lessELj10EEvPKT_PS2_T2_
; %bb.0:
	s_load_dwordx4 s[88:91], s[0:1], 0x0
	s_lshl_b32 s94, s2, 10
	s_mov_b32 s95, 0
	s_lshl_b64 s[92:93], s[94:95], 3
	v_mov_b32_e32 v3, 0
	s_waitcnt lgkmcnt(0)
	s_add_u32 s0, s88, s92
	s_addc_u32 s1, s89, s93
	v_lshlrev_b32_e32 v2, 3, v0
	v_lshl_add_u64 v[4:5], s[0:1], 0, v[2:3]
	global_load_dwordx2 v[20:21], v2, s[0:1]
	global_load_dwordx2 v[24:25], v2, s[0:1] offset:1024
	global_load_dwordx2 v[22:23], v2, s[0:1] offset:2048
	;; [unrolled: 1-line block ×3, first 2 shown]
	s_movk_i32 s0, 0x1000
	v_add_co_u32_e32 v4, vcc, s0, v4
	v_and_b32_e32 v3, 0x3f0, v2
	s_nop 0
	v_addc_co_u32_e32 v5, vcc, 0, v5, vcc
	global_load_dwordx2 v[28:29], v[4:5], off
	global_load_dwordx2 v[32:33], v[4:5], off offset:1024
	global_load_dwordx2 v[30:31], v[4:5], off offset:2048
	global_load_dwordx2 v[34:35], v[4:5], off offset:3072
	v_and_b32_e32 v53, 0x3e0, v2
	v_or_b32_e32 v60, 8, v3
	v_add_u32_e32 v61, 16, v3
	v_and_b32_e32 v52, 8, v2
	v_and_b32_e32 v55, 0x3c0, v2
	;; [unrolled: 1-line block ×3, first 2 shown]
	v_or_b32_e32 v63, 16, v53
	v_add_u32_e32 v64, 32, v53
	v_sub_u32_e32 v5, v61, v60
	v_and_b32_e32 v54, 24, v2
	v_and_b32_e32 v57, 0x380, v2
	v_or_b32_e32 v66, 32, v55
	v_add_u32_e32 v67, 64, v55
	v_sub_u32_e32 v4, v60, v3
	v_sub_u32_e32 v7, v64, v63
	;; [unrolled: 1-line block ×3, first 2 shown]
	v_cmp_ge_i32_e32 vcc, v52, v5
	v_or_b32_e32 v89, 0x80, v59
	v_add_u32_e32 v90, 0x100, v59
	v_and_b32_e32 v97, 0x200, v2
	v_and_b32_e32 v56, 56, v2
	v_or_b32_e32 v69, 64, v57
	v_add_u32_e32 v70, 0x80, v57
	v_sub_u32_e32 v6, v63, v53
	v_sub_u32_e32 v9, v67, v66
	v_min_i32_e32 v80, v52, v4
	v_sub_u32_e32 v4, v54, v7
	v_cndmask_b32_e32 v84, 0, v12, vcc
	v_cmp_ge_i32_e32 vcc, v54, v7
	v_and_b32_e32 v88, 0xf8, v2
	v_sub_u32_e32 v37, v90, v89
	v_or_b32_e32 v99, 0x100, v97
	v_add_u32_e32 v100, 0x200, v97
	v_and_b32_e32 v58, 0x78, v2
	v_sub_u32_e32 v8, v66, v55
	v_sub_u32_e32 v11, v70, v69
	v_min_i32_e32 v81, v54, v6
	v_sub_u32_e32 v6, v56, v9
	v_cndmask_b32_e32 v85, 0, v4, vcc
	v_cmp_ge_i32_e32 vcc, v56, v9
	v_sub_u32_e32 v36, v89, v59
	v_sub_u32_e32 v38, v88, v37
	v_cmp_ge_i32_e64 s[6:7], v88, v37
	v_and_b32_e32 v98, 0x1f8, v2
	v_sub_u32_e32 v37, v100, v99
	v_sub_u32_e32 v10, v69, v57
	v_min_i32_e32 v82, v56, v8
	v_sub_u32_e32 v8, v58, v11
	v_cndmask_b32_e32 v86, 0, v6, vcc
	v_cmp_ge_i32_e32 vcc, v58, v11
	v_cndmask_b32_e64 v93, 0, v38, s[6:7]
	v_min_i32_e32 v94, v88, v36
	v_mov_b32_e32 v96, 0x200
	v_sub_u32_e32 v36, v99, v97
	v_sub_u32_e32 v38, v98, v37
	v_cmp_ge_i32_e64 s[8:9], v98, v37
	v_min_i32_e32 v83, v58, v10
	v_cndmask_b32_e32 v87, 0, v8, vcc
	v_cndmask_b32_e64 v103, 0, v38, s[8:9]
	v_min_i32_e32 v104, v98, v36
	v_sub_u32_e64 v107, v2, v96 clamp
	v_min_i32_e32 v108, 0x200, v2
	v_lshlrev_b32_e32 v1, 6, v0
	v_lshlrev_b32_e32 v62, 3, v3
	v_lshlrev_b32_e32 v65, 3, v53
	v_lshlrev_b32_e32 v68, 3, v55
	v_lshlrev_b32_e32 v71, 3, v57
	v_lshlrev_b32_e32 v72, 3, v60
	v_add_u32_e32 v73, v60, v52
	v_lshlrev_b32_e32 v74, 3, v63
	v_add_u32_e32 v75, v63, v54
	v_lshlrev_b32_e32 v76, 3, v66
	;; [unrolled: 2-line block ×3, first 2 shown]
	v_add_u32_e32 v79, v69, v58
	v_cmp_lt_i32_e32 vcc, v84, v80
	v_cmp_lt_i32_e64 s[0:1], v85, v81
	v_cmp_lt_i32_e64 s[2:3], v86, v82
	;; [unrolled: 1-line block ×3, first 2 shown]
	s_waitcnt vmcnt(7)
	v_lshl_add_u64 v[8:9], v[20:21], 0, 1
	s_waitcnt vmcnt(6)
	v_lshl_add_u64 v[10:11], v[24:25], 0, 1
	;; [unrolled: 2-line block ×8, first 2 shown]
	v_lshlrev_b32_e32 v91, 3, v59
	v_lshlrev_b32_e32 v92, 3, v89
	v_cmp_lt_i32_e64 s[6:7], v93, v94
	v_add_u32_e32 v95, v89, v88
	v_lshlrev_b32_e32 v101, 3, v97
	v_lshlrev_b32_e32 v102, 3, v99
	v_cmp_lt_i32_e64 s[8:9], v103, v104
	v_add_u32_e32 v105, v99, v98
	v_mov_b32_e32 v106, 0x1000
	v_cmp_lt_i32_e64 s[10:11], v107, v108
	v_add_u32_e32 v109, 0x200, v2
	s_movk_i32 s33, 0x400
	s_branch .LBB139_2
.LBB139_1:                              ;   in Loop: Header=BB139_2 Depth=1
	s_or_b64 exec, exec, s[26:27]
	v_cndmask_b32_e64 v21, v21, v23, s[12:13]
	v_cndmask_b32_e64 v20, v20, v22, s[12:13]
	;; [unrolled: 1-line block ×10, first 2 shown]
	v_cmp_ge_i32_e64 s[14:15], v124, v96
	s_waitcnt lgkmcnt(0)
	v_cmp_lt_i64_e64 s[16:17], v[50:51], v[44:45]
	v_cndmask_b32_e64 v31, v37, v41, s[22:23]
	v_cndmask_b32_e64 v41, v110, v111, s[12:13]
	v_cmp_gt_i32_e64 s[12:13], s33, v123
	s_or_b64 s[14:15], s[14:15], s[16:17]
	s_and_b64 s[12:13], s[12:13], s[14:15]
	v_cndmask_b32_e64 v26, v32, v34, s[18:19]
	v_cndmask_b32_e64 v30, v121, v120, s[24:25]
	;; [unrolled: 1-line block ×5, first 2 shown]
	s_barrier
	ds_write2_b64 v1, v[16:17], v[18:19] offset1:1
	ds_write2_b64 v1, v[10:11], v[14:15] offset0:2 offset1:3
	ds_write2_b64 v1, v[8:9], v[12:13] offset0:4 offset1:5
	;; [unrolled: 1-line block ×3, first 2 shown]
	v_lshlrev_b32_e32 v4, 3, v41
	v_lshlrev_b32_e32 v5, 3, v39
	;; [unrolled: 1-line block ×8, first 2 shown]
	s_waitcnt lgkmcnt(0)
	s_barrier
	ds_read_b64 v[8:9], v4
	ds_read_b64 v[10:11], v5
	;; [unrolled: 1-line block ×8, first 2 shown]
	s_add_i32 s95, s95, 1
	v_cndmask_b32_e64 v27, v33, v35, s[18:19]
	v_cndmask_b32_e64 v33, v47, v49, s[24:25]
	;; [unrolled: 1-line block ×5, first 2 shown]
	s_cmp_eq_u32 s95, 10
	v_cndmask_b32_e64 v34, v44, v50, s[12:13]
	s_cbranch_scc1 .LBB139_226
.LBB139_2:                              ; =>This Loop Header: Depth=1
                                        ;     Child Loop BB139_4 Depth 2
                                        ;     Child Loop BB139_36 Depth 2
	;; [unrolled: 1-line block ×7, first 2 shown]
	v_cmp_lt_i64_e64 s[12:13], v[24:25], v[20:21]
	v_cmp_lt_i64_e64 s[14:15], v[26:27], v[22:23]
	;; [unrolled: 1-line block ×4, first 2 shown]
	v_cndmask_b32_e64 v37, v21, v25, s[12:13]
	v_cndmask_b32_e64 v36, v20, v24, s[12:13]
	;; [unrolled: 1-line block ×16, first 2 shown]
	v_cmp_lt_i64_e64 s[20:21], v[22:23], v[20:21]
	v_cmp_lt_i64_e64 s[22:23], v[28:29], v[24:25]
	;; [unrolled: 1-line block ×3, first 2 shown]
	v_cndmask_b32_e64 v35, v23, v21, s[20:21]
	v_cndmask_b32_e64 v34, v22, v20, s[20:21]
	;; [unrolled: 1-line block ×12, first 2 shown]
	v_cmp_lt_i64_e64 s[26:27], v[20:21], v[36:37]
	v_cmp_lt_i64_e64 s[28:29], v[24:25], v[34:35]
	;; [unrolled: 1-line block ×4, first 2 shown]
	v_cndmask_b32_e64 v31, v37, v21, s[26:27]
	v_cndmask_b32_e64 v30, v36, v20, s[26:27]
	;; [unrolled: 1-line block ×16, first 2 shown]
	v_cmp_lt_i64_e64 s[36:37], v[24:25], v[20:21]
	v_cmp_lt_i64_e64 s[38:39], v[22:23], v[36:37]
	v_cmp_lt_i64_e64 s[40:41], v[28:29], v[34:35]
	v_cndmask_b32_e64 v33, v25, v21, s[36:37]
	v_cndmask_b32_e64 v32, v24, v20, s[36:37]
	v_cndmask_b32_e64 v21, v21, v25, s[36:37]
	v_cndmask_b32_e64 v20, v20, v24, s[36:37]
	v_cndmask_b32_e64 v25, v23, v37, s[38:39]
	v_cndmask_b32_e64 v24, v22, v36, s[38:39]
	v_cndmask_b32_e64 v23, v37, v23, s[38:39]
	v_cndmask_b32_e64 v22, v36, v22, s[38:39]
	v_cndmask_b32_e64 v37, v29, v35, s[40:41]
	v_cndmask_b32_e64 v36, v28, v34, s[40:41]
	v_cndmask_b32_e64 v29, v35, v29, s[40:41]
	v_cndmask_b32_e64 v28, v34, v28, s[40:41]
	v_cmp_lt_i64_e64 s[42:43], v[20:21], v[30:31]
	v_cmp_lt_i64_e64 s[44:45], v[22:23], v[32:33]
	v_cmp_lt_i64_e64 s[46:47], v[28:29], v[24:25]
	v_cndmask_b32_e64 v35, v31, v21, s[42:43]
	v_cndmask_b32_e64 v34, v30, v20, s[42:43]
	v_cndmask_b32_e64 v21, v21, v31, s[42:43]
	v_cndmask_b32_e64 v20, v20, v30, s[42:43]
	v_cndmask_b32_e64 v31, v23, v33, s[44:45]
	v_cndmask_b32_e64 v30, v22, v32, s[44:45]
	v_cndmask_b32_e64 v23, v33, v23, s[44:45]
	v_cndmask_b32_e64 v22, v32, v22, s[44:45]
	v_cndmask_b32_e64 v33, v29, v25, s[46:47]
	v_cndmask_b32_e64 v32, v28, v24, s[46:47]
	v_cndmask_b32_e64 v25, v25, v29, s[46:47]
	v_cndmask_b32_e64 v24, v24, v28, s[46:47]
	;; [unrolled: 15-line block ×5, first 2 shown]
	v_cmp_lt_i64_e64 s[66:67], v[22:23], v[34:35]
	v_cmp_lt_i64_e64 s[68:69], v[26:27], v[36:37]
	s_nop 0
	v_cndmask_b32_e64 v33, v23, v35, s[66:67]
	v_cndmask_b32_e64 v32, v22, v34, s[66:67]
	;; [unrolled: 1-line block ×8, first 2 shown]
	s_barrier
	ds_write2_b64 v1, v[20:21], v[24:25] offset1:1
	ds_write2_b64 v1, v[30:31], v[22:23] offset0:2 offset1:3
	ds_write2_b64 v1, v[32:33], v[26:27] offset0:4 offset1:5
	;; [unrolled: 1-line block ×3, first 2 shown]
	v_mov_b32_e32 v24, v84
	s_waitcnt lgkmcnt(0)
	s_barrier
	s_and_saveexec_b64 s[72:73], vcc
	s_cbranch_execz .LBB139_6
; %bb.3:                                ;   in Loop: Header=BB139_2 Depth=1
	s_mov_b64 s[74:75], 0
	v_mov_b32_e32 v24, v84
	v_mov_b32_e32 v20, v80
.LBB139_4:                              ;   Parent Loop BB139_2 Depth=1
                                        ; =>  This Inner Loop Header: Depth=2
	v_sub_u32_e32 v21, v20, v24
	v_lshrrev_b32_e32 v22, 31, v21
	v_add_u32_e32 v21, v21, v22
	v_ashrrev_i32_e32 v21, 1, v21
	v_add_u32_e32 v21, v21, v24
	v_lshl_add_u32 v22, v21, 3, v62
	v_xad_u32 v23, v21, -1, v52
	v_lshl_add_u32 v25, v23, 3, v72
	ds_read_b64 v[22:23], v22
	ds_read_b64 v[26:27], v25
	v_add_u32_e32 v25, 1, v21
	s_waitcnt lgkmcnt(0)
	v_cmp_lt_i64_e64 s[70:71], v[26:27], v[22:23]
	s_nop 1
	v_cndmask_b32_e64 v20, v20, v21, s[70:71]
	v_cndmask_b32_e64 v24, v25, v24, s[70:71]
	v_cmp_ge_i32_e64 s[70:71], v24, v20
	s_or_b64 s[74:75], s[70:71], s[74:75]
	s_andn2_b64 exec, exec, s[74:75]
	s_cbranch_execnz .LBB139_4
; %bb.5:                                ;   in Loop: Header=BB139_2 Depth=1
	s_or_b64 exec, exec, s[74:75]
.LBB139_6:                              ;   in Loop: Header=BB139_2 Depth=1
	s_or_b64 exec, exec, s[72:73]
	v_sub_u32_e32 v110, v73, v24
	v_lshl_add_u32 v26, v24, 3, v62
	v_lshlrev_b32_e32 v28, 3, v110
	ds_read_b64 v[20:21], v26
	ds_read_b64 v[22:23], v28
	v_add_u32_e32 v111, v24, v3
	v_cmp_le_i32_e64 s[72:73], v60, v111
	v_cmp_gt_i32_e64 s[70:71], v61, v110
                                        ; implicit-def: $vgpr24_vgpr25
	s_waitcnt lgkmcnt(0)
	v_cmp_lt_i64_e64 s[74:75], v[22:23], v[20:21]
	s_or_b64 s[72:73], s[72:73], s[74:75]
	s_and_b64 s[70:71], s[70:71], s[72:73]
	s_xor_b64 s[72:73], s[70:71], -1
	s_and_saveexec_b64 s[74:75], s[72:73]
	s_xor_b64 s[72:73], exec, s[74:75]
	s_cbranch_execz .LBB139_8
; %bb.7:                                ;   in Loop: Header=BB139_2 Depth=1
	ds_read_b64 v[24:25], v26 offset:8
                                        ; implicit-def: $vgpr28
.LBB139_8:                              ;   in Loop: Header=BB139_2 Depth=1
	s_or_saveexec_b64 s[72:73], s[72:73]
	v_mov_b64_e32 v[26:27], v[22:23]
	s_xor_b64 exec, exec, s[72:73]
	s_cbranch_execz .LBB139_10
; %bb.9:                                ;   in Loop: Header=BB139_2 Depth=1
	ds_read_b64 v[26:27], v28 offset:8
	s_waitcnt lgkmcnt(1)
	v_mov_b64_e32 v[24:25], v[20:21]
.LBB139_10:                             ;   in Loop: Header=BB139_2 Depth=1
	s_or_b64 exec, exec, s[72:73]
	v_add_u32_e32 v29, 1, v111
	v_add_u32_e32 v28, 1, v110
	v_cndmask_b32_e64 v113, v29, v111, s[70:71]
	v_cndmask_b32_e64 v112, v110, v28, s[70:71]
	v_cmp_ge_i32_e64 s[74:75], v113, v60
	s_waitcnt lgkmcnt(0)
	v_cmp_lt_i64_e64 s[76:77], v[26:27], v[24:25]
	v_cmp_lt_i32_e64 s[72:73], v112, v61
	s_or_b64 s[74:75], s[74:75], s[76:77]
	s_and_b64 s[72:73], s[72:73], s[74:75]
	s_xor_b64 s[74:75], s[72:73], -1
                                        ; implicit-def: $vgpr28_vgpr29
	s_and_saveexec_b64 s[76:77], s[74:75]
	s_xor_b64 s[74:75], exec, s[76:77]
	s_cbranch_execz .LBB139_12
; %bb.11:                               ;   in Loop: Header=BB139_2 Depth=1
	v_lshlrev_b32_e32 v28, 3, v113
	ds_read_b64 v[28:29], v28 offset:8
.LBB139_12:                             ;   in Loop: Header=BB139_2 Depth=1
	s_or_saveexec_b64 s[74:75], s[74:75]
	v_mov_b64_e32 v[30:31], v[26:27]
	s_xor_b64 exec, exec, s[74:75]
	s_cbranch_execz .LBB139_14
; %bb.13:                               ;   in Loop: Header=BB139_2 Depth=1
	s_waitcnt lgkmcnt(0)
	v_lshlrev_b32_e32 v28, 3, v112
	ds_read_b64 v[30:31], v28 offset:8
	v_mov_b64_e32 v[28:29], v[24:25]
.LBB139_14:                             ;   in Loop: Header=BB139_2 Depth=1
	s_or_b64 exec, exec, s[74:75]
	v_add_u32_e32 v33, 1, v113
	v_add_u32_e32 v32, 1, v112
	v_cndmask_b32_e64 v115, v33, v113, s[72:73]
	v_cndmask_b32_e64 v114, v112, v32, s[72:73]
	v_cmp_ge_i32_e64 s[76:77], v115, v60
	s_waitcnt lgkmcnt(0)
	v_cmp_lt_i64_e64 s[78:79], v[30:31], v[28:29]
	v_cmp_lt_i32_e64 s[74:75], v114, v61
	s_or_b64 s[76:77], s[76:77], s[78:79]
	s_and_b64 s[74:75], s[74:75], s[76:77]
	s_xor_b64 s[76:77], s[74:75], -1
                                        ; implicit-def: $vgpr32_vgpr33
	s_and_saveexec_b64 s[78:79], s[76:77]
	s_xor_b64 s[76:77], exec, s[78:79]
	s_cbranch_execz .LBB139_16
; %bb.15:                               ;   in Loop: Header=BB139_2 Depth=1
	v_lshlrev_b32_e32 v32, 3, v115
	ds_read_b64 v[32:33], v32 offset:8
.LBB139_16:                             ;   in Loop: Header=BB139_2 Depth=1
	s_or_saveexec_b64 s[76:77], s[76:77]
	v_mov_b64_e32 v[34:35], v[30:31]
	s_xor_b64 exec, exec, s[76:77]
	s_cbranch_execz .LBB139_18
; %bb.17:                               ;   in Loop: Header=BB139_2 Depth=1
	s_waitcnt lgkmcnt(0)
	v_lshlrev_b32_e32 v32, 3, v114
	ds_read_b64 v[34:35], v32 offset:8
	v_mov_b64_e32 v[32:33], v[28:29]
.LBB139_18:                             ;   in Loop: Header=BB139_2 Depth=1
	s_or_b64 exec, exec, s[76:77]
	v_add_u32_e32 v37, 1, v115
	v_add_u32_e32 v36, 1, v114
	v_cndmask_b32_e64 v117, v37, v115, s[74:75]
	v_cndmask_b32_e64 v116, v114, v36, s[74:75]
	v_cmp_ge_i32_e64 s[78:79], v117, v60
	s_waitcnt lgkmcnt(0)
	v_cmp_lt_i64_e64 s[80:81], v[34:35], v[32:33]
	v_cmp_lt_i32_e64 s[76:77], v116, v61
	s_or_b64 s[78:79], s[78:79], s[80:81]
	s_and_b64 s[76:77], s[76:77], s[78:79]
	s_xor_b64 s[78:79], s[76:77], -1
                                        ; implicit-def: $vgpr38_vgpr39
	s_and_saveexec_b64 s[80:81], s[78:79]
	s_xor_b64 s[78:79], exec, s[80:81]
	s_cbranch_execz .LBB139_20
; %bb.19:                               ;   in Loop: Header=BB139_2 Depth=1
	v_lshlrev_b32_e32 v36, 3, v117
	ds_read_b64 v[38:39], v36 offset:8
.LBB139_20:                             ;   in Loop: Header=BB139_2 Depth=1
	s_or_saveexec_b64 s[78:79], s[78:79]
	v_mov_b64_e32 v[42:43], v[34:35]
	s_xor_b64 exec, exec, s[78:79]
	s_cbranch_execz .LBB139_22
; %bb.21:                               ;   in Loop: Header=BB139_2 Depth=1
	v_lshlrev_b32_e32 v36, 3, v116
	ds_read_b64 v[42:43], v36 offset:8
	s_waitcnt lgkmcnt(1)
	v_mov_b64_e32 v[38:39], v[32:33]
.LBB139_22:                             ;   in Loop: Header=BB139_2 Depth=1
	s_or_b64 exec, exec, s[78:79]
	v_add_u32_e32 v37, 1, v117
	v_add_u32_e32 v36, 1, v116
	v_cndmask_b32_e64 v119, v37, v117, s[76:77]
	v_cndmask_b32_e64 v118, v116, v36, s[76:77]
	v_cmp_ge_i32_e64 s[80:81], v119, v60
	s_waitcnt lgkmcnt(0)
	v_cmp_lt_i64_e64 s[82:83], v[42:43], v[38:39]
	v_cmp_lt_i32_e64 s[78:79], v118, v61
	s_or_b64 s[80:81], s[80:81], s[82:83]
	s_and_b64 s[78:79], s[78:79], s[80:81]
	s_xor_b64 s[80:81], s[78:79], -1
                                        ; implicit-def: $vgpr44_vgpr45
	s_and_saveexec_b64 s[82:83], s[80:81]
	s_xor_b64 s[80:81], exec, s[82:83]
	s_cbranch_execz .LBB139_24
; %bb.23:                               ;   in Loop: Header=BB139_2 Depth=1
	v_lshlrev_b32_e32 v36, 3, v119
	ds_read_b64 v[44:45], v36 offset:8
.LBB139_24:                             ;   in Loop: Header=BB139_2 Depth=1
	s_or_saveexec_b64 s[80:81], s[80:81]
	v_mov_b64_e32 v[46:47], v[42:43]
	s_xor_b64 exec, exec, s[80:81]
	s_cbranch_execz .LBB139_26
; %bb.25:                               ;   in Loop: Header=BB139_2 Depth=1
	v_lshlrev_b32_e32 v36, 3, v118
	ds_read_b64 v[46:47], v36 offset:8
	s_waitcnt lgkmcnt(1)
	v_mov_b64_e32 v[44:45], v[38:39]
.LBB139_26:                             ;   in Loop: Header=BB139_2 Depth=1
	s_or_b64 exec, exec, s[80:81]
	v_add_u32_e32 v37, 1, v119
	v_add_u32_e32 v36, 1, v118
	v_cndmask_b32_e64 v121, v37, v119, s[78:79]
	v_cndmask_b32_e64 v120, v118, v36, s[78:79]
	v_cmp_ge_i32_e64 s[82:83], v121, v60
	s_waitcnt lgkmcnt(0)
	v_cmp_lt_i64_e64 s[84:85], v[46:47], v[44:45]
	v_cmp_lt_i32_e64 s[80:81], v120, v61
	s_or_b64 s[82:83], s[82:83], s[84:85]
	s_and_b64 s[80:81], s[80:81], s[82:83]
	s_xor_b64 s[82:83], s[80:81], -1
                                        ; implicit-def: $vgpr48_vgpr49
	s_and_saveexec_b64 s[84:85], s[82:83]
	s_xor_b64 s[82:83], exec, s[84:85]
	s_cbranch_execz .LBB139_28
; %bb.27:                               ;   in Loop: Header=BB139_2 Depth=1
	v_lshlrev_b32_e32 v36, 3, v121
	ds_read_b64 v[48:49], v36 offset:8
.LBB139_28:                             ;   in Loop: Header=BB139_2 Depth=1
	s_or_saveexec_b64 s[82:83], s[82:83]
	v_mov_b64_e32 v[50:51], v[46:47]
	s_xor_b64 exec, exec, s[82:83]
	s_cbranch_execz .LBB139_30
; %bb.29:                               ;   in Loop: Header=BB139_2 Depth=1
	v_lshlrev_b32_e32 v36, 3, v120
	ds_read_b64 v[50:51], v36 offset:8
	s_waitcnt lgkmcnt(1)
	v_mov_b64_e32 v[48:49], v[44:45]
.LBB139_30:                             ;   in Loop: Header=BB139_2 Depth=1
	s_or_b64 exec, exec, s[82:83]
	v_add_u32_e32 v37, 1, v121
	v_add_u32_e32 v36, 1, v120
	v_cndmask_b32_e64 v123, v37, v121, s[80:81]
	v_cndmask_b32_e64 v122, v120, v36, s[80:81]
	v_cmp_ge_i32_e64 s[84:85], v123, v60
	s_waitcnt lgkmcnt(0)
	v_cmp_lt_i64_e64 s[86:87], v[50:51], v[48:49]
	v_cmp_lt_i32_e64 s[82:83], v122, v61
	s_or_b64 s[84:85], s[84:85], s[86:87]
	s_and_b64 s[82:83], s[82:83], s[84:85]
	s_xor_b64 s[84:85], s[82:83], -1
                                        ; implicit-def: $vgpr36_vgpr37
	s_and_saveexec_b64 s[86:87], s[84:85]
	s_xor_b64 s[84:85], exec, s[86:87]
	s_cbranch_execz .LBB139_32
; %bb.31:                               ;   in Loop: Header=BB139_2 Depth=1
	v_lshlrev_b32_e32 v36, 3, v123
	ds_read_b64 v[36:37], v36 offset:8
.LBB139_32:                             ;   in Loop: Header=BB139_2 Depth=1
	s_or_saveexec_b64 s[84:85], s[84:85]
	v_mov_b64_e32 v[40:41], v[50:51]
	s_xor_b64 exec, exec, s[84:85]
	s_cbranch_execz .LBB139_34
; %bb.33:                               ;   in Loop: Header=BB139_2 Depth=1
	s_waitcnt lgkmcnt(0)
	v_lshlrev_b32_e32 v36, 3, v122
	ds_read_b64 v[40:41], v36 offset:8
	v_mov_b64_e32 v[36:37], v[48:49]
.LBB139_34:                             ;   in Loop: Header=BB139_2 Depth=1
	s_or_b64 exec, exec, s[84:85]
	v_cndmask_b32_e64 v21, v21, v23, s[70:71]
	v_cndmask_b32_e64 v20, v20, v22, s[70:71]
	;; [unrolled: 1-line block ×47, first 2 shown]
	v_add_u32_e32 v51, 1, v123
	v_cndmask_b32_e64 v18, v11, v5, s[36:37]
	v_cndmask_b32_e64 v19, v10, v4, s[36:37]
	;; [unrolled: 1-line block ×13, first 2 shown]
	v_add_u32_e32 v50, 1, v122
	v_cndmask_b32_e64 v51, v51, v123, s[82:83]
	v_cndmask_b32_e64 v16, v13, v4, s[42:43]
	;; [unrolled: 1-line block ×28, first 2 shown]
	v_cmp_ge_i32_e64 s[14:15], v51, v60
	s_waitcnt lgkmcnt(0)
	v_cmp_lt_i64_e64 s[16:17], v[40:41], v[36:37]
	v_cndmask_b32_e64 v12, v9, v19, s[54:55]
	v_cndmask_b32_e64 v13, v8, v18, s[54:55]
	;; [unrolled: 1-line block ×12, first 2 shown]
	v_cmp_lt_i32_e64 s[12:13], v50, v61
	s_or_b64 s[14:15], s[14:15], s[16:17]
	v_cndmask_b32_e64 v45, v45, v47, s[80:81]
	v_cndmask_b32_e64 v39, v39, v43, s[78:79]
	;; [unrolled: 1-line block ×22, first 2 shown]
	s_and_b64 s[12:13], s[12:13], s[14:15]
	v_cndmask_b32_e64 v122, v123, v122, s[82:83]
	v_cndmask_b32_e64 v44, v44, v46, s[80:81]
	;; [unrolled: 1-line block ×14, first 2 shown]
	s_barrier
	ds_write2_b64 v1, v[4:5], v[10:11] offset1:1
	ds_write2_b64 v1, v[8:9], v[14:15] offset0:2 offset1:3
	ds_write2_b64 v1, v[12:13], v[18:19] offset0:4 offset1:5
	;; [unrolled: 1-line block ×3, first 2 shown]
	v_lshlrev_b32_e32 v4, 3, v27
	v_lshlrev_b32_e32 v5, 3, v26
	;; [unrolled: 1-line block ×4, first 2 shown]
	s_waitcnt lgkmcnt(0)
	s_barrier
	ds_read_b64 v[16:17], v4
	ds_read_b64 v[18:19], v5
	;; [unrolled: 1-line block ×4, first 2 shown]
	v_lshlrev_b32_e32 v4, 3, v42
	v_lshlrev_b32_e32 v5, 3, v46
	;; [unrolled: 1-line block ×4, first 2 shown]
	ds_read_b64 v[8:9], v4
	ds_read_b64 v[12:13], v5
	;; [unrolled: 1-line block ×4, first 2 shown]
	v_cndmask_b32_e64 v23, v37, v41, s[12:13]
	v_cndmask_b32_e64 v22, v36, v40, s[12:13]
	s_waitcnt lgkmcnt(0)
	s_barrier
	ds_write2_b64 v1, v[20:21], v[24:25] offset1:1
	ds_write2_b64 v1, v[28:29], v[32:33] offset0:2 offset1:3
	ds_write2_b64 v1, v[38:39], v[44:45] offset0:4 offset1:5
	ds_write2_b64 v1, v[48:49], v[22:23] offset0:6 offset1:7
	v_mov_b32_e32 v24, v85
	s_waitcnt lgkmcnt(0)
	s_barrier
	s_and_saveexec_b64 s[14:15], s[0:1]
	s_cbranch_execz .LBB139_38
; %bb.35:                               ;   in Loop: Header=BB139_2 Depth=1
	s_mov_b64 s[16:17], 0
	v_mov_b32_e32 v24, v85
	v_mov_b32_e32 v20, v81
.LBB139_36:                             ;   Parent Loop BB139_2 Depth=1
                                        ; =>  This Inner Loop Header: Depth=2
	v_sub_u32_e32 v21, v20, v24
	v_lshrrev_b32_e32 v22, 31, v21
	v_add_u32_e32 v21, v21, v22
	v_ashrrev_i32_e32 v21, 1, v21
	v_add_u32_e32 v21, v21, v24
	v_lshl_add_u32 v22, v21, 3, v65
	v_xad_u32 v23, v21, -1, v54
	v_lshl_add_u32 v25, v23, 3, v74
	ds_read_b64 v[22:23], v22
	ds_read_b64 v[26:27], v25
	v_add_u32_e32 v25, 1, v21
	s_waitcnt lgkmcnt(0)
	v_cmp_lt_i64_e64 s[12:13], v[26:27], v[22:23]
	s_nop 1
	v_cndmask_b32_e64 v20, v20, v21, s[12:13]
	v_cndmask_b32_e64 v24, v25, v24, s[12:13]
	v_cmp_ge_i32_e64 s[12:13], v24, v20
	s_or_b64 s[16:17], s[12:13], s[16:17]
	s_andn2_b64 exec, exec, s[16:17]
	s_cbranch_execnz .LBB139_36
; %bb.37:                               ;   in Loop: Header=BB139_2 Depth=1
	s_or_b64 exec, exec, s[16:17]
.LBB139_38:                             ;   in Loop: Header=BB139_2 Depth=1
	s_or_b64 exec, exec, s[14:15]
	v_sub_u32_e32 v110, v75, v24
	v_lshl_add_u32 v26, v24, 3, v65
	v_lshlrev_b32_e32 v28, 3, v110
	ds_read_b64 v[20:21], v26
	ds_read_b64 v[22:23], v28
	v_add_u32_e32 v111, v24, v53
	v_cmp_le_i32_e64 s[14:15], v63, v111
	v_cmp_gt_i32_e64 s[12:13], v64, v110
                                        ; implicit-def: $vgpr24_vgpr25
	s_waitcnt lgkmcnt(0)
	v_cmp_lt_i64_e64 s[16:17], v[22:23], v[20:21]
	s_or_b64 s[14:15], s[14:15], s[16:17]
	s_and_b64 s[12:13], s[12:13], s[14:15]
	s_xor_b64 s[14:15], s[12:13], -1
	s_and_saveexec_b64 s[16:17], s[14:15]
	s_xor_b64 s[14:15], exec, s[16:17]
	s_cbranch_execz .LBB139_40
; %bb.39:                               ;   in Loop: Header=BB139_2 Depth=1
	ds_read_b64 v[24:25], v26 offset:8
                                        ; implicit-def: $vgpr28
.LBB139_40:                             ;   in Loop: Header=BB139_2 Depth=1
	s_or_saveexec_b64 s[14:15], s[14:15]
	v_mov_b64_e32 v[26:27], v[22:23]
	s_xor_b64 exec, exec, s[14:15]
	s_cbranch_execz .LBB139_42
; %bb.41:                               ;   in Loop: Header=BB139_2 Depth=1
	ds_read_b64 v[26:27], v28 offset:8
	s_waitcnt lgkmcnt(1)
	v_mov_b64_e32 v[24:25], v[20:21]
.LBB139_42:                             ;   in Loop: Header=BB139_2 Depth=1
	s_or_b64 exec, exec, s[14:15]
	v_add_u32_e32 v29, 1, v111
	v_add_u32_e32 v28, 1, v110
	v_cndmask_b32_e64 v113, v29, v111, s[12:13]
	v_cndmask_b32_e64 v112, v110, v28, s[12:13]
	v_cmp_ge_i32_e64 s[16:17], v113, v63
	s_waitcnt lgkmcnt(0)
	v_cmp_lt_i64_e64 s[18:19], v[26:27], v[24:25]
	v_cmp_lt_i32_e64 s[14:15], v112, v64
	s_or_b64 s[16:17], s[16:17], s[18:19]
	s_and_b64 s[14:15], s[14:15], s[16:17]
	s_xor_b64 s[16:17], s[14:15], -1
                                        ; implicit-def: $vgpr28_vgpr29
	s_and_saveexec_b64 s[18:19], s[16:17]
	s_xor_b64 s[16:17], exec, s[18:19]
	s_cbranch_execz .LBB139_44
; %bb.43:                               ;   in Loop: Header=BB139_2 Depth=1
	v_lshlrev_b32_e32 v28, 3, v113
	ds_read_b64 v[28:29], v28 offset:8
.LBB139_44:                             ;   in Loop: Header=BB139_2 Depth=1
	s_or_saveexec_b64 s[16:17], s[16:17]
	v_mov_b64_e32 v[30:31], v[26:27]
	s_xor_b64 exec, exec, s[16:17]
	s_cbranch_execz .LBB139_46
; %bb.45:                               ;   in Loop: Header=BB139_2 Depth=1
	s_waitcnt lgkmcnt(0)
	v_lshlrev_b32_e32 v28, 3, v112
	ds_read_b64 v[30:31], v28 offset:8
	v_mov_b64_e32 v[28:29], v[24:25]
.LBB139_46:                             ;   in Loop: Header=BB139_2 Depth=1
	s_or_b64 exec, exec, s[16:17]
	v_add_u32_e32 v33, 1, v113
	v_add_u32_e32 v32, 1, v112
	v_cndmask_b32_e64 v115, v33, v113, s[14:15]
	v_cndmask_b32_e64 v114, v112, v32, s[14:15]
	v_cmp_ge_i32_e64 s[18:19], v115, v63
	s_waitcnt lgkmcnt(0)
	v_cmp_lt_i64_e64 s[20:21], v[30:31], v[28:29]
	v_cmp_lt_i32_e64 s[16:17], v114, v64
	s_or_b64 s[18:19], s[18:19], s[20:21]
	s_and_b64 s[16:17], s[16:17], s[18:19]
	s_xor_b64 s[18:19], s[16:17], -1
                                        ; implicit-def: $vgpr32_vgpr33
	s_and_saveexec_b64 s[20:21], s[18:19]
	s_xor_b64 s[18:19], exec, s[20:21]
	s_cbranch_execz .LBB139_48
; %bb.47:                               ;   in Loop: Header=BB139_2 Depth=1
	v_lshlrev_b32_e32 v32, 3, v115
	ds_read_b64 v[32:33], v32 offset:8
.LBB139_48:                             ;   in Loop: Header=BB139_2 Depth=1
	s_or_saveexec_b64 s[18:19], s[18:19]
	v_mov_b64_e32 v[34:35], v[30:31]
	s_xor_b64 exec, exec, s[18:19]
	s_cbranch_execz .LBB139_50
; %bb.49:                               ;   in Loop: Header=BB139_2 Depth=1
	s_waitcnt lgkmcnt(0)
	v_lshlrev_b32_e32 v32, 3, v114
	ds_read_b64 v[34:35], v32 offset:8
	v_mov_b64_e32 v[32:33], v[28:29]
.LBB139_50:                             ;   in Loop: Header=BB139_2 Depth=1
	s_or_b64 exec, exec, s[18:19]
	v_add_u32_e32 v37, 1, v115
	v_add_u32_e32 v36, 1, v114
	v_cndmask_b32_e64 v117, v37, v115, s[16:17]
	v_cndmask_b32_e64 v116, v114, v36, s[16:17]
	v_cmp_ge_i32_e64 s[20:21], v117, v63
	s_waitcnt lgkmcnt(0)
	v_cmp_lt_i64_e64 s[22:23], v[34:35], v[32:33]
	v_cmp_lt_i32_e64 s[18:19], v116, v64
	s_or_b64 s[20:21], s[20:21], s[22:23]
	s_and_b64 s[18:19], s[18:19], s[20:21]
	s_xor_b64 s[20:21], s[18:19], -1
                                        ; implicit-def: $vgpr36_vgpr37
	s_and_saveexec_b64 s[22:23], s[20:21]
	s_xor_b64 s[20:21], exec, s[22:23]
	s_cbranch_execz .LBB139_52
; %bb.51:                               ;   in Loop: Header=BB139_2 Depth=1
	v_lshlrev_b32_e32 v36, 3, v117
	ds_read_b64 v[36:37], v36 offset:8
.LBB139_52:                             ;   in Loop: Header=BB139_2 Depth=1
	s_or_saveexec_b64 s[20:21], s[20:21]
	v_mov_b64_e32 v[38:39], v[34:35]
	s_xor_b64 exec, exec, s[20:21]
	s_cbranch_execz .LBB139_54
; %bb.53:                               ;   in Loop: Header=BB139_2 Depth=1
	s_waitcnt lgkmcnt(0)
	v_lshlrev_b32_e32 v36, 3, v116
	ds_read_b64 v[38:39], v36 offset:8
	v_mov_b64_e32 v[36:37], v[32:33]
.LBB139_54:                             ;   in Loop: Header=BB139_2 Depth=1
	s_or_b64 exec, exec, s[20:21]
	v_add_u32_e32 v41, 1, v117
	v_add_u32_e32 v40, 1, v116
	v_cndmask_b32_e64 v119, v41, v117, s[18:19]
	v_cndmask_b32_e64 v118, v116, v40, s[18:19]
	v_cmp_ge_i32_e64 s[22:23], v119, v63
	s_waitcnt lgkmcnt(0)
	v_cmp_lt_i64_e64 s[24:25], v[38:39], v[36:37]
	v_cmp_lt_i32_e64 s[20:21], v118, v64
	s_or_b64 s[22:23], s[22:23], s[24:25]
	s_and_b64 s[20:21], s[20:21], s[22:23]
	s_xor_b64 s[22:23], s[20:21], -1
                                        ; implicit-def: $vgpr40_vgpr41
	s_and_saveexec_b64 s[24:25], s[22:23]
	s_xor_b64 s[22:23], exec, s[24:25]
	s_cbranch_execz .LBB139_56
; %bb.55:                               ;   in Loop: Header=BB139_2 Depth=1
	v_lshlrev_b32_e32 v40, 3, v119
	ds_read_b64 v[40:41], v40 offset:8
.LBB139_56:                             ;   in Loop: Header=BB139_2 Depth=1
	s_or_saveexec_b64 s[22:23], s[22:23]
	v_mov_b64_e32 v[42:43], v[38:39]
	s_xor_b64 exec, exec, s[22:23]
	s_cbranch_execz .LBB139_58
; %bb.57:                               ;   in Loop: Header=BB139_2 Depth=1
	s_waitcnt lgkmcnt(0)
	v_lshlrev_b32_e32 v40, 3, v118
	ds_read_b64 v[42:43], v40 offset:8
	v_mov_b64_e32 v[40:41], v[36:37]
.LBB139_58:                             ;   in Loop: Header=BB139_2 Depth=1
	s_or_b64 exec, exec, s[22:23]
	v_add_u32_e32 v45, 1, v119
	v_add_u32_e32 v44, 1, v118
	v_cndmask_b32_e64 v121, v45, v119, s[20:21]
	v_cndmask_b32_e64 v120, v118, v44, s[20:21]
	v_cmp_ge_i32_e64 s[24:25], v121, v63
	s_waitcnt lgkmcnt(0)
	v_cmp_lt_i64_e64 s[26:27], v[42:43], v[40:41]
	v_cmp_lt_i32_e64 s[22:23], v120, v64
	s_or_b64 s[24:25], s[24:25], s[26:27]
	s_and_b64 s[22:23], s[22:23], s[24:25]
	s_xor_b64 s[24:25], s[22:23], -1
                                        ; implicit-def: $vgpr44_vgpr45
	s_and_saveexec_b64 s[26:27], s[24:25]
	s_xor_b64 s[24:25], exec, s[26:27]
	s_cbranch_execz .LBB139_60
; %bb.59:                               ;   in Loop: Header=BB139_2 Depth=1
	v_lshlrev_b32_e32 v44, 3, v121
	ds_read_b64 v[44:45], v44 offset:8
.LBB139_60:                             ;   in Loop: Header=BB139_2 Depth=1
	s_or_saveexec_b64 s[24:25], s[24:25]
	v_mov_b64_e32 v[48:49], v[42:43]
	s_xor_b64 exec, exec, s[24:25]
	s_cbranch_execz .LBB139_62
; %bb.61:                               ;   in Loop: Header=BB139_2 Depth=1
	s_waitcnt lgkmcnt(0)
	v_lshlrev_b32_e32 v44, 3, v120
	ds_read_b64 v[48:49], v44 offset:8
	v_mov_b64_e32 v[44:45], v[40:41]
.LBB139_62:                             ;   in Loop: Header=BB139_2 Depth=1
	s_or_b64 exec, exec, s[24:25]
	v_add_u32_e32 v47, 1, v121
	v_add_u32_e32 v46, 1, v120
	v_cndmask_b32_e64 v123, v47, v121, s[22:23]
	v_cndmask_b32_e64 v122, v120, v46, s[22:23]
	v_cmp_ge_i32_e64 s[26:27], v123, v63
	s_waitcnt lgkmcnt(0)
	v_cmp_lt_i64_e64 s[28:29], v[48:49], v[44:45]
	v_cmp_lt_i32_e64 s[24:25], v122, v64
	s_or_b64 s[26:27], s[26:27], s[28:29]
	s_and_b64 s[24:25], s[24:25], s[26:27]
	s_xor_b64 s[26:27], s[24:25], -1
                                        ; implicit-def: $vgpr46_vgpr47
	s_and_saveexec_b64 s[28:29], s[26:27]
	s_xor_b64 s[26:27], exec, s[28:29]
	s_cbranch_execz .LBB139_64
; %bb.63:                               ;   in Loop: Header=BB139_2 Depth=1
	v_lshlrev_b32_e32 v46, 3, v123
	ds_read_b64 v[46:47], v46 offset:8
.LBB139_64:                             ;   in Loop: Header=BB139_2 Depth=1
	s_or_saveexec_b64 s[26:27], s[26:27]
	v_mov_b64_e32 v[50:51], v[48:49]
	s_xor_b64 exec, exec, s[26:27]
	s_cbranch_execz .LBB139_66
; %bb.65:                               ;   in Loop: Header=BB139_2 Depth=1
	s_waitcnt lgkmcnt(0)
	v_lshlrev_b32_e32 v46, 3, v122
	ds_read_b64 v[50:51], v46 offset:8
	v_mov_b64_e32 v[46:47], v[44:45]
.LBB139_66:                             ;   in Loop: Header=BB139_2 Depth=1
	s_or_b64 exec, exec, s[26:27]
	v_cndmask_b32_e64 v45, v45, v49, s[24:25]
	v_add_u32_e32 v49, 1, v123
	v_cndmask_b32_e64 v44, v44, v48, s[24:25]
	v_add_u32_e32 v48, 1, v122
	v_cndmask_b32_e64 v49, v49, v123, s[24:25]
	v_cndmask_b32_e64 v48, v122, v48, s[24:25]
	;; [unrolled: 1-line block ×8, first 2 shown]
	v_cmp_ge_i32_e64 s[14:15], v49, v63
	s_waitcnt lgkmcnt(0)
	v_cmp_lt_i64_e64 s[16:17], v[50:51], v[46:47]
	v_cndmask_b32_e64 v21, v21, v23, s[12:13]
	v_cndmask_b32_e64 v20, v20, v22, s[12:13]
	;; [unrolled: 1-line block ×3, first 2 shown]
	v_cmp_lt_i32_e64 s[12:13], v48, v64
	s_or_b64 s[14:15], s[14:15], s[16:17]
	v_cndmask_b32_e64 v32, v32, v34, s[18:19]
	v_cndmask_b32_e64 v34, v117, v116, s[18:19]
	s_and_b64 s[12:13], s[12:13], s[14:15]
	v_cndmask_b32_e64 v122, v123, v122, s[24:25]
	v_cndmask_b32_e64 v40, v40, v42, s[22:23]
	v_cndmask_b32_e64 v42, v121, v120, s[22:23]
	v_cndmask_b32_e64 v36, v36, v38, s[20:21]
	v_cndmask_b32_e64 v38, v119, v118, s[20:21]
	v_cndmask_b32_e64 v31, v49, v48, s[12:13]
	s_barrier
	ds_write2_b64 v1, v[16:17], v[18:19] offset1:1
	ds_write2_b64 v1, v[10:11], v[14:15] offset0:2 offset1:3
	ds_write2_b64 v1, v[8:9], v[12:13] offset0:4 offset1:5
	;; [unrolled: 1-line block ×3, first 2 shown]
	v_lshlrev_b32_e32 v4, 3, v27
	v_lshlrev_b32_e32 v5, 3, v26
	;; [unrolled: 1-line block ×4, first 2 shown]
	s_waitcnt lgkmcnt(0)
	s_barrier
	ds_read_b64 v[16:17], v4
	ds_read_b64 v[18:19], v5
	;; [unrolled: 1-line block ×4, first 2 shown]
	v_lshlrev_b32_e32 v4, 3, v38
	v_lshlrev_b32_e32 v5, 3, v42
	;; [unrolled: 1-line block ×4, first 2 shown]
	ds_read_b64 v[8:9], v4
	ds_read_b64 v[12:13], v5
	;; [unrolled: 1-line block ×4, first 2 shown]
	v_cndmask_b32_e64 v41, v41, v43, s[22:23]
	v_cndmask_b32_e64 v37, v37, v39, s[20:21]
	;; [unrolled: 1-line block ×5, first 2 shown]
	s_waitcnt lgkmcnt(0)
	s_barrier
	ds_write2_b64 v1, v[20:21], v[24:25] offset1:1
	ds_write2_b64 v1, v[28:29], v[32:33] offset0:2 offset1:3
	ds_write2_b64 v1, v[36:37], v[40:41] offset0:4 offset1:5
	;; [unrolled: 1-line block ×3, first 2 shown]
	v_mov_b32_e32 v24, v86
	s_waitcnt lgkmcnt(0)
	s_barrier
	s_and_saveexec_b64 s[14:15], s[2:3]
	s_cbranch_execz .LBB139_70
; %bb.67:                               ;   in Loop: Header=BB139_2 Depth=1
	s_mov_b64 s[16:17], 0
	v_mov_b32_e32 v24, v86
	v_mov_b32_e32 v20, v82
.LBB139_68:                             ;   Parent Loop BB139_2 Depth=1
                                        ; =>  This Inner Loop Header: Depth=2
	v_sub_u32_e32 v21, v20, v24
	v_lshrrev_b32_e32 v22, 31, v21
	v_add_u32_e32 v21, v21, v22
	v_ashrrev_i32_e32 v21, 1, v21
	v_add_u32_e32 v21, v21, v24
	v_lshl_add_u32 v22, v21, 3, v68
	v_xad_u32 v23, v21, -1, v56
	v_lshl_add_u32 v25, v23, 3, v76
	ds_read_b64 v[22:23], v22
	ds_read_b64 v[26:27], v25
	v_add_u32_e32 v25, 1, v21
	s_waitcnt lgkmcnt(0)
	v_cmp_lt_i64_e64 s[12:13], v[26:27], v[22:23]
	s_nop 1
	v_cndmask_b32_e64 v20, v20, v21, s[12:13]
	v_cndmask_b32_e64 v24, v25, v24, s[12:13]
	v_cmp_ge_i32_e64 s[12:13], v24, v20
	s_or_b64 s[16:17], s[12:13], s[16:17]
	s_andn2_b64 exec, exec, s[16:17]
	s_cbranch_execnz .LBB139_68
; %bb.69:                               ;   in Loop: Header=BB139_2 Depth=1
	s_or_b64 exec, exec, s[16:17]
.LBB139_70:                             ;   in Loop: Header=BB139_2 Depth=1
	s_or_b64 exec, exec, s[14:15]
	v_sub_u32_e32 v110, v77, v24
	v_lshl_add_u32 v26, v24, 3, v68
	v_lshlrev_b32_e32 v28, 3, v110
	ds_read_b64 v[20:21], v26
	ds_read_b64 v[22:23], v28
	v_add_u32_e32 v111, v24, v55
	v_cmp_le_i32_e64 s[14:15], v66, v111
	v_cmp_gt_i32_e64 s[12:13], v67, v110
                                        ; implicit-def: $vgpr24_vgpr25
	s_waitcnt lgkmcnt(0)
	v_cmp_lt_i64_e64 s[16:17], v[22:23], v[20:21]
	s_or_b64 s[14:15], s[14:15], s[16:17]
	s_and_b64 s[12:13], s[12:13], s[14:15]
	s_xor_b64 s[14:15], s[12:13], -1
	s_and_saveexec_b64 s[16:17], s[14:15]
	s_xor_b64 s[14:15], exec, s[16:17]
	s_cbranch_execz .LBB139_72
; %bb.71:                               ;   in Loop: Header=BB139_2 Depth=1
	ds_read_b64 v[24:25], v26 offset:8
                                        ; implicit-def: $vgpr28
.LBB139_72:                             ;   in Loop: Header=BB139_2 Depth=1
	s_or_saveexec_b64 s[14:15], s[14:15]
	v_mov_b64_e32 v[26:27], v[22:23]
	s_xor_b64 exec, exec, s[14:15]
	s_cbranch_execz .LBB139_74
; %bb.73:                               ;   in Loop: Header=BB139_2 Depth=1
	ds_read_b64 v[26:27], v28 offset:8
	s_waitcnt lgkmcnt(1)
	v_mov_b64_e32 v[24:25], v[20:21]
.LBB139_74:                             ;   in Loop: Header=BB139_2 Depth=1
	s_or_b64 exec, exec, s[14:15]
	v_add_u32_e32 v29, 1, v111
	v_add_u32_e32 v28, 1, v110
	v_cndmask_b32_e64 v113, v29, v111, s[12:13]
	v_cndmask_b32_e64 v112, v110, v28, s[12:13]
	v_cmp_ge_i32_e64 s[16:17], v113, v66
	s_waitcnt lgkmcnt(0)
	v_cmp_lt_i64_e64 s[18:19], v[26:27], v[24:25]
	v_cmp_lt_i32_e64 s[14:15], v112, v67
	s_or_b64 s[16:17], s[16:17], s[18:19]
	s_and_b64 s[14:15], s[14:15], s[16:17]
	s_xor_b64 s[16:17], s[14:15], -1
                                        ; implicit-def: $vgpr28_vgpr29
	s_and_saveexec_b64 s[18:19], s[16:17]
	s_xor_b64 s[16:17], exec, s[18:19]
	s_cbranch_execz .LBB139_76
; %bb.75:                               ;   in Loop: Header=BB139_2 Depth=1
	v_lshlrev_b32_e32 v28, 3, v113
	ds_read_b64 v[28:29], v28 offset:8
.LBB139_76:                             ;   in Loop: Header=BB139_2 Depth=1
	s_or_saveexec_b64 s[16:17], s[16:17]
	v_mov_b64_e32 v[30:31], v[26:27]
	s_xor_b64 exec, exec, s[16:17]
	s_cbranch_execz .LBB139_78
; %bb.77:                               ;   in Loop: Header=BB139_2 Depth=1
	s_waitcnt lgkmcnt(0)
	v_lshlrev_b32_e32 v28, 3, v112
	ds_read_b64 v[30:31], v28 offset:8
	v_mov_b64_e32 v[28:29], v[24:25]
.LBB139_78:                             ;   in Loop: Header=BB139_2 Depth=1
	s_or_b64 exec, exec, s[16:17]
	v_add_u32_e32 v33, 1, v113
	v_add_u32_e32 v32, 1, v112
	v_cndmask_b32_e64 v115, v33, v113, s[14:15]
	v_cndmask_b32_e64 v114, v112, v32, s[14:15]
	v_cmp_ge_i32_e64 s[18:19], v115, v66
	s_waitcnt lgkmcnt(0)
	v_cmp_lt_i64_e64 s[20:21], v[30:31], v[28:29]
	v_cmp_lt_i32_e64 s[16:17], v114, v67
	s_or_b64 s[18:19], s[18:19], s[20:21]
	s_and_b64 s[16:17], s[16:17], s[18:19]
	s_xor_b64 s[18:19], s[16:17], -1
                                        ; implicit-def: $vgpr32_vgpr33
	s_and_saveexec_b64 s[20:21], s[18:19]
	s_xor_b64 s[18:19], exec, s[20:21]
	s_cbranch_execz .LBB139_80
; %bb.79:                               ;   in Loop: Header=BB139_2 Depth=1
	v_lshlrev_b32_e32 v32, 3, v115
	ds_read_b64 v[32:33], v32 offset:8
.LBB139_80:                             ;   in Loop: Header=BB139_2 Depth=1
	s_or_saveexec_b64 s[18:19], s[18:19]
	v_mov_b64_e32 v[34:35], v[30:31]
	s_xor_b64 exec, exec, s[18:19]
	s_cbranch_execz .LBB139_82
; %bb.81:                               ;   in Loop: Header=BB139_2 Depth=1
	s_waitcnt lgkmcnt(0)
	v_lshlrev_b32_e32 v32, 3, v114
	ds_read_b64 v[34:35], v32 offset:8
	v_mov_b64_e32 v[32:33], v[28:29]
.LBB139_82:                             ;   in Loop: Header=BB139_2 Depth=1
	s_or_b64 exec, exec, s[18:19]
	v_add_u32_e32 v37, 1, v115
	v_add_u32_e32 v36, 1, v114
	v_cndmask_b32_e64 v117, v37, v115, s[16:17]
	v_cndmask_b32_e64 v116, v114, v36, s[16:17]
	v_cmp_ge_i32_e64 s[20:21], v117, v66
	s_waitcnt lgkmcnt(0)
	v_cmp_lt_i64_e64 s[22:23], v[34:35], v[32:33]
	v_cmp_lt_i32_e64 s[18:19], v116, v67
	s_or_b64 s[20:21], s[20:21], s[22:23]
	s_and_b64 s[18:19], s[18:19], s[20:21]
	s_xor_b64 s[20:21], s[18:19], -1
                                        ; implicit-def: $vgpr36_vgpr37
	s_and_saveexec_b64 s[22:23], s[20:21]
	s_xor_b64 s[20:21], exec, s[22:23]
	s_cbranch_execz .LBB139_84
; %bb.83:                               ;   in Loop: Header=BB139_2 Depth=1
	v_lshlrev_b32_e32 v36, 3, v117
	ds_read_b64 v[36:37], v36 offset:8
.LBB139_84:                             ;   in Loop: Header=BB139_2 Depth=1
	s_or_saveexec_b64 s[20:21], s[20:21]
	v_mov_b64_e32 v[38:39], v[34:35]
	s_xor_b64 exec, exec, s[20:21]
	s_cbranch_execz .LBB139_86
; %bb.85:                               ;   in Loop: Header=BB139_2 Depth=1
	s_waitcnt lgkmcnt(0)
	v_lshlrev_b32_e32 v36, 3, v116
	ds_read_b64 v[38:39], v36 offset:8
	v_mov_b64_e32 v[36:37], v[32:33]
.LBB139_86:                             ;   in Loop: Header=BB139_2 Depth=1
	s_or_b64 exec, exec, s[20:21]
	v_add_u32_e32 v41, 1, v117
	v_add_u32_e32 v40, 1, v116
	v_cndmask_b32_e64 v119, v41, v117, s[18:19]
	v_cndmask_b32_e64 v118, v116, v40, s[18:19]
	v_cmp_ge_i32_e64 s[22:23], v119, v66
	s_waitcnt lgkmcnt(0)
	v_cmp_lt_i64_e64 s[24:25], v[38:39], v[36:37]
	v_cmp_lt_i32_e64 s[20:21], v118, v67
	s_or_b64 s[22:23], s[22:23], s[24:25]
	s_and_b64 s[20:21], s[20:21], s[22:23]
	s_xor_b64 s[22:23], s[20:21], -1
                                        ; implicit-def: $vgpr40_vgpr41
	s_and_saveexec_b64 s[24:25], s[22:23]
	s_xor_b64 s[22:23], exec, s[24:25]
	s_cbranch_execz .LBB139_88
; %bb.87:                               ;   in Loop: Header=BB139_2 Depth=1
	v_lshlrev_b32_e32 v40, 3, v119
	ds_read_b64 v[40:41], v40 offset:8
.LBB139_88:                             ;   in Loop: Header=BB139_2 Depth=1
	s_or_saveexec_b64 s[22:23], s[22:23]
	v_mov_b64_e32 v[42:43], v[38:39]
	s_xor_b64 exec, exec, s[22:23]
	s_cbranch_execz .LBB139_90
; %bb.89:                               ;   in Loop: Header=BB139_2 Depth=1
	s_waitcnt lgkmcnt(0)
	v_lshlrev_b32_e32 v40, 3, v118
	ds_read_b64 v[42:43], v40 offset:8
	v_mov_b64_e32 v[40:41], v[36:37]
.LBB139_90:                             ;   in Loop: Header=BB139_2 Depth=1
	s_or_b64 exec, exec, s[22:23]
	v_add_u32_e32 v45, 1, v119
	v_add_u32_e32 v44, 1, v118
	v_cndmask_b32_e64 v121, v45, v119, s[20:21]
	v_cndmask_b32_e64 v120, v118, v44, s[20:21]
	v_cmp_ge_i32_e64 s[24:25], v121, v66
	s_waitcnt lgkmcnt(0)
	v_cmp_lt_i64_e64 s[26:27], v[42:43], v[40:41]
	v_cmp_lt_i32_e64 s[22:23], v120, v67
	s_or_b64 s[24:25], s[24:25], s[26:27]
	s_and_b64 s[22:23], s[22:23], s[24:25]
	s_xor_b64 s[24:25], s[22:23], -1
                                        ; implicit-def: $vgpr44_vgpr45
	s_and_saveexec_b64 s[26:27], s[24:25]
	s_xor_b64 s[24:25], exec, s[26:27]
	s_cbranch_execz .LBB139_92
; %bb.91:                               ;   in Loop: Header=BB139_2 Depth=1
	v_lshlrev_b32_e32 v44, 3, v121
	ds_read_b64 v[44:45], v44 offset:8
.LBB139_92:                             ;   in Loop: Header=BB139_2 Depth=1
	s_or_saveexec_b64 s[24:25], s[24:25]
	v_mov_b64_e32 v[48:49], v[42:43]
	s_xor_b64 exec, exec, s[24:25]
	s_cbranch_execz .LBB139_94
; %bb.93:                               ;   in Loop: Header=BB139_2 Depth=1
	s_waitcnt lgkmcnt(0)
	v_lshlrev_b32_e32 v44, 3, v120
	ds_read_b64 v[48:49], v44 offset:8
	v_mov_b64_e32 v[44:45], v[40:41]
.LBB139_94:                             ;   in Loop: Header=BB139_2 Depth=1
	s_or_b64 exec, exec, s[24:25]
	v_add_u32_e32 v47, 1, v121
	v_add_u32_e32 v46, 1, v120
	v_cndmask_b32_e64 v123, v47, v121, s[22:23]
	v_cndmask_b32_e64 v122, v120, v46, s[22:23]
	v_cmp_ge_i32_e64 s[26:27], v123, v66
	s_waitcnt lgkmcnt(0)
	v_cmp_lt_i64_e64 s[28:29], v[48:49], v[44:45]
	v_cmp_lt_i32_e64 s[24:25], v122, v67
	s_or_b64 s[26:27], s[26:27], s[28:29]
	s_and_b64 s[24:25], s[24:25], s[26:27]
	s_xor_b64 s[26:27], s[24:25], -1
                                        ; implicit-def: $vgpr46_vgpr47
	s_and_saveexec_b64 s[28:29], s[26:27]
	s_xor_b64 s[26:27], exec, s[28:29]
	s_cbranch_execz .LBB139_96
; %bb.95:                               ;   in Loop: Header=BB139_2 Depth=1
	v_lshlrev_b32_e32 v46, 3, v123
	ds_read_b64 v[46:47], v46 offset:8
.LBB139_96:                             ;   in Loop: Header=BB139_2 Depth=1
	s_or_saveexec_b64 s[26:27], s[26:27]
	v_mov_b64_e32 v[50:51], v[48:49]
	s_xor_b64 exec, exec, s[26:27]
	s_cbranch_execz .LBB139_98
; %bb.97:                               ;   in Loop: Header=BB139_2 Depth=1
	s_waitcnt lgkmcnt(0)
	v_lshlrev_b32_e32 v46, 3, v122
	ds_read_b64 v[50:51], v46 offset:8
	v_mov_b64_e32 v[46:47], v[44:45]
.LBB139_98:                             ;   in Loop: Header=BB139_2 Depth=1
	s_or_b64 exec, exec, s[26:27]
	v_cndmask_b32_e64 v45, v45, v49, s[24:25]
	v_add_u32_e32 v49, 1, v123
	v_cndmask_b32_e64 v44, v44, v48, s[24:25]
	v_add_u32_e32 v48, 1, v122
	v_cndmask_b32_e64 v49, v49, v123, s[24:25]
	v_cndmask_b32_e64 v48, v122, v48, s[24:25]
	;; [unrolled: 1-line block ×8, first 2 shown]
	v_cmp_ge_i32_e64 s[14:15], v49, v66
	s_waitcnt lgkmcnt(0)
	v_cmp_lt_i64_e64 s[16:17], v[50:51], v[46:47]
	v_cndmask_b32_e64 v21, v21, v23, s[12:13]
	v_cndmask_b32_e64 v20, v20, v22, s[12:13]
	;; [unrolled: 1-line block ×3, first 2 shown]
	v_cmp_lt_i32_e64 s[12:13], v48, v67
	s_or_b64 s[14:15], s[14:15], s[16:17]
	v_cndmask_b32_e64 v32, v32, v34, s[18:19]
	v_cndmask_b32_e64 v34, v117, v116, s[18:19]
	s_and_b64 s[12:13], s[12:13], s[14:15]
	v_cndmask_b32_e64 v122, v123, v122, s[24:25]
	v_cndmask_b32_e64 v40, v40, v42, s[22:23]
	;; [unrolled: 1-line block ×6, first 2 shown]
	s_barrier
	ds_write2_b64 v1, v[16:17], v[18:19] offset1:1
	ds_write2_b64 v1, v[10:11], v[14:15] offset0:2 offset1:3
	ds_write2_b64 v1, v[8:9], v[12:13] offset0:4 offset1:5
	ds_write2_b64 v1, v[4:5], v[6:7] offset0:6 offset1:7
	v_lshlrev_b32_e32 v4, 3, v27
	v_lshlrev_b32_e32 v5, 3, v26
	;; [unrolled: 1-line block ×4, first 2 shown]
	s_waitcnt lgkmcnt(0)
	s_barrier
	ds_read_b64 v[16:17], v4
	ds_read_b64 v[18:19], v5
	;; [unrolled: 1-line block ×4, first 2 shown]
	v_lshlrev_b32_e32 v4, 3, v38
	v_lshlrev_b32_e32 v5, 3, v42
	;; [unrolled: 1-line block ×4, first 2 shown]
	ds_read_b64 v[8:9], v4
	ds_read_b64 v[12:13], v5
	;; [unrolled: 1-line block ×4, first 2 shown]
	v_cndmask_b32_e64 v41, v41, v43, s[22:23]
	v_cndmask_b32_e64 v37, v37, v39, s[20:21]
	;; [unrolled: 1-line block ×5, first 2 shown]
	s_waitcnt lgkmcnt(0)
	s_barrier
	ds_write2_b64 v1, v[20:21], v[24:25] offset1:1
	ds_write2_b64 v1, v[28:29], v[32:33] offset0:2 offset1:3
	ds_write2_b64 v1, v[36:37], v[40:41] offset0:4 offset1:5
	;; [unrolled: 1-line block ×3, first 2 shown]
	v_mov_b32_e32 v24, v87
	s_waitcnt lgkmcnt(0)
	s_barrier
	s_and_saveexec_b64 s[14:15], s[4:5]
	s_cbranch_execz .LBB139_102
; %bb.99:                               ;   in Loop: Header=BB139_2 Depth=1
	s_mov_b64 s[16:17], 0
	v_mov_b32_e32 v24, v87
	v_mov_b32_e32 v20, v83
.LBB139_100:                            ;   Parent Loop BB139_2 Depth=1
                                        ; =>  This Inner Loop Header: Depth=2
	v_sub_u32_e32 v21, v20, v24
	v_lshrrev_b32_e32 v22, 31, v21
	v_add_u32_e32 v21, v21, v22
	v_ashrrev_i32_e32 v21, 1, v21
	v_add_u32_e32 v21, v21, v24
	v_lshl_add_u32 v22, v21, 3, v71
	v_xad_u32 v23, v21, -1, v58
	v_lshl_add_u32 v25, v23, 3, v78
	ds_read_b64 v[22:23], v22
	ds_read_b64 v[26:27], v25
	v_add_u32_e32 v25, 1, v21
	s_waitcnt lgkmcnt(0)
	v_cmp_lt_i64_e64 s[12:13], v[26:27], v[22:23]
	s_nop 1
	v_cndmask_b32_e64 v20, v20, v21, s[12:13]
	v_cndmask_b32_e64 v24, v25, v24, s[12:13]
	v_cmp_ge_i32_e64 s[12:13], v24, v20
	s_or_b64 s[16:17], s[12:13], s[16:17]
	s_andn2_b64 exec, exec, s[16:17]
	s_cbranch_execnz .LBB139_100
; %bb.101:                              ;   in Loop: Header=BB139_2 Depth=1
	s_or_b64 exec, exec, s[16:17]
.LBB139_102:                            ;   in Loop: Header=BB139_2 Depth=1
	s_or_b64 exec, exec, s[14:15]
	v_sub_u32_e32 v110, v79, v24
	v_lshl_add_u32 v26, v24, 3, v71
	v_lshlrev_b32_e32 v28, 3, v110
	ds_read_b64 v[20:21], v26
	ds_read_b64 v[22:23], v28
	v_add_u32_e32 v111, v24, v57
	v_cmp_le_i32_e64 s[14:15], v69, v111
	v_cmp_gt_i32_e64 s[12:13], v70, v110
                                        ; implicit-def: $vgpr24_vgpr25
	s_waitcnt lgkmcnt(0)
	v_cmp_lt_i64_e64 s[16:17], v[22:23], v[20:21]
	s_or_b64 s[14:15], s[14:15], s[16:17]
	s_and_b64 s[12:13], s[12:13], s[14:15]
	s_xor_b64 s[14:15], s[12:13], -1
	s_and_saveexec_b64 s[16:17], s[14:15]
	s_xor_b64 s[14:15], exec, s[16:17]
	s_cbranch_execz .LBB139_104
; %bb.103:                              ;   in Loop: Header=BB139_2 Depth=1
	ds_read_b64 v[24:25], v26 offset:8
                                        ; implicit-def: $vgpr28
.LBB139_104:                            ;   in Loop: Header=BB139_2 Depth=1
	s_or_saveexec_b64 s[14:15], s[14:15]
	v_mov_b64_e32 v[26:27], v[22:23]
	s_xor_b64 exec, exec, s[14:15]
	s_cbranch_execz .LBB139_106
; %bb.105:                              ;   in Loop: Header=BB139_2 Depth=1
	ds_read_b64 v[26:27], v28 offset:8
	s_waitcnt lgkmcnt(1)
	v_mov_b64_e32 v[24:25], v[20:21]
.LBB139_106:                            ;   in Loop: Header=BB139_2 Depth=1
	s_or_b64 exec, exec, s[14:15]
	v_add_u32_e32 v29, 1, v111
	v_add_u32_e32 v28, 1, v110
	v_cndmask_b32_e64 v113, v29, v111, s[12:13]
	v_cndmask_b32_e64 v112, v110, v28, s[12:13]
	v_cmp_ge_i32_e64 s[16:17], v113, v69
	s_waitcnt lgkmcnt(0)
	v_cmp_lt_i64_e64 s[18:19], v[26:27], v[24:25]
	v_cmp_lt_i32_e64 s[14:15], v112, v70
	s_or_b64 s[16:17], s[16:17], s[18:19]
	s_and_b64 s[14:15], s[14:15], s[16:17]
	s_xor_b64 s[16:17], s[14:15], -1
                                        ; implicit-def: $vgpr28_vgpr29
	s_and_saveexec_b64 s[18:19], s[16:17]
	s_xor_b64 s[16:17], exec, s[18:19]
	s_cbranch_execz .LBB139_108
; %bb.107:                              ;   in Loop: Header=BB139_2 Depth=1
	v_lshlrev_b32_e32 v28, 3, v113
	ds_read_b64 v[28:29], v28 offset:8
.LBB139_108:                            ;   in Loop: Header=BB139_2 Depth=1
	s_or_saveexec_b64 s[16:17], s[16:17]
	v_mov_b64_e32 v[30:31], v[26:27]
	s_xor_b64 exec, exec, s[16:17]
	s_cbranch_execz .LBB139_110
; %bb.109:                              ;   in Loop: Header=BB139_2 Depth=1
	s_waitcnt lgkmcnt(0)
	v_lshlrev_b32_e32 v28, 3, v112
	ds_read_b64 v[30:31], v28 offset:8
	v_mov_b64_e32 v[28:29], v[24:25]
.LBB139_110:                            ;   in Loop: Header=BB139_2 Depth=1
	s_or_b64 exec, exec, s[16:17]
	v_add_u32_e32 v33, 1, v113
	v_add_u32_e32 v32, 1, v112
	v_cndmask_b32_e64 v115, v33, v113, s[14:15]
	v_cndmask_b32_e64 v114, v112, v32, s[14:15]
	v_cmp_ge_i32_e64 s[18:19], v115, v69
	s_waitcnt lgkmcnt(0)
	v_cmp_lt_i64_e64 s[20:21], v[30:31], v[28:29]
	v_cmp_lt_i32_e64 s[16:17], v114, v70
	s_or_b64 s[18:19], s[18:19], s[20:21]
	s_and_b64 s[16:17], s[16:17], s[18:19]
	s_xor_b64 s[18:19], s[16:17], -1
                                        ; implicit-def: $vgpr32_vgpr33
	s_and_saveexec_b64 s[20:21], s[18:19]
	s_xor_b64 s[18:19], exec, s[20:21]
	s_cbranch_execz .LBB139_112
; %bb.111:                              ;   in Loop: Header=BB139_2 Depth=1
	v_lshlrev_b32_e32 v32, 3, v115
	ds_read_b64 v[32:33], v32 offset:8
.LBB139_112:                            ;   in Loop: Header=BB139_2 Depth=1
	s_or_saveexec_b64 s[18:19], s[18:19]
	v_mov_b64_e32 v[34:35], v[30:31]
	s_xor_b64 exec, exec, s[18:19]
	s_cbranch_execz .LBB139_114
; %bb.113:                              ;   in Loop: Header=BB139_2 Depth=1
	s_waitcnt lgkmcnt(0)
	v_lshlrev_b32_e32 v32, 3, v114
	ds_read_b64 v[34:35], v32 offset:8
	v_mov_b64_e32 v[32:33], v[28:29]
.LBB139_114:                            ;   in Loop: Header=BB139_2 Depth=1
	s_or_b64 exec, exec, s[18:19]
	v_add_u32_e32 v37, 1, v115
	v_add_u32_e32 v36, 1, v114
	v_cndmask_b32_e64 v117, v37, v115, s[16:17]
	v_cndmask_b32_e64 v116, v114, v36, s[16:17]
	v_cmp_ge_i32_e64 s[20:21], v117, v69
	s_waitcnt lgkmcnt(0)
	v_cmp_lt_i64_e64 s[22:23], v[34:35], v[32:33]
	v_cmp_lt_i32_e64 s[18:19], v116, v70
	s_or_b64 s[20:21], s[20:21], s[22:23]
	s_and_b64 s[18:19], s[18:19], s[20:21]
	s_xor_b64 s[20:21], s[18:19], -1
                                        ; implicit-def: $vgpr36_vgpr37
	s_and_saveexec_b64 s[22:23], s[20:21]
	s_xor_b64 s[20:21], exec, s[22:23]
	s_cbranch_execz .LBB139_116
; %bb.115:                              ;   in Loop: Header=BB139_2 Depth=1
	v_lshlrev_b32_e32 v36, 3, v117
	ds_read_b64 v[36:37], v36 offset:8
.LBB139_116:                            ;   in Loop: Header=BB139_2 Depth=1
	s_or_saveexec_b64 s[20:21], s[20:21]
	v_mov_b64_e32 v[38:39], v[34:35]
	s_xor_b64 exec, exec, s[20:21]
	s_cbranch_execz .LBB139_118
; %bb.117:                              ;   in Loop: Header=BB139_2 Depth=1
	s_waitcnt lgkmcnt(0)
	v_lshlrev_b32_e32 v36, 3, v116
	ds_read_b64 v[38:39], v36 offset:8
	v_mov_b64_e32 v[36:37], v[32:33]
.LBB139_118:                            ;   in Loop: Header=BB139_2 Depth=1
	s_or_b64 exec, exec, s[20:21]
	v_add_u32_e32 v41, 1, v117
	v_add_u32_e32 v40, 1, v116
	v_cndmask_b32_e64 v119, v41, v117, s[18:19]
	v_cndmask_b32_e64 v118, v116, v40, s[18:19]
	v_cmp_ge_i32_e64 s[22:23], v119, v69
	s_waitcnt lgkmcnt(0)
	v_cmp_lt_i64_e64 s[24:25], v[38:39], v[36:37]
	v_cmp_lt_i32_e64 s[20:21], v118, v70
	s_or_b64 s[22:23], s[22:23], s[24:25]
	s_and_b64 s[20:21], s[20:21], s[22:23]
	s_xor_b64 s[22:23], s[20:21], -1
                                        ; implicit-def: $vgpr40_vgpr41
	s_and_saveexec_b64 s[24:25], s[22:23]
	s_xor_b64 s[22:23], exec, s[24:25]
	s_cbranch_execz .LBB139_120
; %bb.119:                              ;   in Loop: Header=BB139_2 Depth=1
	v_lshlrev_b32_e32 v40, 3, v119
	ds_read_b64 v[40:41], v40 offset:8
.LBB139_120:                            ;   in Loop: Header=BB139_2 Depth=1
	s_or_saveexec_b64 s[22:23], s[22:23]
	v_mov_b64_e32 v[42:43], v[38:39]
	s_xor_b64 exec, exec, s[22:23]
	s_cbranch_execz .LBB139_122
; %bb.121:                              ;   in Loop: Header=BB139_2 Depth=1
	s_waitcnt lgkmcnt(0)
	v_lshlrev_b32_e32 v40, 3, v118
	ds_read_b64 v[42:43], v40 offset:8
	v_mov_b64_e32 v[40:41], v[36:37]
.LBB139_122:                            ;   in Loop: Header=BB139_2 Depth=1
	s_or_b64 exec, exec, s[22:23]
	v_add_u32_e32 v45, 1, v119
	v_add_u32_e32 v44, 1, v118
	v_cndmask_b32_e64 v121, v45, v119, s[20:21]
	v_cndmask_b32_e64 v120, v118, v44, s[20:21]
	v_cmp_ge_i32_e64 s[24:25], v121, v69
	s_waitcnt lgkmcnt(0)
	v_cmp_lt_i64_e64 s[26:27], v[42:43], v[40:41]
	v_cmp_lt_i32_e64 s[22:23], v120, v70
	s_or_b64 s[24:25], s[24:25], s[26:27]
	s_and_b64 s[22:23], s[22:23], s[24:25]
	s_xor_b64 s[24:25], s[22:23], -1
                                        ; implicit-def: $vgpr44_vgpr45
	s_and_saveexec_b64 s[26:27], s[24:25]
	s_xor_b64 s[24:25], exec, s[26:27]
	s_cbranch_execz .LBB139_124
; %bb.123:                              ;   in Loop: Header=BB139_2 Depth=1
	v_lshlrev_b32_e32 v44, 3, v121
	ds_read_b64 v[44:45], v44 offset:8
.LBB139_124:                            ;   in Loop: Header=BB139_2 Depth=1
	s_or_saveexec_b64 s[24:25], s[24:25]
	v_mov_b64_e32 v[48:49], v[42:43]
	s_xor_b64 exec, exec, s[24:25]
	s_cbranch_execz .LBB139_126
; %bb.125:                              ;   in Loop: Header=BB139_2 Depth=1
	s_waitcnt lgkmcnt(0)
	v_lshlrev_b32_e32 v44, 3, v120
	ds_read_b64 v[48:49], v44 offset:8
	v_mov_b64_e32 v[44:45], v[40:41]
.LBB139_126:                            ;   in Loop: Header=BB139_2 Depth=1
	s_or_b64 exec, exec, s[24:25]
	v_add_u32_e32 v47, 1, v121
	v_add_u32_e32 v46, 1, v120
	v_cndmask_b32_e64 v123, v47, v121, s[22:23]
	v_cndmask_b32_e64 v122, v120, v46, s[22:23]
	v_cmp_ge_i32_e64 s[26:27], v123, v69
	s_waitcnt lgkmcnt(0)
	v_cmp_lt_i64_e64 s[28:29], v[48:49], v[44:45]
	v_cmp_lt_i32_e64 s[24:25], v122, v70
	s_or_b64 s[26:27], s[26:27], s[28:29]
	s_and_b64 s[24:25], s[24:25], s[26:27]
	s_xor_b64 s[26:27], s[24:25], -1
                                        ; implicit-def: $vgpr46_vgpr47
	s_and_saveexec_b64 s[28:29], s[26:27]
	s_xor_b64 s[26:27], exec, s[28:29]
	s_cbranch_execz .LBB139_128
; %bb.127:                              ;   in Loop: Header=BB139_2 Depth=1
	v_lshlrev_b32_e32 v46, 3, v123
	ds_read_b64 v[46:47], v46 offset:8
.LBB139_128:                            ;   in Loop: Header=BB139_2 Depth=1
	s_or_saveexec_b64 s[26:27], s[26:27]
	v_mov_b64_e32 v[50:51], v[48:49]
	s_xor_b64 exec, exec, s[26:27]
	s_cbranch_execz .LBB139_130
; %bb.129:                              ;   in Loop: Header=BB139_2 Depth=1
	s_waitcnt lgkmcnt(0)
	v_lshlrev_b32_e32 v46, 3, v122
	ds_read_b64 v[50:51], v46 offset:8
	v_mov_b64_e32 v[46:47], v[44:45]
.LBB139_130:                            ;   in Loop: Header=BB139_2 Depth=1
	s_or_b64 exec, exec, s[26:27]
	v_cndmask_b32_e64 v45, v45, v49, s[24:25]
	v_add_u32_e32 v49, 1, v123
	v_cndmask_b32_e64 v44, v44, v48, s[24:25]
	v_add_u32_e32 v48, 1, v122
	v_cndmask_b32_e64 v49, v49, v123, s[24:25]
	v_cndmask_b32_e64 v48, v122, v48, s[24:25]
	;; [unrolled: 1-line block ×8, first 2 shown]
	v_cmp_ge_i32_e64 s[14:15], v49, v69
	s_waitcnt lgkmcnt(0)
	v_cmp_lt_i64_e64 s[16:17], v[50:51], v[46:47]
	v_cndmask_b32_e64 v21, v21, v23, s[12:13]
	v_cndmask_b32_e64 v20, v20, v22, s[12:13]
	;; [unrolled: 1-line block ×3, first 2 shown]
	v_cmp_lt_i32_e64 s[12:13], v48, v70
	s_or_b64 s[14:15], s[14:15], s[16:17]
	v_cndmask_b32_e64 v32, v32, v34, s[18:19]
	v_cndmask_b32_e64 v34, v117, v116, s[18:19]
	s_and_b64 s[12:13], s[12:13], s[14:15]
	v_cndmask_b32_e64 v122, v123, v122, s[24:25]
	v_cndmask_b32_e64 v40, v40, v42, s[22:23]
	;; [unrolled: 1-line block ×6, first 2 shown]
	s_barrier
	ds_write2_b64 v1, v[16:17], v[18:19] offset1:1
	ds_write2_b64 v1, v[10:11], v[14:15] offset0:2 offset1:3
	ds_write2_b64 v1, v[8:9], v[12:13] offset0:4 offset1:5
	;; [unrolled: 1-line block ×3, first 2 shown]
	v_lshlrev_b32_e32 v4, 3, v27
	v_lshlrev_b32_e32 v5, 3, v26
	;; [unrolled: 1-line block ×4, first 2 shown]
	s_waitcnt lgkmcnt(0)
	s_barrier
	ds_read_b64 v[16:17], v4
	ds_read_b64 v[18:19], v5
	;; [unrolled: 1-line block ×4, first 2 shown]
	v_lshlrev_b32_e32 v4, 3, v38
	v_lshlrev_b32_e32 v5, 3, v42
	;; [unrolled: 1-line block ×4, first 2 shown]
	ds_read_b64 v[8:9], v4
	ds_read_b64 v[12:13], v5
	;; [unrolled: 1-line block ×4, first 2 shown]
	v_cndmask_b32_e64 v41, v41, v43, s[22:23]
	v_cndmask_b32_e64 v37, v37, v39, s[20:21]
	v_cndmask_b32_e64 v33, v33, v35, s[18:19]
	v_cndmask_b32_e64 v23, v47, v51, s[12:13]
	v_cndmask_b32_e64 v22, v46, v50, s[12:13]
	s_waitcnt lgkmcnt(0)
	s_barrier
	ds_write2_b64 v1, v[20:21], v[24:25] offset1:1
	ds_write2_b64 v1, v[28:29], v[32:33] offset0:2 offset1:3
	ds_write2_b64 v1, v[36:37], v[40:41] offset0:4 offset1:5
	;; [unrolled: 1-line block ×3, first 2 shown]
	v_mov_b32_e32 v24, v93
	s_waitcnt lgkmcnt(0)
	s_barrier
	s_and_saveexec_b64 s[14:15], s[6:7]
	s_cbranch_execz .LBB139_134
; %bb.131:                              ;   in Loop: Header=BB139_2 Depth=1
	s_mov_b64 s[16:17], 0
	v_mov_b32_e32 v24, v93
	v_mov_b32_e32 v20, v94
.LBB139_132:                            ;   Parent Loop BB139_2 Depth=1
                                        ; =>  This Inner Loop Header: Depth=2
	v_sub_u32_e32 v21, v20, v24
	v_lshrrev_b32_e32 v22, 31, v21
	v_add_u32_e32 v21, v21, v22
	v_ashrrev_i32_e32 v21, 1, v21
	v_add_u32_e32 v21, v21, v24
	v_lshl_add_u32 v22, v21, 3, v91
	v_xad_u32 v23, v21, -1, v88
	v_lshl_add_u32 v25, v23, 3, v92
	ds_read_b64 v[22:23], v22
	ds_read_b64 v[26:27], v25
	v_add_u32_e32 v25, 1, v21
	s_waitcnt lgkmcnt(0)
	v_cmp_lt_i64_e64 s[12:13], v[26:27], v[22:23]
	s_nop 1
	v_cndmask_b32_e64 v20, v20, v21, s[12:13]
	v_cndmask_b32_e64 v24, v25, v24, s[12:13]
	v_cmp_ge_i32_e64 s[12:13], v24, v20
	s_or_b64 s[16:17], s[12:13], s[16:17]
	s_andn2_b64 exec, exec, s[16:17]
	s_cbranch_execnz .LBB139_132
; %bb.133:                              ;   in Loop: Header=BB139_2 Depth=1
	s_or_b64 exec, exec, s[16:17]
.LBB139_134:                            ;   in Loop: Header=BB139_2 Depth=1
	s_or_b64 exec, exec, s[14:15]
	v_sub_u32_e32 v110, v95, v24
	v_lshl_add_u32 v26, v24, 3, v91
	v_lshlrev_b32_e32 v28, 3, v110
	ds_read_b64 v[20:21], v26
	ds_read_b64 v[22:23], v28
	v_add_u32_e32 v111, v24, v59
	v_cmp_le_i32_e64 s[14:15], v89, v111
	v_cmp_gt_i32_e64 s[12:13], v90, v110
                                        ; implicit-def: $vgpr24_vgpr25
	s_waitcnt lgkmcnt(0)
	v_cmp_lt_i64_e64 s[16:17], v[22:23], v[20:21]
	s_or_b64 s[14:15], s[14:15], s[16:17]
	s_and_b64 s[12:13], s[12:13], s[14:15]
	s_xor_b64 s[14:15], s[12:13], -1
	s_and_saveexec_b64 s[16:17], s[14:15]
	s_xor_b64 s[14:15], exec, s[16:17]
	s_cbranch_execz .LBB139_136
; %bb.135:                              ;   in Loop: Header=BB139_2 Depth=1
	ds_read_b64 v[24:25], v26 offset:8
                                        ; implicit-def: $vgpr28
.LBB139_136:                            ;   in Loop: Header=BB139_2 Depth=1
	s_or_saveexec_b64 s[14:15], s[14:15]
	v_mov_b64_e32 v[26:27], v[22:23]
	s_xor_b64 exec, exec, s[14:15]
	s_cbranch_execz .LBB139_138
; %bb.137:                              ;   in Loop: Header=BB139_2 Depth=1
	ds_read_b64 v[26:27], v28 offset:8
	s_waitcnt lgkmcnt(1)
	v_mov_b64_e32 v[24:25], v[20:21]
.LBB139_138:                            ;   in Loop: Header=BB139_2 Depth=1
	s_or_b64 exec, exec, s[14:15]
	v_add_u32_e32 v29, 1, v111
	v_add_u32_e32 v28, 1, v110
	v_cndmask_b32_e64 v113, v29, v111, s[12:13]
	v_cndmask_b32_e64 v112, v110, v28, s[12:13]
	v_cmp_ge_i32_e64 s[16:17], v113, v89
	s_waitcnt lgkmcnt(0)
	v_cmp_lt_i64_e64 s[18:19], v[26:27], v[24:25]
	v_cmp_lt_i32_e64 s[14:15], v112, v90
	s_or_b64 s[16:17], s[16:17], s[18:19]
	s_and_b64 s[14:15], s[14:15], s[16:17]
	s_xor_b64 s[16:17], s[14:15], -1
                                        ; implicit-def: $vgpr28_vgpr29
	s_and_saveexec_b64 s[18:19], s[16:17]
	s_xor_b64 s[16:17], exec, s[18:19]
	s_cbranch_execz .LBB139_140
; %bb.139:                              ;   in Loop: Header=BB139_2 Depth=1
	v_lshlrev_b32_e32 v28, 3, v113
	ds_read_b64 v[28:29], v28 offset:8
.LBB139_140:                            ;   in Loop: Header=BB139_2 Depth=1
	s_or_saveexec_b64 s[16:17], s[16:17]
	v_mov_b64_e32 v[30:31], v[26:27]
	s_xor_b64 exec, exec, s[16:17]
	s_cbranch_execz .LBB139_142
; %bb.141:                              ;   in Loop: Header=BB139_2 Depth=1
	s_waitcnt lgkmcnt(0)
	v_lshlrev_b32_e32 v28, 3, v112
	ds_read_b64 v[30:31], v28 offset:8
	v_mov_b64_e32 v[28:29], v[24:25]
.LBB139_142:                            ;   in Loop: Header=BB139_2 Depth=1
	s_or_b64 exec, exec, s[16:17]
	v_add_u32_e32 v33, 1, v113
	v_add_u32_e32 v32, 1, v112
	v_cndmask_b32_e64 v115, v33, v113, s[14:15]
	v_cndmask_b32_e64 v114, v112, v32, s[14:15]
	v_cmp_ge_i32_e64 s[18:19], v115, v89
	s_waitcnt lgkmcnt(0)
	v_cmp_lt_i64_e64 s[20:21], v[30:31], v[28:29]
	v_cmp_lt_i32_e64 s[16:17], v114, v90
	s_or_b64 s[18:19], s[18:19], s[20:21]
	s_and_b64 s[16:17], s[16:17], s[18:19]
	s_xor_b64 s[18:19], s[16:17], -1
                                        ; implicit-def: $vgpr32_vgpr33
	s_and_saveexec_b64 s[20:21], s[18:19]
	s_xor_b64 s[18:19], exec, s[20:21]
	s_cbranch_execz .LBB139_144
; %bb.143:                              ;   in Loop: Header=BB139_2 Depth=1
	v_lshlrev_b32_e32 v32, 3, v115
	ds_read_b64 v[32:33], v32 offset:8
.LBB139_144:                            ;   in Loop: Header=BB139_2 Depth=1
	s_or_saveexec_b64 s[18:19], s[18:19]
	v_mov_b64_e32 v[34:35], v[30:31]
	s_xor_b64 exec, exec, s[18:19]
	s_cbranch_execz .LBB139_146
; %bb.145:                              ;   in Loop: Header=BB139_2 Depth=1
	s_waitcnt lgkmcnt(0)
	v_lshlrev_b32_e32 v32, 3, v114
	ds_read_b64 v[34:35], v32 offset:8
	v_mov_b64_e32 v[32:33], v[28:29]
.LBB139_146:                            ;   in Loop: Header=BB139_2 Depth=1
	s_or_b64 exec, exec, s[18:19]
	v_add_u32_e32 v37, 1, v115
	v_add_u32_e32 v36, 1, v114
	v_cndmask_b32_e64 v117, v37, v115, s[16:17]
	v_cndmask_b32_e64 v116, v114, v36, s[16:17]
	v_cmp_ge_i32_e64 s[20:21], v117, v89
	s_waitcnt lgkmcnt(0)
	v_cmp_lt_i64_e64 s[22:23], v[34:35], v[32:33]
	v_cmp_lt_i32_e64 s[18:19], v116, v90
	s_or_b64 s[20:21], s[20:21], s[22:23]
	s_and_b64 s[18:19], s[18:19], s[20:21]
	s_xor_b64 s[20:21], s[18:19], -1
                                        ; implicit-def: $vgpr36_vgpr37
	s_and_saveexec_b64 s[22:23], s[20:21]
	s_xor_b64 s[20:21], exec, s[22:23]
	s_cbranch_execz .LBB139_148
; %bb.147:                              ;   in Loop: Header=BB139_2 Depth=1
	v_lshlrev_b32_e32 v36, 3, v117
	ds_read_b64 v[36:37], v36 offset:8
.LBB139_148:                            ;   in Loop: Header=BB139_2 Depth=1
	s_or_saveexec_b64 s[20:21], s[20:21]
	v_mov_b64_e32 v[38:39], v[34:35]
	s_xor_b64 exec, exec, s[20:21]
	s_cbranch_execz .LBB139_150
; %bb.149:                              ;   in Loop: Header=BB139_2 Depth=1
	s_waitcnt lgkmcnt(0)
	v_lshlrev_b32_e32 v36, 3, v116
	ds_read_b64 v[38:39], v36 offset:8
	v_mov_b64_e32 v[36:37], v[32:33]
.LBB139_150:                            ;   in Loop: Header=BB139_2 Depth=1
	s_or_b64 exec, exec, s[20:21]
	v_add_u32_e32 v41, 1, v117
	v_add_u32_e32 v40, 1, v116
	v_cndmask_b32_e64 v119, v41, v117, s[18:19]
	v_cndmask_b32_e64 v118, v116, v40, s[18:19]
	v_cmp_ge_i32_e64 s[22:23], v119, v89
	s_waitcnt lgkmcnt(0)
	v_cmp_lt_i64_e64 s[24:25], v[38:39], v[36:37]
	v_cmp_lt_i32_e64 s[20:21], v118, v90
	s_or_b64 s[22:23], s[22:23], s[24:25]
	s_and_b64 s[20:21], s[20:21], s[22:23]
	s_xor_b64 s[22:23], s[20:21], -1
                                        ; implicit-def: $vgpr40_vgpr41
	s_and_saveexec_b64 s[24:25], s[22:23]
	s_xor_b64 s[22:23], exec, s[24:25]
	s_cbranch_execz .LBB139_152
; %bb.151:                              ;   in Loop: Header=BB139_2 Depth=1
	v_lshlrev_b32_e32 v40, 3, v119
	ds_read_b64 v[40:41], v40 offset:8
.LBB139_152:                            ;   in Loop: Header=BB139_2 Depth=1
	s_or_saveexec_b64 s[22:23], s[22:23]
	v_mov_b64_e32 v[42:43], v[38:39]
	s_xor_b64 exec, exec, s[22:23]
	s_cbranch_execz .LBB139_154
; %bb.153:                              ;   in Loop: Header=BB139_2 Depth=1
	s_waitcnt lgkmcnt(0)
	v_lshlrev_b32_e32 v40, 3, v118
	ds_read_b64 v[42:43], v40 offset:8
	v_mov_b64_e32 v[40:41], v[36:37]
.LBB139_154:                            ;   in Loop: Header=BB139_2 Depth=1
	s_or_b64 exec, exec, s[22:23]
	v_add_u32_e32 v45, 1, v119
	v_add_u32_e32 v44, 1, v118
	v_cndmask_b32_e64 v121, v45, v119, s[20:21]
	v_cndmask_b32_e64 v120, v118, v44, s[20:21]
	v_cmp_ge_i32_e64 s[24:25], v121, v89
	s_waitcnt lgkmcnt(0)
	v_cmp_lt_i64_e64 s[26:27], v[42:43], v[40:41]
	v_cmp_lt_i32_e64 s[22:23], v120, v90
	s_or_b64 s[24:25], s[24:25], s[26:27]
	s_and_b64 s[22:23], s[22:23], s[24:25]
	s_xor_b64 s[24:25], s[22:23], -1
                                        ; implicit-def: $vgpr44_vgpr45
	s_and_saveexec_b64 s[26:27], s[24:25]
	s_xor_b64 s[24:25], exec, s[26:27]
	s_cbranch_execz .LBB139_156
; %bb.155:                              ;   in Loop: Header=BB139_2 Depth=1
	v_lshlrev_b32_e32 v44, 3, v121
	ds_read_b64 v[44:45], v44 offset:8
.LBB139_156:                            ;   in Loop: Header=BB139_2 Depth=1
	s_or_saveexec_b64 s[24:25], s[24:25]
	v_mov_b64_e32 v[48:49], v[42:43]
	s_xor_b64 exec, exec, s[24:25]
	s_cbranch_execz .LBB139_158
; %bb.157:                              ;   in Loop: Header=BB139_2 Depth=1
	s_waitcnt lgkmcnt(0)
	v_lshlrev_b32_e32 v44, 3, v120
	ds_read_b64 v[48:49], v44 offset:8
	v_mov_b64_e32 v[44:45], v[40:41]
.LBB139_158:                            ;   in Loop: Header=BB139_2 Depth=1
	s_or_b64 exec, exec, s[24:25]
	v_add_u32_e32 v47, 1, v121
	v_add_u32_e32 v46, 1, v120
	v_cndmask_b32_e64 v123, v47, v121, s[22:23]
	v_cndmask_b32_e64 v122, v120, v46, s[22:23]
	v_cmp_ge_i32_e64 s[26:27], v123, v89
	s_waitcnt lgkmcnt(0)
	v_cmp_lt_i64_e64 s[28:29], v[48:49], v[44:45]
	v_cmp_lt_i32_e64 s[24:25], v122, v90
	s_or_b64 s[26:27], s[26:27], s[28:29]
	s_and_b64 s[24:25], s[24:25], s[26:27]
	s_xor_b64 s[26:27], s[24:25], -1
                                        ; implicit-def: $vgpr46_vgpr47
	s_and_saveexec_b64 s[28:29], s[26:27]
	s_xor_b64 s[26:27], exec, s[28:29]
	s_cbranch_execz .LBB139_160
; %bb.159:                              ;   in Loop: Header=BB139_2 Depth=1
	v_lshlrev_b32_e32 v46, 3, v123
	ds_read_b64 v[46:47], v46 offset:8
.LBB139_160:                            ;   in Loop: Header=BB139_2 Depth=1
	s_or_saveexec_b64 s[26:27], s[26:27]
	v_mov_b64_e32 v[50:51], v[48:49]
	s_xor_b64 exec, exec, s[26:27]
	s_cbranch_execz .LBB139_162
; %bb.161:                              ;   in Loop: Header=BB139_2 Depth=1
	s_waitcnt lgkmcnt(0)
	v_lshlrev_b32_e32 v46, 3, v122
	ds_read_b64 v[50:51], v46 offset:8
	v_mov_b64_e32 v[46:47], v[44:45]
.LBB139_162:                            ;   in Loop: Header=BB139_2 Depth=1
	s_or_b64 exec, exec, s[26:27]
	v_cndmask_b32_e64 v45, v45, v49, s[24:25]
	v_add_u32_e32 v49, 1, v123
	v_cndmask_b32_e64 v44, v44, v48, s[24:25]
	v_add_u32_e32 v48, 1, v122
	v_cndmask_b32_e64 v49, v49, v123, s[24:25]
	v_cndmask_b32_e64 v48, v122, v48, s[24:25]
	;; [unrolled: 1-line block ×8, first 2 shown]
	v_cmp_ge_i32_e64 s[14:15], v49, v89
	s_waitcnt lgkmcnt(0)
	v_cmp_lt_i64_e64 s[16:17], v[50:51], v[46:47]
	v_cndmask_b32_e64 v21, v21, v23, s[12:13]
	v_cndmask_b32_e64 v20, v20, v22, s[12:13]
	;; [unrolled: 1-line block ×3, first 2 shown]
	v_cmp_lt_i32_e64 s[12:13], v48, v90
	s_or_b64 s[14:15], s[14:15], s[16:17]
	v_cndmask_b32_e64 v32, v32, v34, s[18:19]
	v_cndmask_b32_e64 v34, v117, v116, s[18:19]
	s_and_b64 s[12:13], s[12:13], s[14:15]
	v_cndmask_b32_e64 v122, v123, v122, s[24:25]
	v_cndmask_b32_e64 v40, v40, v42, s[22:23]
	;; [unrolled: 1-line block ×6, first 2 shown]
	s_barrier
	ds_write2_b64 v1, v[16:17], v[18:19] offset1:1
	ds_write2_b64 v1, v[10:11], v[14:15] offset0:2 offset1:3
	ds_write2_b64 v1, v[8:9], v[12:13] offset0:4 offset1:5
	;; [unrolled: 1-line block ×3, first 2 shown]
	v_lshlrev_b32_e32 v4, 3, v27
	v_lshlrev_b32_e32 v5, 3, v26
	;; [unrolled: 1-line block ×4, first 2 shown]
	s_waitcnt lgkmcnt(0)
	s_barrier
	ds_read_b64 v[16:17], v4
	ds_read_b64 v[18:19], v5
	;; [unrolled: 1-line block ×4, first 2 shown]
	v_lshlrev_b32_e32 v4, 3, v38
	v_lshlrev_b32_e32 v5, 3, v42
	;; [unrolled: 1-line block ×4, first 2 shown]
	ds_read_b64 v[8:9], v4
	ds_read_b64 v[12:13], v5
	;; [unrolled: 1-line block ×4, first 2 shown]
	v_cndmask_b32_e64 v41, v41, v43, s[22:23]
	v_cndmask_b32_e64 v37, v37, v39, s[20:21]
	;; [unrolled: 1-line block ×5, first 2 shown]
	s_waitcnt lgkmcnt(0)
	s_barrier
	ds_write2_b64 v1, v[20:21], v[24:25] offset1:1
	ds_write2_b64 v1, v[28:29], v[32:33] offset0:2 offset1:3
	ds_write2_b64 v1, v[36:37], v[40:41] offset0:4 offset1:5
	;; [unrolled: 1-line block ×3, first 2 shown]
	v_mov_b32_e32 v24, v103
	s_waitcnt lgkmcnt(0)
	s_barrier
	s_and_saveexec_b64 s[14:15], s[8:9]
	s_cbranch_execz .LBB139_166
; %bb.163:                              ;   in Loop: Header=BB139_2 Depth=1
	s_mov_b64 s[16:17], 0
	v_mov_b32_e32 v24, v103
	v_mov_b32_e32 v20, v104
.LBB139_164:                            ;   Parent Loop BB139_2 Depth=1
                                        ; =>  This Inner Loop Header: Depth=2
	v_sub_u32_e32 v21, v20, v24
	v_lshrrev_b32_e32 v22, 31, v21
	v_add_u32_e32 v21, v21, v22
	v_ashrrev_i32_e32 v21, 1, v21
	v_add_u32_e32 v21, v21, v24
	v_lshl_add_u32 v22, v21, 3, v101
	v_xad_u32 v23, v21, -1, v98
	v_lshl_add_u32 v25, v23, 3, v102
	ds_read_b64 v[22:23], v22
	ds_read_b64 v[26:27], v25
	v_add_u32_e32 v25, 1, v21
	s_waitcnt lgkmcnt(0)
	v_cmp_lt_i64_e64 s[12:13], v[26:27], v[22:23]
	s_nop 1
	v_cndmask_b32_e64 v20, v20, v21, s[12:13]
	v_cndmask_b32_e64 v24, v25, v24, s[12:13]
	v_cmp_ge_i32_e64 s[12:13], v24, v20
	s_or_b64 s[16:17], s[12:13], s[16:17]
	s_andn2_b64 exec, exec, s[16:17]
	s_cbranch_execnz .LBB139_164
; %bb.165:                              ;   in Loop: Header=BB139_2 Depth=1
	s_or_b64 exec, exec, s[16:17]
.LBB139_166:                            ;   in Loop: Header=BB139_2 Depth=1
	s_or_b64 exec, exec, s[14:15]
	v_sub_u32_e32 v110, v105, v24
	v_lshl_add_u32 v26, v24, 3, v101
	v_lshlrev_b32_e32 v28, 3, v110
	ds_read_b64 v[20:21], v26
	ds_read_b64 v[22:23], v28
	v_add_u32_e32 v111, v24, v97
	v_cmp_le_i32_e64 s[14:15], v99, v111
	v_cmp_gt_i32_e64 s[12:13], v100, v110
                                        ; implicit-def: $vgpr24_vgpr25
	s_waitcnt lgkmcnt(0)
	v_cmp_lt_i64_e64 s[16:17], v[22:23], v[20:21]
	s_or_b64 s[14:15], s[14:15], s[16:17]
	s_and_b64 s[12:13], s[12:13], s[14:15]
	s_xor_b64 s[14:15], s[12:13], -1
	s_and_saveexec_b64 s[16:17], s[14:15]
	s_xor_b64 s[14:15], exec, s[16:17]
	s_cbranch_execz .LBB139_168
; %bb.167:                              ;   in Loop: Header=BB139_2 Depth=1
	ds_read_b64 v[24:25], v26 offset:8
                                        ; implicit-def: $vgpr28
.LBB139_168:                            ;   in Loop: Header=BB139_2 Depth=1
	s_or_saveexec_b64 s[14:15], s[14:15]
	v_mov_b64_e32 v[26:27], v[22:23]
	s_xor_b64 exec, exec, s[14:15]
	s_cbranch_execz .LBB139_170
; %bb.169:                              ;   in Loop: Header=BB139_2 Depth=1
	ds_read_b64 v[26:27], v28 offset:8
	s_waitcnt lgkmcnt(1)
	v_mov_b64_e32 v[24:25], v[20:21]
.LBB139_170:                            ;   in Loop: Header=BB139_2 Depth=1
	s_or_b64 exec, exec, s[14:15]
	v_add_u32_e32 v29, 1, v111
	v_add_u32_e32 v28, 1, v110
	v_cndmask_b32_e64 v113, v29, v111, s[12:13]
	v_cndmask_b32_e64 v112, v110, v28, s[12:13]
	v_cmp_ge_i32_e64 s[16:17], v113, v99
	s_waitcnt lgkmcnt(0)
	v_cmp_lt_i64_e64 s[18:19], v[26:27], v[24:25]
	v_cmp_lt_i32_e64 s[14:15], v112, v100
	s_or_b64 s[16:17], s[16:17], s[18:19]
	s_and_b64 s[14:15], s[14:15], s[16:17]
	s_xor_b64 s[16:17], s[14:15], -1
                                        ; implicit-def: $vgpr28_vgpr29
	s_and_saveexec_b64 s[18:19], s[16:17]
	s_xor_b64 s[16:17], exec, s[18:19]
	s_cbranch_execz .LBB139_172
; %bb.171:                              ;   in Loop: Header=BB139_2 Depth=1
	v_lshlrev_b32_e32 v28, 3, v113
	ds_read_b64 v[28:29], v28 offset:8
.LBB139_172:                            ;   in Loop: Header=BB139_2 Depth=1
	s_or_saveexec_b64 s[16:17], s[16:17]
	v_mov_b64_e32 v[30:31], v[26:27]
	s_xor_b64 exec, exec, s[16:17]
	s_cbranch_execz .LBB139_174
; %bb.173:                              ;   in Loop: Header=BB139_2 Depth=1
	s_waitcnt lgkmcnt(0)
	v_lshlrev_b32_e32 v28, 3, v112
	ds_read_b64 v[30:31], v28 offset:8
	v_mov_b64_e32 v[28:29], v[24:25]
.LBB139_174:                            ;   in Loop: Header=BB139_2 Depth=1
	s_or_b64 exec, exec, s[16:17]
	v_add_u32_e32 v33, 1, v113
	v_add_u32_e32 v32, 1, v112
	v_cndmask_b32_e64 v115, v33, v113, s[14:15]
	v_cndmask_b32_e64 v114, v112, v32, s[14:15]
	v_cmp_ge_i32_e64 s[18:19], v115, v99
	s_waitcnt lgkmcnt(0)
	v_cmp_lt_i64_e64 s[20:21], v[30:31], v[28:29]
	v_cmp_lt_i32_e64 s[16:17], v114, v100
	s_or_b64 s[18:19], s[18:19], s[20:21]
	s_and_b64 s[16:17], s[16:17], s[18:19]
	s_xor_b64 s[18:19], s[16:17], -1
                                        ; implicit-def: $vgpr32_vgpr33
	s_and_saveexec_b64 s[20:21], s[18:19]
	s_xor_b64 s[18:19], exec, s[20:21]
	s_cbranch_execz .LBB139_176
; %bb.175:                              ;   in Loop: Header=BB139_2 Depth=1
	v_lshlrev_b32_e32 v32, 3, v115
	ds_read_b64 v[32:33], v32 offset:8
.LBB139_176:                            ;   in Loop: Header=BB139_2 Depth=1
	s_or_saveexec_b64 s[18:19], s[18:19]
	v_mov_b64_e32 v[34:35], v[30:31]
	s_xor_b64 exec, exec, s[18:19]
	s_cbranch_execz .LBB139_178
; %bb.177:                              ;   in Loop: Header=BB139_2 Depth=1
	s_waitcnt lgkmcnt(0)
	v_lshlrev_b32_e32 v32, 3, v114
	ds_read_b64 v[34:35], v32 offset:8
	v_mov_b64_e32 v[32:33], v[28:29]
.LBB139_178:                            ;   in Loop: Header=BB139_2 Depth=1
	s_or_b64 exec, exec, s[18:19]
	v_add_u32_e32 v37, 1, v115
	v_add_u32_e32 v36, 1, v114
	v_cndmask_b32_e64 v117, v37, v115, s[16:17]
	v_cndmask_b32_e64 v116, v114, v36, s[16:17]
	v_cmp_ge_i32_e64 s[20:21], v117, v99
	s_waitcnt lgkmcnt(0)
	v_cmp_lt_i64_e64 s[22:23], v[34:35], v[32:33]
	v_cmp_lt_i32_e64 s[18:19], v116, v100
	s_or_b64 s[20:21], s[20:21], s[22:23]
	s_and_b64 s[18:19], s[18:19], s[20:21]
	s_xor_b64 s[20:21], s[18:19], -1
                                        ; implicit-def: $vgpr36_vgpr37
	s_and_saveexec_b64 s[22:23], s[20:21]
	s_xor_b64 s[20:21], exec, s[22:23]
	s_cbranch_execz .LBB139_180
; %bb.179:                              ;   in Loop: Header=BB139_2 Depth=1
	v_lshlrev_b32_e32 v36, 3, v117
	ds_read_b64 v[36:37], v36 offset:8
.LBB139_180:                            ;   in Loop: Header=BB139_2 Depth=1
	s_or_saveexec_b64 s[20:21], s[20:21]
	v_mov_b64_e32 v[38:39], v[34:35]
	s_xor_b64 exec, exec, s[20:21]
	s_cbranch_execz .LBB139_182
; %bb.181:                              ;   in Loop: Header=BB139_2 Depth=1
	s_waitcnt lgkmcnt(0)
	v_lshlrev_b32_e32 v36, 3, v116
	ds_read_b64 v[38:39], v36 offset:8
	v_mov_b64_e32 v[36:37], v[32:33]
.LBB139_182:                            ;   in Loop: Header=BB139_2 Depth=1
	s_or_b64 exec, exec, s[20:21]
	v_add_u32_e32 v41, 1, v117
	v_add_u32_e32 v40, 1, v116
	v_cndmask_b32_e64 v119, v41, v117, s[18:19]
	v_cndmask_b32_e64 v118, v116, v40, s[18:19]
	v_cmp_ge_i32_e64 s[22:23], v119, v99
	s_waitcnt lgkmcnt(0)
	v_cmp_lt_i64_e64 s[24:25], v[38:39], v[36:37]
	v_cmp_lt_i32_e64 s[20:21], v118, v100
	s_or_b64 s[22:23], s[22:23], s[24:25]
	s_and_b64 s[20:21], s[20:21], s[22:23]
	s_xor_b64 s[22:23], s[20:21], -1
                                        ; implicit-def: $vgpr40_vgpr41
	s_and_saveexec_b64 s[24:25], s[22:23]
	s_xor_b64 s[22:23], exec, s[24:25]
	s_cbranch_execz .LBB139_184
; %bb.183:                              ;   in Loop: Header=BB139_2 Depth=1
	v_lshlrev_b32_e32 v40, 3, v119
	ds_read_b64 v[40:41], v40 offset:8
.LBB139_184:                            ;   in Loop: Header=BB139_2 Depth=1
	s_or_saveexec_b64 s[22:23], s[22:23]
	v_mov_b64_e32 v[42:43], v[38:39]
	s_xor_b64 exec, exec, s[22:23]
	s_cbranch_execz .LBB139_186
; %bb.185:                              ;   in Loop: Header=BB139_2 Depth=1
	s_waitcnt lgkmcnt(0)
	v_lshlrev_b32_e32 v40, 3, v118
	ds_read_b64 v[42:43], v40 offset:8
	v_mov_b64_e32 v[40:41], v[36:37]
.LBB139_186:                            ;   in Loop: Header=BB139_2 Depth=1
	s_or_b64 exec, exec, s[22:23]
	v_add_u32_e32 v45, 1, v119
	v_add_u32_e32 v44, 1, v118
	v_cndmask_b32_e64 v121, v45, v119, s[20:21]
	v_cndmask_b32_e64 v120, v118, v44, s[20:21]
	v_cmp_ge_i32_e64 s[24:25], v121, v99
	s_waitcnt lgkmcnt(0)
	v_cmp_lt_i64_e64 s[26:27], v[42:43], v[40:41]
	v_cmp_lt_i32_e64 s[22:23], v120, v100
	s_or_b64 s[24:25], s[24:25], s[26:27]
	s_and_b64 s[22:23], s[22:23], s[24:25]
	s_xor_b64 s[24:25], s[22:23], -1
                                        ; implicit-def: $vgpr44_vgpr45
	s_and_saveexec_b64 s[26:27], s[24:25]
	s_xor_b64 s[24:25], exec, s[26:27]
	s_cbranch_execz .LBB139_188
; %bb.187:                              ;   in Loop: Header=BB139_2 Depth=1
	v_lshlrev_b32_e32 v44, 3, v121
	ds_read_b64 v[44:45], v44 offset:8
.LBB139_188:                            ;   in Loop: Header=BB139_2 Depth=1
	s_or_saveexec_b64 s[24:25], s[24:25]
	v_mov_b64_e32 v[48:49], v[42:43]
	s_xor_b64 exec, exec, s[24:25]
	s_cbranch_execz .LBB139_190
; %bb.189:                              ;   in Loop: Header=BB139_2 Depth=1
	s_waitcnt lgkmcnt(0)
	v_lshlrev_b32_e32 v44, 3, v120
	ds_read_b64 v[48:49], v44 offset:8
	v_mov_b64_e32 v[44:45], v[40:41]
.LBB139_190:                            ;   in Loop: Header=BB139_2 Depth=1
	s_or_b64 exec, exec, s[24:25]
	v_add_u32_e32 v47, 1, v121
	v_add_u32_e32 v46, 1, v120
	v_cndmask_b32_e64 v123, v47, v121, s[22:23]
	v_cndmask_b32_e64 v122, v120, v46, s[22:23]
	v_cmp_ge_i32_e64 s[26:27], v123, v99
	s_waitcnt lgkmcnt(0)
	v_cmp_lt_i64_e64 s[28:29], v[48:49], v[44:45]
	v_cmp_lt_i32_e64 s[24:25], v122, v100
	s_or_b64 s[26:27], s[26:27], s[28:29]
	s_and_b64 s[24:25], s[24:25], s[26:27]
	s_xor_b64 s[26:27], s[24:25], -1
                                        ; implicit-def: $vgpr46_vgpr47
	s_and_saveexec_b64 s[28:29], s[26:27]
	s_xor_b64 s[26:27], exec, s[28:29]
	s_cbranch_execz .LBB139_192
; %bb.191:                              ;   in Loop: Header=BB139_2 Depth=1
	v_lshlrev_b32_e32 v46, 3, v123
	ds_read_b64 v[46:47], v46 offset:8
.LBB139_192:                            ;   in Loop: Header=BB139_2 Depth=1
	s_or_saveexec_b64 s[26:27], s[26:27]
	v_mov_b64_e32 v[50:51], v[48:49]
	s_xor_b64 exec, exec, s[26:27]
	s_cbranch_execz .LBB139_194
; %bb.193:                              ;   in Loop: Header=BB139_2 Depth=1
	s_waitcnt lgkmcnt(0)
	v_lshlrev_b32_e32 v46, 3, v122
	ds_read_b64 v[50:51], v46 offset:8
	v_mov_b64_e32 v[46:47], v[44:45]
.LBB139_194:                            ;   in Loop: Header=BB139_2 Depth=1
	s_or_b64 exec, exec, s[26:27]
	v_cndmask_b32_e64 v45, v45, v49, s[24:25]
	v_add_u32_e32 v49, 1, v123
	v_cndmask_b32_e64 v44, v44, v48, s[24:25]
	v_add_u32_e32 v48, 1, v122
	v_cndmask_b32_e64 v49, v49, v123, s[24:25]
	v_cndmask_b32_e64 v48, v122, v48, s[24:25]
	;; [unrolled: 1-line block ×8, first 2 shown]
	v_cmp_ge_i32_e64 s[14:15], v49, v99
	s_waitcnt lgkmcnt(0)
	v_cmp_lt_i64_e64 s[16:17], v[50:51], v[46:47]
	v_cndmask_b32_e64 v21, v21, v23, s[12:13]
	v_cndmask_b32_e64 v20, v20, v22, s[12:13]
	;; [unrolled: 1-line block ×3, first 2 shown]
	v_cmp_lt_i32_e64 s[12:13], v48, v100
	s_or_b64 s[14:15], s[14:15], s[16:17]
	v_cndmask_b32_e64 v32, v32, v34, s[18:19]
	v_cndmask_b32_e64 v34, v117, v116, s[18:19]
	s_and_b64 s[12:13], s[12:13], s[14:15]
	v_cndmask_b32_e64 v122, v123, v122, s[24:25]
	v_cndmask_b32_e64 v40, v40, v42, s[22:23]
	;; [unrolled: 1-line block ×6, first 2 shown]
	s_barrier
	ds_write2_b64 v1, v[16:17], v[18:19] offset1:1
	ds_write2_b64 v1, v[10:11], v[14:15] offset0:2 offset1:3
	ds_write2_b64 v1, v[8:9], v[12:13] offset0:4 offset1:5
	;; [unrolled: 1-line block ×3, first 2 shown]
	v_lshlrev_b32_e32 v4, 3, v27
	v_lshlrev_b32_e32 v5, 3, v26
	;; [unrolled: 1-line block ×4, first 2 shown]
	s_waitcnt lgkmcnt(0)
	s_barrier
	ds_read_b64 v[16:17], v4
	ds_read_b64 v[18:19], v5
	;; [unrolled: 1-line block ×4, first 2 shown]
	v_lshlrev_b32_e32 v4, 3, v38
	v_lshlrev_b32_e32 v5, 3, v42
	;; [unrolled: 1-line block ×4, first 2 shown]
	ds_read_b64 v[8:9], v4
	ds_read_b64 v[12:13], v5
	;; [unrolled: 1-line block ×4, first 2 shown]
	v_mov_b32_e32 v110, v107
	v_cndmask_b32_e64 v41, v41, v43, s[22:23]
	v_cndmask_b32_e64 v37, v37, v39, s[20:21]
	;; [unrolled: 1-line block ×5, first 2 shown]
	s_waitcnt lgkmcnt(0)
	s_barrier
	ds_write2_b64 v1, v[20:21], v[24:25] offset1:1
	ds_write2_b64 v1, v[28:29], v[32:33] offset0:2 offset1:3
	ds_write2_b64 v1, v[36:37], v[40:41] offset0:4 offset1:5
	;; [unrolled: 1-line block ×3, first 2 shown]
	s_waitcnt lgkmcnt(0)
	s_barrier
	s_and_saveexec_b64 s[14:15], s[10:11]
	s_cbranch_execz .LBB139_198
; %bb.195:                              ;   in Loop: Header=BB139_2 Depth=1
	s_mov_b64 s[16:17], 0
	v_mov_b32_e32 v110, v107
	v_mov_b32_e32 v20, v108
.LBB139_196:                            ;   Parent Loop BB139_2 Depth=1
                                        ; =>  This Inner Loop Header: Depth=2
	v_sub_u32_e32 v21, v20, v110
	v_lshrrev_b32_e32 v22, 31, v21
	v_add_u32_e32 v21, v21, v22
	v_ashrrev_i32_e32 v21, 1, v21
	v_add_u32_e32 v21, v21, v110
	v_xad_u32 v23, v21, -1, v2
	v_lshlrev_b32_e32 v22, 3, v21
	v_lshl_add_u32 v24, v23, 3, v106
	ds_read_b64 v[22:23], v22
	ds_read_b64 v[24:25], v24
	v_add_u32_e32 v26, 1, v21
	s_waitcnt lgkmcnt(0)
	v_cmp_lt_i64_e64 s[12:13], v[24:25], v[22:23]
	s_nop 1
	v_cndmask_b32_e64 v20, v20, v21, s[12:13]
	v_cndmask_b32_e64 v110, v26, v110, s[12:13]
	v_cmp_ge_i32_e64 s[12:13], v110, v20
	s_or_b64 s[16:17], s[12:13], s[16:17]
	s_andn2_b64 exec, exec, s[16:17]
	s_cbranch_execnz .LBB139_196
; %bb.197:                              ;   in Loop: Header=BB139_2 Depth=1
	s_or_b64 exec, exec, s[16:17]
.LBB139_198:                            ;   in Loop: Header=BB139_2 Depth=1
	s_or_b64 exec, exec, s[14:15]
	v_sub_u32_e32 v111, v109, v110
	v_lshlrev_b32_e32 v26, 3, v110
	v_lshlrev_b32_e32 v28, 3, v111
	ds_read_b64 v[20:21], v26
	ds_read_b64 v[22:23], v28
	v_cmp_le_i32_e64 s[14:15], v96, v110
	v_cmp_gt_i32_e64 s[12:13], s33, v111
                                        ; implicit-def: $vgpr24_vgpr25
	s_waitcnt lgkmcnt(0)
	v_cmp_lt_i64_e64 s[16:17], v[22:23], v[20:21]
	s_or_b64 s[14:15], s[14:15], s[16:17]
	s_and_b64 s[12:13], s[12:13], s[14:15]
	s_xor_b64 s[14:15], s[12:13], -1
	s_and_saveexec_b64 s[16:17], s[14:15]
	s_xor_b64 s[14:15], exec, s[16:17]
	s_cbranch_execz .LBB139_200
; %bb.199:                              ;   in Loop: Header=BB139_2 Depth=1
	ds_read_b64 v[24:25], v26 offset:8
                                        ; implicit-def: $vgpr28
.LBB139_200:                            ;   in Loop: Header=BB139_2 Depth=1
	s_or_saveexec_b64 s[14:15], s[14:15]
	v_mov_b64_e32 v[26:27], v[22:23]
	s_xor_b64 exec, exec, s[14:15]
	s_cbranch_execz .LBB139_202
; %bb.201:                              ;   in Loop: Header=BB139_2 Depth=1
	ds_read_b64 v[26:27], v28 offset:8
	s_waitcnt lgkmcnt(1)
	v_mov_b64_e32 v[24:25], v[20:21]
.LBB139_202:                            ;   in Loop: Header=BB139_2 Depth=1
	s_or_b64 exec, exec, s[14:15]
	v_add_u32_e32 v29, 1, v110
	v_add_u32_e32 v28, 1, v111
	v_cndmask_b32_e64 v113, v29, v110, s[12:13]
	v_cndmask_b32_e64 v112, v111, v28, s[12:13]
	v_cmp_ge_i32_e64 s[16:17], v113, v96
	s_waitcnt lgkmcnt(0)
	v_cmp_lt_i64_e64 s[18:19], v[26:27], v[24:25]
	v_cmp_gt_i32_e64 s[14:15], s33, v112
	s_or_b64 s[16:17], s[16:17], s[18:19]
	s_and_b64 s[14:15], s[14:15], s[16:17]
	s_xor_b64 s[16:17], s[14:15], -1
                                        ; implicit-def: $vgpr28_vgpr29
	s_and_saveexec_b64 s[18:19], s[16:17]
	s_xor_b64 s[16:17], exec, s[18:19]
	s_cbranch_execz .LBB139_204
; %bb.203:                              ;   in Loop: Header=BB139_2 Depth=1
	v_lshlrev_b32_e32 v28, 3, v113
	ds_read_b64 v[28:29], v28 offset:8
.LBB139_204:                            ;   in Loop: Header=BB139_2 Depth=1
	s_or_saveexec_b64 s[16:17], s[16:17]
	v_mov_b64_e32 v[30:31], v[26:27]
	s_xor_b64 exec, exec, s[16:17]
	s_cbranch_execz .LBB139_206
; %bb.205:                              ;   in Loop: Header=BB139_2 Depth=1
	s_waitcnt lgkmcnt(0)
	v_lshlrev_b32_e32 v28, 3, v112
	ds_read_b64 v[30:31], v28 offset:8
	v_mov_b64_e32 v[28:29], v[24:25]
.LBB139_206:                            ;   in Loop: Header=BB139_2 Depth=1
	s_or_b64 exec, exec, s[16:17]
	v_add_u32_e32 v33, 1, v113
	v_add_u32_e32 v32, 1, v112
	v_cndmask_b32_e64 v115, v33, v113, s[14:15]
	v_cndmask_b32_e64 v114, v112, v32, s[14:15]
	v_cmp_ge_i32_e64 s[18:19], v115, v96
	s_waitcnt lgkmcnt(0)
	v_cmp_lt_i64_e64 s[20:21], v[30:31], v[28:29]
	v_cmp_gt_i32_e64 s[16:17], s33, v114
	s_or_b64 s[18:19], s[18:19], s[20:21]
	s_and_b64 s[16:17], s[16:17], s[18:19]
	s_xor_b64 s[18:19], s[16:17], -1
                                        ; implicit-def: $vgpr32_vgpr33
	s_and_saveexec_b64 s[20:21], s[18:19]
	s_xor_b64 s[18:19], exec, s[20:21]
	s_cbranch_execz .LBB139_208
; %bb.207:                              ;   in Loop: Header=BB139_2 Depth=1
	v_lshlrev_b32_e32 v32, 3, v115
	ds_read_b64 v[32:33], v32 offset:8
.LBB139_208:                            ;   in Loop: Header=BB139_2 Depth=1
	s_or_saveexec_b64 s[18:19], s[18:19]
	v_mov_b64_e32 v[34:35], v[30:31]
	s_xor_b64 exec, exec, s[18:19]
	s_cbranch_execz .LBB139_210
; %bb.209:                              ;   in Loop: Header=BB139_2 Depth=1
	s_waitcnt lgkmcnt(0)
	v_lshlrev_b32_e32 v32, 3, v114
	ds_read_b64 v[34:35], v32 offset:8
	v_mov_b64_e32 v[32:33], v[28:29]
.LBB139_210:                            ;   in Loop: Header=BB139_2 Depth=1
	s_or_b64 exec, exec, s[18:19]
	v_add_u32_e32 v37, 1, v115
	v_add_u32_e32 v36, 1, v114
	v_cndmask_b32_e64 v117, v37, v115, s[16:17]
	v_cndmask_b32_e64 v116, v114, v36, s[16:17]
	v_cmp_ge_i32_e64 s[20:21], v117, v96
	s_waitcnt lgkmcnt(0)
	v_cmp_lt_i64_e64 s[22:23], v[34:35], v[32:33]
	v_cmp_gt_i32_e64 s[18:19], s33, v116
	s_or_b64 s[20:21], s[20:21], s[22:23]
	s_and_b64 s[18:19], s[18:19], s[20:21]
	s_xor_b64 s[20:21], s[18:19], -1
                                        ; implicit-def: $vgpr38_vgpr39
	s_and_saveexec_b64 s[22:23], s[20:21]
	s_xor_b64 s[20:21], exec, s[22:23]
	s_cbranch_execz .LBB139_212
; %bb.211:                              ;   in Loop: Header=BB139_2 Depth=1
	v_lshlrev_b32_e32 v36, 3, v117
	ds_read_b64 v[38:39], v36 offset:8
.LBB139_212:                            ;   in Loop: Header=BB139_2 Depth=1
	s_or_saveexec_b64 s[20:21], s[20:21]
	v_mov_b64_e32 v[42:43], v[34:35]
	s_xor_b64 exec, exec, s[20:21]
	s_cbranch_execz .LBB139_214
; %bb.213:                              ;   in Loop: Header=BB139_2 Depth=1
	v_lshlrev_b32_e32 v36, 3, v116
	ds_read_b64 v[42:43], v36 offset:8
	s_waitcnt lgkmcnt(1)
	v_mov_b64_e32 v[38:39], v[32:33]
.LBB139_214:                            ;   in Loop: Header=BB139_2 Depth=1
	s_or_b64 exec, exec, s[20:21]
	v_add_u32_e32 v37, 1, v117
	v_add_u32_e32 v36, 1, v116
	v_cndmask_b32_e64 v119, v37, v117, s[18:19]
	v_cndmask_b32_e64 v118, v116, v36, s[18:19]
	v_cmp_ge_i32_e64 s[22:23], v119, v96
	s_waitcnt lgkmcnt(0)
	v_cmp_lt_i64_e64 s[24:25], v[42:43], v[38:39]
	v_cmp_gt_i32_e64 s[20:21], s33, v118
	s_or_b64 s[22:23], s[22:23], s[24:25]
	s_and_b64 s[20:21], s[20:21], s[22:23]
	s_xor_b64 s[22:23], s[20:21], -1
                                        ; implicit-def: $vgpr46_vgpr47
	s_and_saveexec_b64 s[24:25], s[22:23]
	s_xor_b64 s[22:23], exec, s[24:25]
	s_cbranch_execz .LBB139_216
; %bb.215:                              ;   in Loop: Header=BB139_2 Depth=1
	v_lshlrev_b32_e32 v36, 3, v119
	ds_read_b64 v[46:47], v36 offset:8
.LBB139_216:                            ;   in Loop: Header=BB139_2 Depth=1
	s_or_saveexec_b64 s[22:23], s[22:23]
	v_mov_b64_e32 v[48:49], v[42:43]
	s_xor_b64 exec, exec, s[22:23]
	s_cbranch_execz .LBB139_218
; %bb.217:                              ;   in Loop: Header=BB139_2 Depth=1
	v_lshlrev_b32_e32 v36, 3, v118
	ds_read_b64 v[48:49], v36 offset:8
	s_waitcnt lgkmcnt(1)
	v_mov_b64_e32 v[46:47], v[38:39]
.LBB139_218:                            ;   in Loop: Header=BB139_2 Depth=1
	s_or_b64 exec, exec, s[22:23]
	v_add_u32_e32 v37, 1, v119
	v_add_u32_e32 v36, 1, v118
	v_cndmask_b32_e64 v121, v37, v119, s[20:21]
	v_cndmask_b32_e64 v120, v118, v36, s[20:21]
	v_cmp_ge_i32_e64 s[24:25], v121, v96
	s_waitcnt lgkmcnt(0)
	v_cmp_lt_i64_e64 s[26:27], v[48:49], v[46:47]
	v_cmp_gt_i32_e64 s[22:23], s33, v120
	s_or_b64 s[24:25], s[24:25], s[26:27]
	s_and_b64 s[24:25], s[22:23], s[24:25]
	s_xor_b64 s[22:23], s[24:25], -1
                                        ; implicit-def: $vgpr36_vgpr37
	s_and_saveexec_b64 s[26:27], s[22:23]
	s_xor_b64 s[22:23], exec, s[26:27]
	s_cbranch_execz .LBB139_220
; %bb.219:                              ;   in Loop: Header=BB139_2 Depth=1
	v_lshlrev_b32_e32 v36, 3, v121
	ds_read_b64 v[36:37], v36 offset:8
.LBB139_220:                            ;   in Loop: Header=BB139_2 Depth=1
	s_or_saveexec_b64 s[22:23], s[22:23]
	v_mov_b64_e32 v[40:41], v[48:49]
	s_xor_b64 exec, exec, s[22:23]
	s_cbranch_execz .LBB139_222
; %bb.221:                              ;   in Loop: Header=BB139_2 Depth=1
	s_waitcnt lgkmcnt(0)
	v_lshlrev_b32_e32 v36, 3, v120
	ds_read_b64 v[40:41], v36 offset:8
	v_mov_b64_e32 v[36:37], v[46:47]
.LBB139_222:                            ;   in Loop: Header=BB139_2 Depth=1
	s_or_b64 exec, exec, s[22:23]
	v_add_u32_e32 v45, 1, v121
	v_add_u32_e32 v44, 1, v120
	v_cndmask_b32_e64 v125, v45, v121, s[24:25]
	v_cndmask_b32_e64 v123, v120, v44, s[24:25]
	v_cmp_ge_i32_e64 s[26:27], v125, v96
	s_waitcnt lgkmcnt(0)
	v_cmp_lt_i64_e64 s[28:29], v[40:41], v[36:37]
	v_cmp_gt_i32_e64 s[22:23], s33, v123
	s_or_b64 s[26:27], s[26:27], s[28:29]
	s_and_b64 s[22:23], s[22:23], s[26:27]
	s_xor_b64 s[26:27], s[22:23], -1
                                        ; implicit-def: $vgpr44_vgpr45
                                        ; implicit-def: $vgpr124
	s_and_saveexec_b64 s[28:29], s[26:27]
	s_xor_b64 s[26:27], exec, s[28:29]
	s_cbranch_execz .LBB139_224
; %bb.223:                              ;   in Loop: Header=BB139_2 Depth=1
	v_lshlrev_b32_e32 v44, 3, v125
	ds_read_b64 v[44:45], v44 offset:8
	v_add_u32_e32 v124, 1, v125
.LBB139_224:                            ;   in Loop: Header=BB139_2 Depth=1
	s_or_saveexec_b64 s[26:27], s[26:27]
	v_mov_b32_e32 v122, v125
	v_mov_b64_e32 v[50:51], v[40:41]
	s_xor_b64 exec, exec, s[26:27]
	s_cbranch_execz .LBB139_1
; %bb.225:                              ;   in Loop: Header=BB139_2 Depth=1
	s_waitcnt lgkmcnt(0)
	v_lshlrev_b32_e32 v45, 3, v123
	ds_read_b64 v[50:51], v45 offset:8
	v_add_u32_e32 v44, 1, v123
	v_mov_b32_e32 v122, v123
	v_mov_b32_e32 v124, v125
	;; [unrolled: 1-line block ×3, first 2 shown]
	v_mov_b64_e32 v[44:45], v[36:37]
	s_branch .LBB139_1
.LBB139_226:
	s_add_u32 s0, s90, s92
	s_addc_u32 s1, s91, s93
	v_lshlrev_b32_e32 v0, 3, v0
	v_mov_b32_e32 v1, 0
	s_waitcnt lgkmcnt(7)
	v_lshl_add_u64 v[2:3], v[20:21], 0, v[8:9]
	s_waitcnt lgkmcnt(6)
	v_lshl_add_u64 v[8:9], v[24:25], 0, v[10:11]
	;; [unrolled: 2-line block ×4, first 2 shown]
	v_lshl_add_u64 v[18:19], s[0:1], 0, v[0:1]
	v_lshl_add_u64 v[4:5], v[22:23], 0, v[4:5]
	;; [unrolled: 1-line block ×3, first 2 shown]
	global_store_dwordx2 v0, v[2:3], s[0:1]
	global_store_dwordx2 v0, v[8:9], s[0:1] offset:1024
	global_store_dwordx2 v0, v[4:5], s[0:1] offset:2048
	;; [unrolled: 1-line block ×3, first 2 shown]
	v_add_co_u32_e32 v0, vcc, 0x1000, v18
	s_waitcnt lgkmcnt(1)
	v_lshl_add_u64 v[12:13], v[30:31], 0, v[12:13]
	v_addc_co_u32_e32 v1, vcc, 0, v19, vcc
	s_waitcnt lgkmcnt(0)
	v_lshl_add_u64 v[14:15], v[34:35], 0, v[14:15]
	global_store_dwordx2 v[0:1], v[10:11], off
	global_store_dwordx2 v[0:1], v[16:17], off offset:1024
	global_store_dwordx2 v[0:1], v[12:13], off offset:2048
	;; [unrolled: 1-line block ×3, first 2 shown]
	s_endpgm
	.section	.rodata,"a",@progbits
	.p2align	6, 0x0
	.amdhsa_kernel _Z17sort_pairs_kernelIxLj128ELj8EN10test_utils4lessELj10EEvPKT_PS2_T2_
		.amdhsa_group_segment_fixed_size 8200
		.amdhsa_private_segment_fixed_size 0
		.amdhsa_kernarg_size 20
		.amdhsa_user_sgpr_count 2
		.amdhsa_user_sgpr_dispatch_ptr 0
		.amdhsa_user_sgpr_queue_ptr 0
		.amdhsa_user_sgpr_kernarg_segment_ptr 1
		.amdhsa_user_sgpr_dispatch_id 0
		.amdhsa_user_sgpr_kernarg_preload_length 0
		.amdhsa_user_sgpr_kernarg_preload_offset 0
		.amdhsa_user_sgpr_private_segment_size 0
		.amdhsa_uses_dynamic_stack 0
		.amdhsa_enable_private_segment 0
		.amdhsa_system_sgpr_workgroup_id_x 1
		.amdhsa_system_sgpr_workgroup_id_y 0
		.amdhsa_system_sgpr_workgroup_id_z 0
		.amdhsa_system_sgpr_workgroup_info 0
		.amdhsa_system_vgpr_workitem_id 0
		.amdhsa_next_free_vgpr 126
		.amdhsa_next_free_sgpr 96
		.amdhsa_accum_offset 128
		.amdhsa_reserve_vcc 1
		.amdhsa_float_round_mode_32 0
		.amdhsa_float_round_mode_16_64 0
		.amdhsa_float_denorm_mode_32 3
		.amdhsa_float_denorm_mode_16_64 3
		.amdhsa_dx10_clamp 1
		.amdhsa_ieee_mode 1
		.amdhsa_fp16_overflow 0
		.amdhsa_tg_split 0
		.amdhsa_exception_fp_ieee_invalid_op 0
		.amdhsa_exception_fp_denorm_src 0
		.amdhsa_exception_fp_ieee_div_zero 0
		.amdhsa_exception_fp_ieee_overflow 0
		.amdhsa_exception_fp_ieee_underflow 0
		.amdhsa_exception_fp_ieee_inexact 0
		.amdhsa_exception_int_div_zero 0
	.end_amdhsa_kernel
	.section	.text._Z17sort_pairs_kernelIxLj128ELj8EN10test_utils4lessELj10EEvPKT_PS2_T2_,"axG",@progbits,_Z17sort_pairs_kernelIxLj128ELj8EN10test_utils4lessELj10EEvPKT_PS2_T2_,comdat
.Lfunc_end139:
	.size	_Z17sort_pairs_kernelIxLj128ELj8EN10test_utils4lessELj10EEvPKT_PS2_T2_, .Lfunc_end139-_Z17sort_pairs_kernelIxLj128ELj8EN10test_utils4lessELj10EEvPKT_PS2_T2_
                                        ; -- End function
	.section	.AMDGPU.csdata,"",@progbits
; Kernel info:
; codeLenInByte = 13332
; NumSgprs: 102
; NumVgprs: 126
; NumAgprs: 0
; TotalNumVgprs: 126
; ScratchSize: 0
; MemoryBound: 0
; FloatMode: 240
; IeeeMode: 1
; LDSByteSize: 8200 bytes/workgroup (compile time only)
; SGPRBlocks: 12
; VGPRBlocks: 15
; NumSGPRsForWavesPerEU: 102
; NumVGPRsForWavesPerEU: 126
; AccumOffset: 128
; Occupancy: 4
; WaveLimiterHint : 1
; COMPUTE_PGM_RSRC2:SCRATCH_EN: 0
; COMPUTE_PGM_RSRC2:USER_SGPR: 2
; COMPUTE_PGM_RSRC2:TRAP_HANDLER: 0
; COMPUTE_PGM_RSRC2:TGID_X_EN: 1
; COMPUTE_PGM_RSRC2:TGID_Y_EN: 0
; COMPUTE_PGM_RSRC2:TGID_Z_EN: 0
; COMPUTE_PGM_RSRC2:TIDIG_COMP_CNT: 0
; COMPUTE_PGM_RSRC3_GFX90A:ACCUM_OFFSET: 31
; COMPUTE_PGM_RSRC3_GFX90A:TG_SPLIT: 0
	.section	.text._Z16sort_keys_kernelIxLj256ELj1EN10test_utils4lessELj10EEvPKT_PS2_T2_,"axG",@progbits,_Z16sort_keys_kernelIxLj256ELj1EN10test_utils4lessELj10EEvPKT_PS2_T2_,comdat
	.protected	_Z16sort_keys_kernelIxLj256ELj1EN10test_utils4lessELj10EEvPKT_PS2_T2_ ; -- Begin function _Z16sort_keys_kernelIxLj256ELj1EN10test_utils4lessELj10EEvPKT_PS2_T2_
	.globl	_Z16sort_keys_kernelIxLj256ELj1EN10test_utils4lessELj10EEvPKT_PS2_T2_
	.p2align	8
	.type	_Z16sort_keys_kernelIxLj256ELj1EN10test_utils4lessELj10EEvPKT_PS2_T2_,@function
_Z16sort_keys_kernelIxLj256ELj1EN10test_utils4lessELj10EEvPKT_PS2_T2_: ; @_Z16sort_keys_kernelIxLj256ELj1EN10test_utils4lessELj10EEvPKT_PS2_T2_
; %bb.0:
	s_load_dwordx4 s[20:23], s[0:1], 0x0
	v_and_b32_e32 v2, 0xfe, v0
	v_and_b32_e32 v1, 1, v0
	v_or_b32_e32 v4, 1, v2
	v_sub_u32_e32 v5, v4, v2
	v_lshlrev_b32_e32 v6, 3, v2
	v_add_u32_e32 v2, -1, v1
	v_cmp_lt_i32_e32 vcc, 0, v1
	s_lshl_b32 s24, s2, 8
	s_mov_b32 s25, 0
	v_cndmask_b32_e32 v7, 0, v2, vcc
	v_and_b32_e32 v2, 0xfc, v0
	s_lshl_b64 s[26:27], s[24:25], 3
	v_or_b32_e32 v3, 2, v2
	v_add_u32_e32 v10, 4, v2
	s_waitcnt lgkmcnt(0)
	s_add_u32 s2, s20, s26
	v_and_b32_e32 v9, 3, v0
	v_sub_u32_e32 v14, v10, v3
	s_addc_u32 s3, s21, s27
	v_sub_u32_e32 v11, v3, v2
	v_lshlrev_b32_e32 v12, 3, v2
	v_sub_u32_e32 v2, v9, v14
	v_cmp_ge_i32_e64 s[0:1], v9, v14
	v_lshlrev_b32_e32 v17, 3, v0
	v_lshlrev_b32_e32 v13, 3, v3
	v_cndmask_b32_e64 v14, 0, v2, s[0:1]
	v_add_u32_e32 v16, v3, v9
	global_load_dwordx2 v[2:3], v17, s[2:3]
	v_and_b32_e32 v21, 0xf8, v0
	v_and_b32_e32 v29, 0xf0, v0
	;; [unrolled: 1-line block ×5, first 2 shown]
	v_or_b32_e32 v25, 4, v21
	v_add_u32_e32 v19, 8, v21
	v_or_b32_e32 v33, 8, v29
	v_add_u32_e32 v27, 16, v29
	;; [unrolled: 2-line block ×5, first 2 shown]
	v_and_b32_e32 v18, 7, v0
	v_sub_u32_e32 v23, v19, v25
	v_and_b32_e32 v26, 15, v0
	v_sub_u32_e32 v31, v27, v33
	;; [unrolled: 2-line block ×5, first 2 shown]
	v_sub_u32_e32 v20, v25, v21
	v_sub_u32_e32 v24, v18, v23
	v_cmp_ge_i32_e64 s[2:3], v18, v23
	v_sub_u32_e32 v28, v33, v29
	v_sub_u32_e32 v32, v26, v31
	v_cmp_ge_i32_e64 s[4:5], v26, v31
	;; [unrolled: 3-line block ×5, first 2 shown]
	v_mov_b32_e32 v58, 0x80
	v_min_i32_e32 v8, v1, v5
	v_min_i32_e32 v15, v9, v11
	v_cndmask_b32_e64 v23, 0, v24, s[2:3]
	v_min_i32_e32 v24, v18, v20
	v_cndmask_b32_e64 v31, 0, v32, s[4:5]
	;; [unrolled: 2-line block ×5, first 2 shown]
	v_min_i32_e32 v55, v50, v52
	v_sub_u32_e64 v59, v0, v58 clamp
	v_min_i32_e32 v60, 0x80, v0
	v_cmp_lt_i32_e32 vcc, v7, v8
	v_cmp_lt_i32_e64 s[0:1], v14, v15
	v_lshlrev_b32_e32 v21, 3, v21
	v_lshlrev_b32_e32 v22, 3, v25
	v_cmp_lt_i32_e64 s[2:3], v23, v24
	v_add_u32_e32 v25, v25, v18
	v_lshlrev_b32_e32 v29, 3, v29
	v_lshlrev_b32_e32 v30, 3, v33
	v_cmp_lt_i32_e64 s[4:5], v31, v32
	v_add_u32_e32 v33, v33, v26
	;; [unrolled: 4-line block ×4, first 2 shown]
	v_lshlrev_b32_e32 v53, 3, v53
	v_cmp_lt_i32_e64 s[10:11], v54, v55
	v_lshlrev_b32_e32 v56, 3, v57
	v_add_u32_e32 v57, v57, v50
	v_cmp_lt_i32_e64 s[12:13], v59, v60
	s_movk_i32 s20, 0x100
	v_lshlrev_b32_e32 v61, 3, v4
	v_add_u32_e32 v62, v4, v1
	v_mov_b32_e32 v63, 0x400
	v_add_u32_e32 v64, 0x80, v0
	s_branch .LBB140_2
.LBB140_1:                              ;   in Loop: Header=BB140_2 Depth=1
	s_or_b64 exec, exec, s[16:17]
	v_sub_u32_e32 v3, v64, v2
	v_lshlrev_b32_e32 v65, 3, v2
	v_lshlrev_b32_e32 v68, 3, v3
	ds_read_b64 v[66:67], v65
	ds_read_b64 v[68:69], v68
	v_cmp_ge_i32_e64 s[14:15], v2, v58
	v_cmp_gt_i32_e64 s[16:17], s20, v3
	s_add_i32 s25, s25, 1
	s_waitcnt lgkmcnt(0)
	v_cmp_lt_i64_e64 s[18:19], v[68:69], v[66:67]
	s_or_b64 s[14:15], s[14:15], s[18:19]
	s_and_b64 s[14:15], s[16:17], s[14:15]
	v_cndmask_b32_e64 v3, v67, v69, s[14:15]
	s_cmp_eq_u32 s25, 10
	v_cndmask_b32_e64 v2, v66, v68, s[14:15]
	s_cbranch_scc1 .LBB140_34
.LBB140_2:                              ; =>This Loop Header: Depth=1
                                        ;     Child Loop BB140_4 Depth 2
                                        ;     Child Loop BB140_8 Depth 2
	;; [unrolled: 1-line block ×8, first 2 shown]
	s_barrier
	s_waitcnt vmcnt(0)
	ds_write_b64 v17, v[2:3]
	v_mov_b32_e32 v2, v7
	s_waitcnt lgkmcnt(0)
	s_barrier
	s_and_saveexec_b64 s[16:17], vcc
	s_cbranch_execz .LBB140_6
; %bb.3:                                ;   in Loop: Header=BB140_2 Depth=1
	s_mov_b64 s[18:19], 0
	v_mov_b32_e32 v2, v7
	v_mov_b32_e32 v3, v8
.LBB140_4:                              ;   Parent Loop BB140_2 Depth=1
                                        ; =>  This Inner Loop Header: Depth=2
	v_sub_u32_e32 v65, v3, v2
	v_lshrrev_b32_e32 v66, 31, v65
	v_add_u32_e32 v65, v65, v66
	v_ashrrev_i32_e32 v65, 1, v65
	v_add_u32_e32 v65, v65, v2
	v_xad_u32 v67, v65, -1, v1
	v_lshl_add_u32 v66, v65, 3, v6
	v_lshl_add_u32 v68, v67, 3, v61
	ds_read_b64 v[66:67], v66
	ds_read_b64 v[68:69], v68
	v_add_u32_e32 v70, 1, v65
	s_waitcnt lgkmcnt(0)
	v_cmp_lt_i64_e64 s[14:15], v[68:69], v[66:67]
	s_nop 1
	v_cndmask_b32_e64 v3, v3, v65, s[14:15]
	v_cndmask_b32_e64 v2, v70, v2, s[14:15]
	v_cmp_ge_i32_e64 s[14:15], v2, v3
	s_or_b64 s[18:19], s[14:15], s[18:19]
	s_andn2_b64 exec, exec, s[18:19]
	s_cbranch_execnz .LBB140_4
; %bb.5:                                ;   in Loop: Header=BB140_2 Depth=1
	s_or_b64 exec, exec, s[18:19]
.LBB140_6:                              ;   in Loop: Header=BB140_2 Depth=1
	s_or_b64 exec, exec, s[16:17]
	v_sub_u32_e32 v3, v62, v2
	v_lshl_add_u32 v65, v2, 3, v6
	v_lshlrev_b32_e32 v68, 3, v3
	ds_read_b64 v[66:67], v65
	ds_read_b64 v[68:69], v68
	v_cmp_ge_i32_e64 s[14:15], v2, v5
	v_cmp_ge_i32_e64 s[16:17], v4, v3
	s_waitcnt lgkmcnt(0)
	s_barrier
	v_cmp_lt_i64_e64 s[18:19], v[68:69], v[66:67]
	s_or_b64 s[14:15], s[14:15], s[18:19]
	s_and_b64 s[14:15], s[16:17], s[14:15]
	v_cndmask_b32_e64 v3, v67, v69, s[14:15]
	v_cndmask_b32_e64 v2, v66, v68, s[14:15]
	ds_write_b64 v17, v[2:3]
	v_mov_b32_e32 v2, v14
	s_waitcnt lgkmcnt(0)
	s_barrier
	s_and_saveexec_b64 s[16:17], s[0:1]
	s_cbranch_execz .LBB140_10
; %bb.7:                                ;   in Loop: Header=BB140_2 Depth=1
	s_mov_b64 s[18:19], 0
	v_mov_b32_e32 v2, v14
	v_mov_b32_e32 v3, v15
.LBB140_8:                              ;   Parent Loop BB140_2 Depth=1
                                        ; =>  This Inner Loop Header: Depth=2
	v_sub_u32_e32 v65, v3, v2
	v_lshrrev_b32_e32 v66, 31, v65
	v_add_u32_e32 v65, v65, v66
	v_ashrrev_i32_e32 v65, 1, v65
	v_add_u32_e32 v65, v65, v2
	v_xad_u32 v67, v65, -1, v9
	v_lshl_add_u32 v66, v65, 3, v12
	v_lshl_add_u32 v68, v67, 3, v13
	ds_read_b64 v[66:67], v66
	ds_read_b64 v[68:69], v68
	v_add_u32_e32 v70, 1, v65
	s_waitcnt lgkmcnt(0)
	v_cmp_lt_i64_e64 s[14:15], v[68:69], v[66:67]
	s_nop 1
	v_cndmask_b32_e64 v3, v3, v65, s[14:15]
	v_cndmask_b32_e64 v2, v70, v2, s[14:15]
	v_cmp_ge_i32_e64 s[14:15], v2, v3
	s_or_b64 s[18:19], s[14:15], s[18:19]
	s_andn2_b64 exec, exec, s[18:19]
	s_cbranch_execnz .LBB140_8
; %bb.9:                                ;   in Loop: Header=BB140_2 Depth=1
	s_or_b64 exec, exec, s[18:19]
.LBB140_10:                             ;   in Loop: Header=BB140_2 Depth=1
	s_or_b64 exec, exec, s[16:17]
	v_sub_u32_e32 v3, v16, v2
	v_lshl_add_u32 v65, v2, 3, v12
	v_lshlrev_b32_e32 v68, 3, v3
	ds_read_b64 v[66:67], v65
	ds_read_b64 v[68:69], v68
	v_cmp_ge_i32_e64 s[14:15], v2, v11
	v_cmp_gt_i32_e64 s[16:17], v10, v3
	s_waitcnt lgkmcnt(0)
	s_barrier
	v_cmp_lt_i64_e64 s[18:19], v[68:69], v[66:67]
	s_or_b64 s[14:15], s[14:15], s[18:19]
	s_and_b64 s[14:15], s[16:17], s[14:15]
	v_cndmask_b32_e64 v3, v67, v69, s[14:15]
	v_cndmask_b32_e64 v2, v66, v68, s[14:15]
	ds_write_b64 v17, v[2:3]
	v_mov_b32_e32 v2, v23
	s_waitcnt lgkmcnt(0)
	s_barrier
	s_and_saveexec_b64 s[16:17], s[2:3]
	s_cbranch_execz .LBB140_14
; %bb.11:                               ;   in Loop: Header=BB140_2 Depth=1
	s_mov_b64 s[18:19], 0
	v_mov_b32_e32 v2, v23
	v_mov_b32_e32 v3, v24
.LBB140_12:                             ;   Parent Loop BB140_2 Depth=1
                                        ; =>  This Inner Loop Header: Depth=2
	v_sub_u32_e32 v65, v3, v2
	v_lshrrev_b32_e32 v66, 31, v65
	v_add_u32_e32 v65, v65, v66
	v_ashrrev_i32_e32 v65, 1, v65
	v_add_u32_e32 v65, v65, v2
	v_xad_u32 v67, v65, -1, v18
	v_lshl_add_u32 v66, v65, 3, v21
	v_lshl_add_u32 v68, v67, 3, v22
	ds_read_b64 v[66:67], v66
	ds_read_b64 v[68:69], v68
	v_add_u32_e32 v70, 1, v65
	s_waitcnt lgkmcnt(0)
	v_cmp_lt_i64_e64 s[14:15], v[68:69], v[66:67]
	s_nop 1
	v_cndmask_b32_e64 v3, v3, v65, s[14:15]
	v_cndmask_b32_e64 v2, v70, v2, s[14:15]
	v_cmp_ge_i32_e64 s[14:15], v2, v3
	s_or_b64 s[18:19], s[14:15], s[18:19]
	s_andn2_b64 exec, exec, s[18:19]
	s_cbranch_execnz .LBB140_12
; %bb.13:                               ;   in Loop: Header=BB140_2 Depth=1
	s_or_b64 exec, exec, s[18:19]
.LBB140_14:                             ;   in Loop: Header=BB140_2 Depth=1
	s_or_b64 exec, exec, s[16:17]
	v_sub_u32_e32 v3, v25, v2
	v_lshl_add_u32 v65, v2, 3, v21
	v_lshlrev_b32_e32 v68, 3, v3
	ds_read_b64 v[66:67], v65
	ds_read_b64 v[68:69], v68
	v_cmp_ge_i32_e64 s[14:15], v2, v20
	v_cmp_gt_i32_e64 s[16:17], v19, v3
	s_waitcnt lgkmcnt(0)
	s_barrier
	v_cmp_lt_i64_e64 s[18:19], v[68:69], v[66:67]
	s_or_b64 s[14:15], s[14:15], s[18:19]
	s_and_b64 s[14:15], s[16:17], s[14:15]
	v_cndmask_b32_e64 v3, v67, v69, s[14:15]
	v_cndmask_b32_e64 v2, v66, v68, s[14:15]
	ds_write_b64 v17, v[2:3]
	v_mov_b32_e32 v2, v31
	s_waitcnt lgkmcnt(0)
	s_barrier
	s_and_saveexec_b64 s[16:17], s[4:5]
	s_cbranch_execz .LBB140_18
; %bb.15:                               ;   in Loop: Header=BB140_2 Depth=1
	s_mov_b64 s[18:19], 0
	v_mov_b32_e32 v2, v31
	v_mov_b32_e32 v3, v32
.LBB140_16:                             ;   Parent Loop BB140_2 Depth=1
                                        ; =>  This Inner Loop Header: Depth=2
	v_sub_u32_e32 v65, v3, v2
	v_lshrrev_b32_e32 v66, 31, v65
	v_add_u32_e32 v65, v65, v66
	v_ashrrev_i32_e32 v65, 1, v65
	v_add_u32_e32 v65, v65, v2
	v_xad_u32 v67, v65, -1, v26
	v_lshl_add_u32 v66, v65, 3, v29
	v_lshl_add_u32 v68, v67, 3, v30
	ds_read_b64 v[66:67], v66
	ds_read_b64 v[68:69], v68
	v_add_u32_e32 v70, 1, v65
	s_waitcnt lgkmcnt(0)
	v_cmp_lt_i64_e64 s[14:15], v[68:69], v[66:67]
	s_nop 1
	v_cndmask_b32_e64 v3, v3, v65, s[14:15]
	v_cndmask_b32_e64 v2, v70, v2, s[14:15]
	v_cmp_ge_i32_e64 s[14:15], v2, v3
	s_or_b64 s[18:19], s[14:15], s[18:19]
	s_andn2_b64 exec, exec, s[18:19]
	s_cbranch_execnz .LBB140_16
; %bb.17:                               ;   in Loop: Header=BB140_2 Depth=1
	s_or_b64 exec, exec, s[18:19]
.LBB140_18:                             ;   in Loop: Header=BB140_2 Depth=1
	;; [unrolled: 50-line block ×5, first 2 shown]
	s_or_b64 exec, exec, s[16:17]
	v_sub_u32_e32 v3, v57, v2
	v_lshl_add_u32 v65, v2, 3, v53
	v_lshlrev_b32_e32 v68, 3, v3
	ds_read_b64 v[66:67], v65
	ds_read_b64 v[68:69], v68
	v_cmp_ge_i32_e64 s[14:15], v2, v52
	v_cmp_gt_i32_e64 s[16:17], v51, v3
	s_waitcnt lgkmcnt(0)
	s_barrier
	v_cmp_lt_i64_e64 s[18:19], v[68:69], v[66:67]
	s_or_b64 s[14:15], s[14:15], s[18:19]
	s_and_b64 s[14:15], s[16:17], s[14:15]
	v_cndmask_b32_e64 v3, v67, v69, s[14:15]
	v_cndmask_b32_e64 v2, v66, v68, s[14:15]
	ds_write_b64 v17, v[2:3]
	v_mov_b32_e32 v2, v59
	s_waitcnt lgkmcnt(0)
	s_barrier
	s_and_saveexec_b64 s[16:17], s[12:13]
	s_cbranch_execz .LBB140_1
; %bb.31:                               ;   in Loop: Header=BB140_2 Depth=1
	s_mov_b64 s[18:19], 0
	v_mov_b32_e32 v2, v59
	v_mov_b32_e32 v3, v60
.LBB140_32:                             ;   Parent Loop BB140_2 Depth=1
                                        ; =>  This Inner Loop Header: Depth=2
	v_sub_u32_e32 v65, v3, v2
	v_lshrrev_b32_e32 v66, 31, v65
	v_add_u32_e32 v65, v65, v66
	v_ashrrev_i32_e32 v65, 1, v65
	v_add_u32_e32 v65, v65, v2
	v_xad_u32 v67, v65, -1, v0
	v_lshlrev_b32_e32 v66, 3, v65
	v_lshl_add_u32 v68, v67, 3, v63
	ds_read_b64 v[66:67], v66
	ds_read_b64 v[68:69], v68
	v_add_u32_e32 v70, 1, v65
	s_waitcnt lgkmcnt(0)
	v_cmp_lt_i64_e64 s[14:15], v[68:69], v[66:67]
	s_nop 1
	v_cndmask_b32_e64 v3, v3, v65, s[14:15]
	v_cndmask_b32_e64 v2, v70, v2, s[14:15]
	v_cmp_ge_i32_e64 s[14:15], v2, v3
	s_or_b64 s[18:19], s[14:15], s[18:19]
	s_andn2_b64 exec, exec, s[18:19]
	s_cbranch_execnz .LBB140_32
; %bb.33:                               ;   in Loop: Header=BB140_2 Depth=1
	s_or_b64 exec, exec, s[18:19]
	s_branch .LBB140_1
.LBB140_34:
	s_add_u32 s0, s22, s26
	s_addc_u32 s1, s23, s27
	v_lshlrev_b32_e32 v0, 3, v0
	global_store_dwordx2 v0, v[2:3], s[0:1]
	s_endpgm
	.section	.rodata,"a",@progbits
	.p2align	6, 0x0
	.amdhsa_kernel _Z16sort_keys_kernelIxLj256ELj1EN10test_utils4lessELj10EEvPKT_PS2_T2_
		.amdhsa_group_segment_fixed_size 2056
		.amdhsa_private_segment_fixed_size 0
		.amdhsa_kernarg_size 20
		.amdhsa_user_sgpr_count 2
		.amdhsa_user_sgpr_dispatch_ptr 0
		.amdhsa_user_sgpr_queue_ptr 0
		.amdhsa_user_sgpr_kernarg_segment_ptr 1
		.amdhsa_user_sgpr_dispatch_id 0
		.amdhsa_user_sgpr_kernarg_preload_length 0
		.amdhsa_user_sgpr_kernarg_preload_offset 0
		.amdhsa_user_sgpr_private_segment_size 0
		.amdhsa_uses_dynamic_stack 0
		.amdhsa_enable_private_segment 0
		.amdhsa_system_sgpr_workgroup_id_x 1
		.amdhsa_system_sgpr_workgroup_id_y 0
		.amdhsa_system_sgpr_workgroup_id_z 0
		.amdhsa_system_sgpr_workgroup_info 0
		.amdhsa_system_vgpr_workitem_id 0
		.amdhsa_next_free_vgpr 71
		.amdhsa_next_free_sgpr 28
		.amdhsa_accum_offset 72
		.amdhsa_reserve_vcc 1
		.amdhsa_float_round_mode_32 0
		.amdhsa_float_round_mode_16_64 0
		.amdhsa_float_denorm_mode_32 3
		.amdhsa_float_denorm_mode_16_64 3
		.amdhsa_dx10_clamp 1
		.amdhsa_ieee_mode 1
		.amdhsa_fp16_overflow 0
		.amdhsa_tg_split 0
		.amdhsa_exception_fp_ieee_invalid_op 0
		.amdhsa_exception_fp_denorm_src 0
		.amdhsa_exception_fp_ieee_div_zero 0
		.amdhsa_exception_fp_ieee_overflow 0
		.amdhsa_exception_fp_ieee_underflow 0
		.amdhsa_exception_fp_ieee_inexact 0
		.amdhsa_exception_int_div_zero 0
	.end_amdhsa_kernel
	.section	.text._Z16sort_keys_kernelIxLj256ELj1EN10test_utils4lessELj10EEvPKT_PS2_T2_,"axG",@progbits,_Z16sort_keys_kernelIxLj256ELj1EN10test_utils4lessELj10EEvPKT_PS2_T2_,comdat
.Lfunc_end140:
	.size	_Z16sort_keys_kernelIxLj256ELj1EN10test_utils4lessELj10EEvPKT_PS2_T2_, .Lfunc_end140-_Z16sort_keys_kernelIxLj256ELj1EN10test_utils4lessELj10EEvPKT_PS2_T2_
                                        ; -- End function
	.section	.AMDGPU.csdata,"",@progbits
; Kernel info:
; codeLenInByte = 2644
; NumSgprs: 34
; NumVgprs: 71
; NumAgprs: 0
; TotalNumVgprs: 71
; ScratchSize: 0
; MemoryBound: 0
; FloatMode: 240
; IeeeMode: 1
; LDSByteSize: 2056 bytes/workgroup (compile time only)
; SGPRBlocks: 4
; VGPRBlocks: 8
; NumSGPRsForWavesPerEU: 34
; NumVGPRsForWavesPerEU: 71
; AccumOffset: 72
; Occupancy: 7
; WaveLimiterHint : 0
; COMPUTE_PGM_RSRC2:SCRATCH_EN: 0
; COMPUTE_PGM_RSRC2:USER_SGPR: 2
; COMPUTE_PGM_RSRC2:TRAP_HANDLER: 0
; COMPUTE_PGM_RSRC2:TGID_X_EN: 1
; COMPUTE_PGM_RSRC2:TGID_Y_EN: 0
; COMPUTE_PGM_RSRC2:TGID_Z_EN: 0
; COMPUTE_PGM_RSRC2:TIDIG_COMP_CNT: 0
; COMPUTE_PGM_RSRC3_GFX90A:ACCUM_OFFSET: 17
; COMPUTE_PGM_RSRC3_GFX90A:TG_SPLIT: 0
	.section	.text._Z17sort_pairs_kernelIxLj256ELj1EN10test_utils4lessELj10EEvPKT_PS2_T2_,"axG",@progbits,_Z17sort_pairs_kernelIxLj256ELj1EN10test_utils4lessELj10EEvPKT_PS2_T2_,comdat
	.protected	_Z17sort_pairs_kernelIxLj256ELj1EN10test_utils4lessELj10EEvPKT_PS2_T2_ ; -- Begin function _Z17sort_pairs_kernelIxLj256ELj1EN10test_utils4lessELj10EEvPKT_PS2_T2_
	.globl	_Z17sort_pairs_kernelIxLj256ELj1EN10test_utils4lessELj10EEvPKT_PS2_T2_
	.p2align	8
	.type	_Z17sort_pairs_kernelIxLj256ELj1EN10test_utils4lessELj10EEvPKT_PS2_T2_,@function
_Z17sort_pairs_kernelIxLj256ELj1EN10test_utils4lessELj10EEvPKT_PS2_T2_: ; @_Z17sort_pairs_kernelIxLj256ELj1EN10test_utils4lessELj10EEvPKT_PS2_T2_
; %bb.0:
	s_load_dwordx4 s[20:23], s[0:1], 0x0
	s_lshl_b32 s24, s2, 8
	s_mov_b32 s25, 0
	v_and_b32_e32 v6, 0xfe, v0
	s_lshl_b64 s[26:27], s[24:25], 3
	v_and_b32_e32 v7, 1, v0
	v_or_b32_e32 v8, 1, v6
	v_and_b32_e32 v14, 0xfc, v0
	s_waitcnt lgkmcnt(0)
	s_add_u32 s2, s20, s26
	v_sub_u32_e32 v2, v8, v6
	v_add_u32_e32 v3, -1, v7
	v_cmp_lt_i32_e32 vcc, 0, v7
	v_or_b32_e32 v16, 2, v14
	v_add_u32_e32 v17, 4, v14
	s_addc_u32 s3, s21, s27
	v_lshlrev_b32_e32 v1, 3, v0
	v_cndmask_b32_e32 v11, 0, v3, vcc
	v_min_i32_e32 v12, v7, v2
	v_and_b32_e32 v15, 3, v0
	v_sub_u32_e32 v2, v16, v14
	v_sub_u32_e32 v3, v17, v16
	;; [unrolled: 1-line block ×3, first 2 shown]
	v_cmp_ge_i32_e64 s[0:1], v15, v3
	v_min_i32_e32 v21, v15, v2
	global_load_dwordx2 v[2:3], v1, s[2:3]
	v_and_b32_e32 v23, 0xf8, v0
	v_or_b32_e32 v25, 4, v23
	v_add_u32_e32 v26, 8, v23
	v_and_b32_e32 v32, 0xf0, v0
	v_and_b32_e32 v24, 7, v0
	v_sub_u32_e32 v5, v26, v25
	v_or_b32_e32 v34, 8, v32
	v_add_u32_e32 v35, 16, v32
	v_and_b32_e32 v41, 0xe0, v0
	v_cndmask_b32_e64 v20, 0, v4, s[0:1]
	v_sub_u32_e32 v4, v25, v23
	v_sub_u32_e32 v29, v24, v5
	v_cmp_ge_i32_e64 s[2:3], v24, v5
	v_and_b32_e32 v33, 15, v0
	v_sub_u32_e32 v5, v35, v34
	v_or_b32_e32 v43, 16, v41
	v_add_u32_e32 v44, 32, v41
	v_and_b32_e32 v48, 0xc0, v0
	v_min_i32_e32 v30, v24, v4
	v_sub_u32_e32 v4, v34, v32
	v_sub_u32_e32 v38, v33, v5
	v_cmp_ge_i32_e64 s[4:5], v33, v5
	v_and_b32_e32 v42, 31, v0
	v_sub_u32_e32 v5, v44, v43
	v_or_b32_e32 v50, 32, v48
	v_add_u32_e32 v51, 64, v48
	v_and_b32_e32 v55, 0x80, v0
	v_min_i32_e32 v39, v33, v4
	v_sub_u32_e32 v4, v43, v41
	v_sub_u32_e32 v46, v42, v5
	v_cmp_ge_i32_e64 s[6:7], v42, v5
	v_and_b32_e32 v49, 63, v0
	v_sub_u32_e32 v5, v51, v50
	v_or_b32_e32 v57, 64, v55
	v_add_u32_e32 v58, 0x80, v55
	v_min_i32_e32 v47, v42, v4
	v_sub_u32_e32 v4, v50, v48
	v_sub_u32_e32 v52, v49, v5
	v_cmp_ge_i32_e64 s[8:9], v49, v5
	v_and_b32_e32 v56, 0x7f, v0
	v_sub_u32_e32 v5, v58, v57
	v_min_i32_e32 v53, v49, v4
	v_mov_b32_e32 v54, 0x80
	v_sub_u32_e32 v4, v57, v55
	v_sub_u32_e32 v59, v56, v5
	v_cmp_ge_i32_e64 s[10:11], v56, v5
	v_cndmask_b32_e64 v29, 0, v29, s[2:3]
	v_cndmask_b32_e64 v38, 0, v38, s[4:5]
	v_cndmask_b32_e64 v46, 0, v46, s[6:7]
	v_cndmask_b32_e64 v52, 0, v52, s[8:9]
	v_cndmask_b32_e64 v59, 0, v59, s[10:11]
	v_min_i32_e32 v60, v56, v4
	v_sub_u32_e64 v61, v0, v54 clamp
	v_min_i32_e32 v62, 0x80, v0
	v_lshlrev_b32_e32 v9, 3, v6
	v_lshlrev_b32_e32 v10, 3, v8
	v_cmp_lt_i32_e32 vcc, v11, v12
	v_add_u32_e32 v13, v8, v7
	v_lshlrev_b32_e32 v18, 3, v14
	v_lshlrev_b32_e32 v19, 3, v16
	v_cmp_lt_i32_e64 s[0:1], v20, v21
	v_add_u32_e32 v22, v16, v15
	v_lshlrev_b32_e32 v27, 3, v23
	v_lshlrev_b32_e32 v28, 3, v25
	v_cmp_lt_i32_e64 s[2:3], v29, v30
	;; [unrolled: 4-line block ×3, first 2 shown]
	v_add_u32_e32 v40, v34, v33
	v_lshlrev_b32_e32 v45, 3, v41
	v_cmp_lt_i32_e64 s[6:7], v46, v47
	v_cmp_lt_i32_e64 s[8:9], v52, v53
	;; [unrolled: 1-line block ×4, first 2 shown]
	s_movk_i32 s20, 0x100
	v_lshlrev_b32_e32 v63, 3, v43
	v_add_u32_e32 v64, v43, v42
	v_lshlrev_b32_e32 v65, 3, v48
	v_lshlrev_b32_e32 v66, 3, v50
	v_add_u32_e32 v67, v50, v49
	v_lshlrev_b32_e32 v68, 3, v55
	v_lshlrev_b32_e32 v69, 3, v57
	v_add_u32_e32 v70, v57, v56
	v_mov_b32_e32 v71, 0x400
	v_add_u32_e32 v72, 0x80, v0
	s_waitcnt vmcnt(0)
	v_lshl_add_u64 v[4:5], v[2:3], 0, 1
	s_branch .LBB141_2
.LBB141_1:                              ;   in Loop: Header=BB141_2 Depth=1
	s_or_b64 exec, exec, s[16:17]
	v_sub_u32_e32 v73, v72, v2
	v_lshlrev_b32_e32 v3, 3, v2
	v_lshlrev_b32_e32 v76, 3, v73
	ds_read_b64 v[74:75], v3
	ds_read_b64 v[76:77], v76
	v_cmp_le_i32_e64 s[14:15], v54, v2
	v_cmp_gt_i32_e64 s[16:17], s20, v73
	s_waitcnt lgkmcnt(0)
	s_barrier
	v_cmp_lt_i64_e64 s[18:19], v[76:77], v[74:75]
	s_or_b64 s[14:15], s[14:15], s[18:19]
	s_and_b64 s[14:15], s[16:17], s[14:15]
	v_cndmask_b32_e64 v2, v2, v73, s[14:15]
	v_lshlrev_b32_e32 v2, 3, v2
	ds_write_b64 v1, v[4:5]
	s_waitcnt lgkmcnt(0)
	s_barrier
	ds_read_b64 v[4:5], v2
	s_add_i32 s25, s25, 1
	v_cndmask_b32_e64 v3, v75, v77, s[14:15]
	s_cmp_lg_u32 s25, 10
	v_cndmask_b32_e64 v2, v74, v76, s[14:15]
	s_cbranch_scc0 .LBB141_34
.LBB141_2:                              ; =>This Loop Header: Depth=1
                                        ;     Child Loop BB141_4 Depth 2
                                        ;     Child Loop BB141_8 Depth 2
	;; [unrolled: 1-line block ×8, first 2 shown]
	s_barrier
	ds_write_b64 v1, v[2:3]
	v_mov_b32_e32 v2, v11
	s_waitcnt lgkmcnt(0)
	s_barrier
	s_and_saveexec_b64 s[16:17], vcc
	s_cbranch_execz .LBB141_6
; %bb.3:                                ;   in Loop: Header=BB141_2 Depth=1
	s_mov_b64 s[18:19], 0
	v_mov_b32_e32 v2, v11
	v_mov_b32_e32 v3, v12
.LBB141_4:                              ;   Parent Loop BB141_2 Depth=1
                                        ; =>  This Inner Loop Header: Depth=2
	v_sub_u32_e32 v73, v3, v2
	v_lshrrev_b32_e32 v74, 31, v73
	v_add_u32_e32 v73, v73, v74
	v_ashrrev_i32_e32 v73, 1, v73
	v_add_u32_e32 v73, v73, v2
	v_xad_u32 v75, v73, -1, v7
	v_lshl_add_u32 v74, v73, 3, v9
	v_lshl_add_u32 v76, v75, 3, v10
	ds_read_b64 v[74:75], v74
	ds_read_b64 v[76:77], v76
	v_add_u32_e32 v78, 1, v73
	s_waitcnt lgkmcnt(0)
	v_cmp_lt_i64_e64 s[14:15], v[76:77], v[74:75]
	s_nop 1
	v_cndmask_b32_e64 v3, v3, v73, s[14:15]
	v_cndmask_b32_e64 v2, v78, v2, s[14:15]
	v_cmp_ge_i32_e64 s[14:15], v2, v3
	s_or_b64 s[18:19], s[14:15], s[18:19]
	s_andn2_b64 exec, exec, s[18:19]
	s_cbranch_execnz .LBB141_4
; %bb.5:                                ;   in Loop: Header=BB141_2 Depth=1
	s_or_b64 exec, exec, s[18:19]
.LBB141_6:                              ;   in Loop: Header=BB141_2 Depth=1
	s_or_b64 exec, exec, s[16:17]
	v_sub_u32_e32 v3, v13, v2
	v_lshl_add_u32 v73, v2, 3, v9
	v_lshlrev_b32_e32 v76, 3, v3
	ds_read_b64 v[74:75], v73
	ds_read_b64 v[76:77], v76
	v_add_u32_e32 v2, v2, v6
	v_cmp_le_i32_e64 s[16:17], v8, v2
	v_cmp_ge_i32_e64 s[14:15], v8, v3
	s_waitcnt lgkmcnt(0)
	v_cmp_lt_i64_e64 s[18:19], v[76:77], v[74:75]
	s_or_b64 s[16:17], s[16:17], s[18:19]
	s_and_b64 s[14:15], s[14:15], s[16:17]
	v_cndmask_b32_e64 v2, v2, v3, s[14:15]
	v_lshlrev_b32_e32 v2, 3, v2
	s_barrier
	ds_write_b64 v1, v[4:5]
	s_waitcnt lgkmcnt(0)
	s_barrier
	ds_read_b64 v[2:3], v2
	v_cndmask_b32_e64 v75, v75, v77, s[14:15]
	v_cndmask_b32_e64 v74, v74, v76, s[14:15]
	v_mov_b32_e32 v4, v20
	s_waitcnt lgkmcnt(0)
	s_barrier
	ds_write_b64 v1, v[74:75]
	s_waitcnt lgkmcnt(0)
	s_barrier
	s_and_saveexec_b64 s[16:17], s[0:1]
	s_cbranch_execz .LBB141_10
; %bb.7:                                ;   in Loop: Header=BB141_2 Depth=1
	s_mov_b64 s[18:19], 0
	v_mov_b32_e32 v4, v20
	v_mov_b32_e32 v5, v21
.LBB141_8:                              ;   Parent Loop BB141_2 Depth=1
                                        ; =>  This Inner Loop Header: Depth=2
	v_sub_u32_e32 v73, v5, v4
	v_lshrrev_b32_e32 v74, 31, v73
	v_add_u32_e32 v73, v73, v74
	v_ashrrev_i32_e32 v73, 1, v73
	v_add_u32_e32 v73, v73, v4
	v_xad_u32 v75, v73, -1, v15
	v_lshl_add_u32 v74, v73, 3, v18
	v_lshl_add_u32 v76, v75, 3, v19
	ds_read_b64 v[74:75], v74
	ds_read_b64 v[76:77], v76
	v_add_u32_e32 v78, 1, v73
	s_waitcnt lgkmcnt(0)
	v_cmp_lt_i64_e64 s[14:15], v[76:77], v[74:75]
	s_nop 1
	v_cndmask_b32_e64 v5, v5, v73, s[14:15]
	v_cndmask_b32_e64 v4, v78, v4, s[14:15]
	v_cmp_ge_i32_e64 s[14:15], v4, v5
	s_or_b64 s[18:19], s[14:15], s[18:19]
	s_andn2_b64 exec, exec, s[18:19]
	s_cbranch_execnz .LBB141_8
; %bb.9:                                ;   in Loop: Header=BB141_2 Depth=1
	s_or_b64 exec, exec, s[18:19]
.LBB141_10:                             ;   in Loop: Header=BB141_2 Depth=1
	s_or_b64 exec, exec, s[16:17]
	v_sub_u32_e32 v73, v22, v4
	v_lshl_add_u32 v5, v4, 3, v18
	v_lshlrev_b32_e32 v76, 3, v73
	ds_read_b64 v[74:75], v5
	ds_read_b64 v[76:77], v76
	v_add_u32_e32 v78, v4, v14
	v_cmp_le_i32_e64 s[16:17], v16, v78
	v_cmp_gt_i32_e64 s[14:15], v17, v73
	s_waitcnt lgkmcnt(0)
	v_cmp_lt_i64_e64 s[18:19], v[76:77], v[74:75]
	s_or_b64 s[16:17], s[16:17], s[18:19]
	s_and_b64 s[14:15], s[14:15], s[16:17]
	v_cndmask_b32_e64 v73, v78, v73, s[14:15]
	s_barrier
	ds_write_b64 v1, v[2:3]
	v_lshlrev_b32_e32 v2, 3, v73
	s_waitcnt lgkmcnt(0)
	s_barrier
	ds_read_b64 v[2:3], v2
	v_cndmask_b32_e64 v5, v75, v77, s[14:15]
	v_cndmask_b32_e64 v4, v74, v76, s[14:15]
	s_waitcnt lgkmcnt(0)
	s_barrier
	ds_write_b64 v1, v[4:5]
	v_mov_b32_e32 v4, v29
	s_waitcnt lgkmcnt(0)
	s_barrier
	s_and_saveexec_b64 s[16:17], s[2:3]
	s_cbranch_execz .LBB141_14
; %bb.11:                               ;   in Loop: Header=BB141_2 Depth=1
	s_mov_b64 s[18:19], 0
	v_mov_b32_e32 v4, v29
	v_mov_b32_e32 v5, v30
.LBB141_12:                             ;   Parent Loop BB141_2 Depth=1
                                        ; =>  This Inner Loop Header: Depth=2
	v_sub_u32_e32 v73, v5, v4
	v_lshrrev_b32_e32 v74, 31, v73
	v_add_u32_e32 v73, v73, v74
	v_ashrrev_i32_e32 v73, 1, v73
	v_add_u32_e32 v73, v73, v4
	v_xad_u32 v75, v73, -1, v24
	v_lshl_add_u32 v74, v73, 3, v27
	v_lshl_add_u32 v76, v75, 3, v28
	ds_read_b64 v[74:75], v74
	ds_read_b64 v[76:77], v76
	v_add_u32_e32 v78, 1, v73
	s_waitcnt lgkmcnt(0)
	v_cmp_lt_i64_e64 s[14:15], v[76:77], v[74:75]
	s_nop 1
	v_cndmask_b32_e64 v5, v5, v73, s[14:15]
	v_cndmask_b32_e64 v4, v78, v4, s[14:15]
	v_cmp_ge_i32_e64 s[14:15], v4, v5
	s_or_b64 s[18:19], s[14:15], s[18:19]
	s_andn2_b64 exec, exec, s[18:19]
	s_cbranch_execnz .LBB141_12
; %bb.13:                               ;   in Loop: Header=BB141_2 Depth=1
	s_or_b64 exec, exec, s[18:19]
.LBB141_14:                             ;   in Loop: Header=BB141_2 Depth=1
	s_or_b64 exec, exec, s[16:17]
	v_sub_u32_e32 v73, v31, v4
	v_lshl_add_u32 v5, v4, 3, v27
	v_lshlrev_b32_e32 v76, 3, v73
	ds_read_b64 v[74:75], v5
	ds_read_b64 v[76:77], v76
	v_add_u32_e32 v78, v4, v23
	v_cmp_le_i32_e64 s[16:17], v25, v78
	v_cmp_gt_i32_e64 s[14:15], v26, v73
	s_waitcnt lgkmcnt(0)
	v_cmp_lt_i64_e64 s[18:19], v[76:77], v[74:75]
	s_or_b64 s[16:17], s[16:17], s[18:19]
	s_and_b64 s[14:15], s[14:15], s[16:17]
	v_cndmask_b32_e64 v73, v78, v73, s[14:15]
	s_barrier
	ds_write_b64 v1, v[2:3]
	v_lshlrev_b32_e32 v2, 3, v73
	s_waitcnt lgkmcnt(0)
	s_barrier
	ds_read_b64 v[2:3], v2
	v_cndmask_b32_e64 v5, v75, v77, s[14:15]
	v_cndmask_b32_e64 v4, v74, v76, s[14:15]
	s_waitcnt lgkmcnt(0)
	s_barrier
	ds_write_b64 v1, v[4:5]
	v_mov_b32_e32 v4, v38
	s_waitcnt lgkmcnt(0)
	s_barrier
	s_and_saveexec_b64 s[16:17], s[4:5]
	s_cbranch_execz .LBB141_18
; %bb.15:                               ;   in Loop: Header=BB141_2 Depth=1
	s_mov_b64 s[18:19], 0
	v_mov_b32_e32 v4, v38
	v_mov_b32_e32 v5, v39
.LBB141_16:                             ;   Parent Loop BB141_2 Depth=1
                                        ; =>  This Inner Loop Header: Depth=2
	v_sub_u32_e32 v73, v5, v4
	v_lshrrev_b32_e32 v74, 31, v73
	v_add_u32_e32 v73, v73, v74
	v_ashrrev_i32_e32 v73, 1, v73
	v_add_u32_e32 v73, v73, v4
	v_xad_u32 v75, v73, -1, v33
	v_lshl_add_u32 v74, v73, 3, v36
	v_lshl_add_u32 v76, v75, 3, v37
	ds_read_b64 v[74:75], v74
	ds_read_b64 v[76:77], v76
	v_add_u32_e32 v78, 1, v73
	s_waitcnt lgkmcnt(0)
	v_cmp_lt_i64_e64 s[14:15], v[76:77], v[74:75]
	s_nop 1
	v_cndmask_b32_e64 v5, v5, v73, s[14:15]
	v_cndmask_b32_e64 v4, v78, v4, s[14:15]
	v_cmp_ge_i32_e64 s[14:15], v4, v5
	s_or_b64 s[18:19], s[14:15], s[18:19]
	s_andn2_b64 exec, exec, s[18:19]
	s_cbranch_execnz .LBB141_16
; %bb.17:                               ;   in Loop: Header=BB141_2 Depth=1
	s_or_b64 exec, exec, s[18:19]
.LBB141_18:                             ;   in Loop: Header=BB141_2 Depth=1
	;; [unrolled: 59-line block ×5, first 2 shown]
	s_or_b64 exec, exec, s[16:17]
	v_sub_u32_e32 v5, v70, v4
	v_lshl_add_u32 v73, v4, 3, v68
	v_lshlrev_b32_e32 v76, 3, v5
	ds_read_b64 v[74:75], v73
	ds_read_b64 v[76:77], v76
	v_add_u32_e32 v4, v4, v55
	v_cmp_le_i32_e64 s[16:17], v57, v4
	v_cmp_gt_i32_e64 s[14:15], v58, v5
	s_waitcnt lgkmcnt(0)
	v_cmp_lt_i64_e64 s[18:19], v[76:77], v[74:75]
	s_or_b64 s[16:17], s[16:17], s[18:19]
	s_and_b64 s[14:15], s[14:15], s[16:17]
	v_cndmask_b32_e64 v4, v4, v5, s[14:15]
	s_barrier
	ds_write_b64 v1, v[2:3]
	v_lshlrev_b32_e32 v2, 3, v4
	s_waitcnt lgkmcnt(0)
	s_barrier
	ds_read_b64 v[4:5], v2
	v_cndmask_b32_e64 v75, v75, v77, s[14:15]
	v_cndmask_b32_e64 v74, v74, v76, s[14:15]
	v_mov_b32_e32 v2, v61
	s_waitcnt lgkmcnt(0)
	s_barrier
	ds_write_b64 v1, v[74:75]
	s_waitcnt lgkmcnt(0)
	s_barrier
	s_and_saveexec_b64 s[16:17], s[12:13]
	s_cbranch_execz .LBB141_1
; %bb.31:                               ;   in Loop: Header=BB141_2 Depth=1
	s_mov_b64 s[18:19], 0
	v_mov_b32_e32 v2, v61
	v_mov_b32_e32 v3, v62
.LBB141_32:                             ;   Parent Loop BB141_2 Depth=1
                                        ; =>  This Inner Loop Header: Depth=2
	v_sub_u32_e32 v73, v3, v2
	v_lshrrev_b32_e32 v74, 31, v73
	v_add_u32_e32 v73, v73, v74
	v_ashrrev_i32_e32 v73, 1, v73
	v_add_u32_e32 v73, v73, v2
	v_xad_u32 v75, v73, -1, v0
	v_lshlrev_b32_e32 v74, 3, v73
	v_lshl_add_u32 v76, v75, 3, v71
	ds_read_b64 v[74:75], v74
	ds_read_b64 v[76:77], v76
	v_add_u32_e32 v78, 1, v73
	s_waitcnt lgkmcnt(0)
	v_cmp_lt_i64_e64 s[14:15], v[76:77], v[74:75]
	s_nop 1
	v_cndmask_b32_e64 v3, v3, v73, s[14:15]
	v_cndmask_b32_e64 v2, v78, v2, s[14:15]
	v_cmp_ge_i32_e64 s[14:15], v2, v3
	s_or_b64 s[18:19], s[14:15], s[18:19]
	s_andn2_b64 exec, exec, s[18:19]
	s_cbranch_execnz .LBB141_32
; %bb.33:                               ;   in Loop: Header=BB141_2 Depth=1
	s_or_b64 exec, exec, s[18:19]
	s_branch .LBB141_1
.LBB141_34:
	s_add_u32 s0, s22, s26
	s_waitcnt lgkmcnt(0)
	v_lshl_add_u64 v[2:3], v[2:3], 0, v[4:5]
	s_addc_u32 s1, s23, s27
	v_lshlrev_b32_e32 v0, 3, v0
	global_store_dwordx2 v0, v[2:3], s[0:1]
	s_endpgm
	.section	.rodata,"a",@progbits
	.p2align	6, 0x0
	.amdhsa_kernel _Z17sort_pairs_kernelIxLj256ELj1EN10test_utils4lessELj10EEvPKT_PS2_T2_
		.amdhsa_group_segment_fixed_size 2056
		.amdhsa_private_segment_fixed_size 0
		.amdhsa_kernarg_size 20
		.amdhsa_user_sgpr_count 2
		.amdhsa_user_sgpr_dispatch_ptr 0
		.amdhsa_user_sgpr_queue_ptr 0
		.amdhsa_user_sgpr_kernarg_segment_ptr 1
		.amdhsa_user_sgpr_dispatch_id 0
		.amdhsa_user_sgpr_kernarg_preload_length 0
		.amdhsa_user_sgpr_kernarg_preload_offset 0
		.amdhsa_user_sgpr_private_segment_size 0
		.amdhsa_uses_dynamic_stack 0
		.amdhsa_enable_private_segment 0
		.amdhsa_system_sgpr_workgroup_id_x 1
		.amdhsa_system_sgpr_workgroup_id_y 0
		.amdhsa_system_sgpr_workgroup_id_z 0
		.amdhsa_system_sgpr_workgroup_info 0
		.amdhsa_system_vgpr_workitem_id 0
		.amdhsa_next_free_vgpr 79
		.amdhsa_next_free_sgpr 28
		.amdhsa_accum_offset 80
		.amdhsa_reserve_vcc 1
		.amdhsa_float_round_mode_32 0
		.amdhsa_float_round_mode_16_64 0
		.amdhsa_float_denorm_mode_32 3
		.amdhsa_float_denorm_mode_16_64 3
		.amdhsa_dx10_clamp 1
		.amdhsa_ieee_mode 1
		.amdhsa_fp16_overflow 0
		.amdhsa_tg_split 0
		.amdhsa_exception_fp_ieee_invalid_op 0
		.amdhsa_exception_fp_denorm_src 0
		.amdhsa_exception_fp_ieee_div_zero 0
		.amdhsa_exception_fp_ieee_overflow 0
		.amdhsa_exception_fp_ieee_underflow 0
		.amdhsa_exception_fp_ieee_inexact 0
		.amdhsa_exception_int_div_zero 0
	.end_amdhsa_kernel
	.section	.text._Z17sort_pairs_kernelIxLj256ELj1EN10test_utils4lessELj10EEvPKT_PS2_T2_,"axG",@progbits,_Z17sort_pairs_kernelIxLj256ELj1EN10test_utils4lessELj10EEvPKT_PS2_T2_,comdat
.Lfunc_end141:
	.size	_Z17sort_pairs_kernelIxLj256ELj1EN10test_utils4lessELj10EEvPKT_PS2_T2_, .Lfunc_end141-_Z17sort_pairs_kernelIxLj256ELj1EN10test_utils4lessELj10EEvPKT_PS2_T2_
                                        ; -- End function
	.section	.AMDGPU.csdata,"",@progbits
; Kernel info:
; codeLenInByte = 3040
; NumSgprs: 34
; NumVgprs: 79
; NumAgprs: 0
; TotalNumVgprs: 79
; ScratchSize: 0
; MemoryBound: 0
; FloatMode: 240
; IeeeMode: 1
; LDSByteSize: 2056 bytes/workgroup (compile time only)
; SGPRBlocks: 4
; VGPRBlocks: 9
; NumSGPRsForWavesPerEU: 34
; NumVGPRsForWavesPerEU: 79
; AccumOffset: 80
; Occupancy: 6
; WaveLimiterHint : 0
; COMPUTE_PGM_RSRC2:SCRATCH_EN: 0
; COMPUTE_PGM_RSRC2:USER_SGPR: 2
; COMPUTE_PGM_RSRC2:TRAP_HANDLER: 0
; COMPUTE_PGM_RSRC2:TGID_X_EN: 1
; COMPUTE_PGM_RSRC2:TGID_Y_EN: 0
; COMPUTE_PGM_RSRC2:TGID_Z_EN: 0
; COMPUTE_PGM_RSRC2:TIDIG_COMP_CNT: 0
; COMPUTE_PGM_RSRC3_GFX90A:ACCUM_OFFSET: 19
; COMPUTE_PGM_RSRC3_GFX90A:TG_SPLIT: 0
	.section	.text._Z16sort_keys_kernelIxLj256ELj2EN10test_utils4lessELj10EEvPKT_PS2_T2_,"axG",@progbits,_Z16sort_keys_kernelIxLj256ELj2EN10test_utils4lessELj10EEvPKT_PS2_T2_,comdat
	.protected	_Z16sort_keys_kernelIxLj256ELj2EN10test_utils4lessELj10EEvPKT_PS2_T2_ ; -- Begin function _Z16sort_keys_kernelIxLj256ELj2EN10test_utils4lessELj10EEvPKT_PS2_T2_
	.globl	_Z16sort_keys_kernelIxLj256ELj2EN10test_utils4lessELj10EEvPKT_PS2_T2_
	.p2align	8
	.type	_Z16sort_keys_kernelIxLj256ELj2EN10test_utils4lessELj10EEvPKT_PS2_T2_,@function
_Z16sort_keys_kernelIxLj256ELj2EN10test_utils4lessELj10EEvPKT_PS2_T2_: ; @_Z16sort_keys_kernelIxLj256ELj2EN10test_utils4lessELj10EEvPKT_PS2_T2_
; %bb.0:
	s_load_dwordx4 s[20:23], s[0:1], 0x0
	s_lshl_b32 s24, s2, 9
	s_mov_b32 s25, 0
	s_lshl_b64 s[26:27], s[24:25], 3
	v_lshlrev_b32_e32 v1, 3, v0
	s_waitcnt lgkmcnt(0)
	s_add_u32 s0, s20, s26
	s_addc_u32 s1, s21, s27
	global_load_dwordx2 v[2:3], v1, s[0:1]
	global_load_dwordx2 v[4:5], v1, s[0:1] offset:2048
	v_lshlrev_b32_e32 v1, 1, v0
	v_and_b32_e32 v11, 0x1fc, v1
	v_or_b32_e32 v13, 2, v11
	v_add_u32_e32 v14, 4, v11
	v_and_b32_e32 v20, 0x1f8, v1
	v_and_b32_e32 v12, 2, v1
	v_sub_u32_e32 v7, v14, v13
	v_or_b32_e32 v22, 4, v20
	v_add_u32_e32 v23, 8, v20
	v_and_b32_e32 v29, 0x1f0, v1
	v_sub_u32_e32 v6, v13, v11
	v_sub_u32_e32 v8, v12, v7
	v_cmp_ge_i32_e32 vcc, v12, v7
	v_and_b32_e32 v21, 6, v1
	v_sub_u32_e32 v7, v23, v22
	v_or_b32_e32 v31, 8, v29
	v_add_u32_e32 v32, 16, v29
	v_and_b32_e32 v36, 0x1e0, v1
	v_cndmask_b32_e32 v17, 0, v8, vcc
	v_min_i32_e32 v18, v12, v6
	v_sub_u32_e32 v6, v22, v20
	v_sub_u32_e32 v8, v21, v7
	v_cmp_ge_i32_e64 s[0:1], v21, v7
	v_and_b32_e32 v30, 14, v1
	v_sub_u32_e32 v7, v32, v31
	v_or_b32_e32 v38, 16, v36
	v_add_u32_e32 v39, 32, v36
	v_and_b32_e32 v42, 0x1c0, v1
	v_cndmask_b32_e64 v26, 0, v8, s[0:1]
	v_min_i32_e32 v27, v21, v6
	v_sub_u32_e32 v6, v31, v29
	v_sub_u32_e32 v8, v30, v7
	v_cmp_ge_i32_e64 s[2:3], v30, v7
	v_and_b32_e32 v37, 30, v1
	v_sub_u32_e32 v7, v39, v38
	v_or_b32_e32 v44, 32, v42
	v_add_u32_e32 v45, 64, v42
	v_and_b32_e32 v48, 0x180, v1
	v_cndmask_b32_e64 v34, 0, v8, s[2:3]
	;; [unrolled: 10-line block ×3, first 2 shown]
	v_min_i32_e32 v41, v37, v6
	v_sub_u32_e32 v6, v44, v42
	v_sub_u32_e32 v8, v43, v7
	v_cmp_ge_i32_e64 s[6:7], v43, v7
	v_and_b32_e32 v49, 0x7e, v1
	v_sub_u32_e32 v7, v51, v50
	v_or_b32_e32 v57, 0x80, v55
	v_add_u32_e32 v58, 0x100, v55
	v_cndmask_b32_e64 v46, 0, v8, s[6:7]
	v_min_i32_e32 v47, v43, v6
	v_sub_u32_e32 v6, v50, v48
	v_sub_u32_e32 v8, v49, v7
	v_cmp_ge_i32_e64 s[8:9], v49, v7
	v_and_b32_e32 v56, 0xfe, v1
	v_sub_u32_e32 v7, v58, v57
	v_cndmask_b32_e64 v52, 0, v8, s[8:9]
	v_min_i32_e32 v53, v49, v6
	v_mov_b32_e32 v54, 0x100
	v_sub_u32_e32 v6, v57, v55
	v_sub_u32_e32 v8, v56, v7
	v_cmp_ge_i32_e64 s[10:11], v56, v7
	v_min_i32_e32 v60, v56, v6
	v_sub_u32_e64 v61, v1, v54 clamp
	v_cndmask_b32_e64 v59, 0, v8, s[10:11]
	v_min_i32_e32 v62, 0x100, v1
	v_lshlrev_b32_e32 v10, 4, v0
	v_lshlrev_b32_e32 v15, 3, v11
	v_lshlrev_b32_e32 v16, 3, v13
	v_cmp_lt_i32_e32 vcc, v17, v18
	v_add_u32_e32 v19, v13, v12
	v_lshlrev_b32_e32 v24, 3, v20
	v_lshlrev_b32_e32 v25, 3, v22
	v_cmp_lt_i32_e64 s[0:1], v26, v27
	v_add_u32_e32 v28, v22, v21
	v_lshlrev_b32_e32 v33, 3, v29
	v_cmp_lt_i32_e64 s[2:3], v34, v35
	v_cmp_lt_i32_e64 s[4:5], v40, v41
	;; [unrolled: 1-line block ×6, first 2 shown]
	s_movk_i32 s20, 0x200
	v_lshlrev_b32_e32 v63, 3, v31
	v_add_u32_e32 v64, v31, v30
	v_lshlrev_b32_e32 v65, 3, v36
	v_lshlrev_b32_e32 v66, 3, v38
	v_add_u32_e32 v67, v38, v37
	v_lshlrev_b32_e32 v68, 3, v42
	;; [unrolled: 3-line block ×4, first 2 shown]
	v_lshlrev_b32_e32 v75, 3, v57
	v_add_u32_e32 v76, v57, v56
	v_add_u32_e32 v77, 0x100, v1
	s_branch .LBB142_2
.LBB142_1:                              ;   in Loop: Header=BB142_2 Depth=1
	s_or_b64 exec, exec, s[16:17]
	v_cmp_ge_i32_e64 s[16:17], v78, v54
	s_waitcnt lgkmcnt(0)
	v_cmp_lt_i64_e64 s[18:19], v[8:9], v[6:7]
	v_cndmask_b32_e64 v3, v3, v5, s[14:15]
	v_cndmask_b32_e64 v2, v2, v4, s[14:15]
	v_cmp_gt_i32_e64 s[14:15], s20, v79
	s_or_b64 s[16:17], s[16:17], s[18:19]
	s_and_b64 s[14:15], s[14:15], s[16:17]
	s_add_i32 s25, s25, 1
	v_cndmask_b32_e64 v5, v7, v9, s[14:15]
	s_cmp_eq_u32 s25, 10
	v_cndmask_b32_e64 v4, v6, v8, s[14:15]
	s_cbranch_scc1 .LBB142_66
.LBB142_2:                              ; =>This Loop Header: Depth=1
                                        ;     Child Loop BB142_4 Depth 2
                                        ;     Child Loop BB142_12 Depth 2
	;; [unrolled: 1-line block ×8, first 2 shown]
	s_waitcnt vmcnt(0)
	v_cmp_lt_i64_e64 s[14:15], v[4:5], v[2:3]
	s_barrier
	s_nop 0
	v_cndmask_b32_e64 v7, v5, v3, s[14:15]
	v_cndmask_b32_e64 v6, v4, v2, s[14:15]
	;; [unrolled: 1-line block ×4, first 2 shown]
	ds_write2_b64 v10, v[2:3], v[6:7] offset1:1
	v_mov_b32_e32 v6, v17
	s_waitcnt lgkmcnt(0)
	s_barrier
	s_and_saveexec_b64 s[16:17], vcc
	s_cbranch_execz .LBB142_6
; %bb.3:                                ;   in Loop: Header=BB142_2 Depth=1
	s_mov_b64 s[18:19], 0
	v_mov_b32_e32 v6, v17
	v_mov_b32_e32 v2, v18
.LBB142_4:                              ;   Parent Loop BB142_2 Depth=1
                                        ; =>  This Inner Loop Header: Depth=2
	v_sub_u32_e32 v3, v2, v6
	v_lshrrev_b32_e32 v4, 31, v3
	v_add_u32_e32 v3, v3, v4
	v_ashrrev_i32_e32 v3, 1, v3
	v_add_u32_e32 v3, v3, v6
	v_lshl_add_u32 v4, v3, 3, v15
	v_xad_u32 v5, v3, -1, v12
	v_lshl_add_u32 v7, v5, 3, v16
	ds_read_b64 v[4:5], v4
	ds_read_b64 v[8:9], v7
	v_add_u32_e32 v7, 1, v3
	s_waitcnt lgkmcnt(0)
	v_cmp_lt_i64_e64 s[14:15], v[8:9], v[4:5]
	s_nop 1
	v_cndmask_b32_e64 v2, v2, v3, s[14:15]
	v_cndmask_b32_e64 v6, v7, v6, s[14:15]
	v_cmp_ge_i32_e64 s[14:15], v6, v2
	s_or_b64 s[18:19], s[14:15], s[18:19]
	s_andn2_b64 exec, exec, s[18:19]
	s_cbranch_execnz .LBB142_4
; %bb.5:                                ;   in Loop: Header=BB142_2 Depth=1
	s_or_b64 exec, exec, s[18:19]
.LBB142_6:                              ;   in Loop: Header=BB142_2 Depth=1
	s_or_b64 exec, exec, s[16:17]
	v_sub_u32_e32 v78, v19, v6
	v_lshl_add_u32 v8, v6, 3, v15
	v_lshlrev_b32_e32 v80, 3, v78
	ds_read_b64 v[2:3], v8
	ds_read_b64 v[4:5], v80
	v_add_u32_e32 v79, v6, v11
	v_cmp_le_i32_e64 s[16:17], v13, v79
	v_cmp_gt_i32_e64 s[14:15], v14, v78
                                        ; implicit-def: $vgpr6_vgpr7
	s_waitcnt lgkmcnt(0)
	v_cmp_lt_i64_e64 s[18:19], v[4:5], v[2:3]
	s_or_b64 s[16:17], s[16:17], s[18:19]
	s_and_b64 s[14:15], s[14:15], s[16:17]
	s_xor_b64 s[16:17], s[14:15], -1
	s_and_saveexec_b64 s[18:19], s[16:17]
	s_xor_b64 s[16:17], exec, s[18:19]
	s_cbranch_execz .LBB142_8
; %bb.7:                                ;   in Loop: Header=BB142_2 Depth=1
	ds_read_b64 v[6:7], v8 offset:8
                                        ; implicit-def: $vgpr80
.LBB142_8:                              ;   in Loop: Header=BB142_2 Depth=1
	s_or_saveexec_b64 s[16:17], s[16:17]
	v_mov_b64_e32 v[8:9], v[4:5]
	s_xor_b64 exec, exec, s[16:17]
	s_cbranch_execz .LBB142_10
; %bb.9:                                ;   in Loop: Header=BB142_2 Depth=1
	ds_read_b64 v[8:9], v80 offset:8
	s_waitcnt lgkmcnt(1)
	v_mov_b64_e32 v[6:7], v[2:3]
.LBB142_10:                             ;   in Loop: Header=BB142_2 Depth=1
	s_or_b64 exec, exec, s[16:17]
	v_cndmask_b32_e64 v3, v3, v5, s[14:15]
	v_add_u32_e32 v5, 1, v79
	v_cndmask_b32_e64 v2, v2, v4, s[14:15]
	v_add_u32_e32 v4, 1, v78
	v_cndmask_b32_e64 v5, v5, v79, s[14:15]
	v_cndmask_b32_e64 v4, v78, v4, s[14:15]
	v_cmp_ge_i32_e64 s[16:17], v5, v13
	s_waitcnt lgkmcnt(0)
	v_cmp_lt_i64_e64 s[18:19], v[8:9], v[6:7]
	v_cmp_lt_i32_e64 s[14:15], v4, v14
	s_or_b64 s[16:17], s[16:17], s[18:19]
	s_and_b64 s[14:15], s[14:15], s[16:17]
	v_cndmask_b32_e64 v5, v7, v9, s[14:15]
	v_cndmask_b32_e64 v4, v6, v8, s[14:15]
	v_mov_b32_e32 v6, v26
	s_barrier
	ds_write2_b64 v10, v[2:3], v[4:5] offset1:1
	s_waitcnt lgkmcnt(0)
	s_barrier
	s_and_saveexec_b64 s[16:17], s[0:1]
	s_cbranch_execz .LBB142_14
; %bb.11:                               ;   in Loop: Header=BB142_2 Depth=1
	s_mov_b64 s[18:19], 0
	v_mov_b32_e32 v6, v26
	v_mov_b32_e32 v2, v27
.LBB142_12:                             ;   Parent Loop BB142_2 Depth=1
                                        ; =>  This Inner Loop Header: Depth=2
	v_sub_u32_e32 v3, v2, v6
	v_lshrrev_b32_e32 v4, 31, v3
	v_add_u32_e32 v3, v3, v4
	v_ashrrev_i32_e32 v3, 1, v3
	v_add_u32_e32 v3, v3, v6
	v_lshl_add_u32 v4, v3, 3, v24
	v_xad_u32 v5, v3, -1, v21
	v_lshl_add_u32 v7, v5, 3, v25
	ds_read_b64 v[4:5], v4
	ds_read_b64 v[8:9], v7
	v_add_u32_e32 v7, 1, v3
	s_waitcnt lgkmcnt(0)
	v_cmp_lt_i64_e64 s[14:15], v[8:9], v[4:5]
	s_nop 1
	v_cndmask_b32_e64 v2, v2, v3, s[14:15]
	v_cndmask_b32_e64 v6, v7, v6, s[14:15]
	v_cmp_ge_i32_e64 s[14:15], v6, v2
	s_or_b64 s[18:19], s[14:15], s[18:19]
	s_andn2_b64 exec, exec, s[18:19]
	s_cbranch_execnz .LBB142_12
; %bb.13:                               ;   in Loop: Header=BB142_2 Depth=1
	s_or_b64 exec, exec, s[18:19]
.LBB142_14:                             ;   in Loop: Header=BB142_2 Depth=1
	s_or_b64 exec, exec, s[16:17]
	v_sub_u32_e32 v78, v28, v6
	v_lshl_add_u32 v8, v6, 3, v24
	v_lshlrev_b32_e32 v80, 3, v78
	ds_read_b64 v[2:3], v8
	ds_read_b64 v[4:5], v80
	v_add_u32_e32 v79, v6, v20
	v_cmp_le_i32_e64 s[16:17], v22, v79
	v_cmp_gt_i32_e64 s[14:15], v23, v78
                                        ; implicit-def: $vgpr6_vgpr7
	s_waitcnt lgkmcnt(0)
	v_cmp_lt_i64_e64 s[18:19], v[4:5], v[2:3]
	s_or_b64 s[16:17], s[16:17], s[18:19]
	s_and_b64 s[14:15], s[14:15], s[16:17]
	s_xor_b64 s[16:17], s[14:15], -1
	s_and_saveexec_b64 s[18:19], s[16:17]
	s_xor_b64 s[16:17], exec, s[18:19]
	s_cbranch_execz .LBB142_16
; %bb.15:                               ;   in Loop: Header=BB142_2 Depth=1
	ds_read_b64 v[6:7], v8 offset:8
                                        ; implicit-def: $vgpr80
.LBB142_16:                             ;   in Loop: Header=BB142_2 Depth=1
	s_or_saveexec_b64 s[16:17], s[16:17]
	v_mov_b64_e32 v[8:9], v[4:5]
	s_xor_b64 exec, exec, s[16:17]
	s_cbranch_execz .LBB142_18
; %bb.17:                               ;   in Loop: Header=BB142_2 Depth=1
	ds_read_b64 v[8:9], v80 offset:8
	s_waitcnt lgkmcnt(1)
	v_mov_b64_e32 v[6:7], v[2:3]
.LBB142_18:                             ;   in Loop: Header=BB142_2 Depth=1
	s_or_b64 exec, exec, s[16:17]
	v_cndmask_b32_e64 v3, v3, v5, s[14:15]
	v_add_u32_e32 v5, 1, v79
	v_cndmask_b32_e64 v2, v2, v4, s[14:15]
	v_add_u32_e32 v4, 1, v78
	v_cndmask_b32_e64 v5, v5, v79, s[14:15]
	v_cndmask_b32_e64 v4, v78, v4, s[14:15]
	v_cmp_ge_i32_e64 s[16:17], v5, v22
	s_waitcnt lgkmcnt(0)
	v_cmp_lt_i64_e64 s[18:19], v[8:9], v[6:7]
	v_cmp_lt_i32_e64 s[14:15], v4, v23
	s_or_b64 s[16:17], s[16:17], s[18:19]
	s_and_b64 s[14:15], s[14:15], s[16:17]
	v_cndmask_b32_e64 v5, v7, v9, s[14:15]
	v_cndmask_b32_e64 v4, v6, v8, s[14:15]
	v_mov_b32_e32 v6, v34
	s_barrier
	ds_write2_b64 v10, v[2:3], v[4:5] offset1:1
	s_waitcnt lgkmcnt(0)
	s_barrier
	s_and_saveexec_b64 s[16:17], s[2:3]
	s_cbranch_execz .LBB142_22
; %bb.19:                               ;   in Loop: Header=BB142_2 Depth=1
	s_mov_b64 s[18:19], 0
	v_mov_b32_e32 v6, v34
	v_mov_b32_e32 v2, v35
.LBB142_20:                             ;   Parent Loop BB142_2 Depth=1
                                        ; =>  This Inner Loop Header: Depth=2
	v_sub_u32_e32 v3, v2, v6
	v_lshrrev_b32_e32 v4, 31, v3
	v_add_u32_e32 v3, v3, v4
	v_ashrrev_i32_e32 v3, 1, v3
	v_add_u32_e32 v3, v3, v6
	v_lshl_add_u32 v4, v3, 3, v33
	v_xad_u32 v5, v3, -1, v30
	v_lshl_add_u32 v7, v5, 3, v63
	ds_read_b64 v[4:5], v4
	ds_read_b64 v[8:9], v7
	v_add_u32_e32 v7, 1, v3
	s_waitcnt lgkmcnt(0)
	v_cmp_lt_i64_e64 s[14:15], v[8:9], v[4:5]
	s_nop 1
	v_cndmask_b32_e64 v2, v2, v3, s[14:15]
	v_cndmask_b32_e64 v6, v7, v6, s[14:15]
	v_cmp_ge_i32_e64 s[14:15], v6, v2
	s_or_b64 s[18:19], s[14:15], s[18:19]
	s_andn2_b64 exec, exec, s[18:19]
	s_cbranch_execnz .LBB142_20
; %bb.21:                               ;   in Loop: Header=BB142_2 Depth=1
	s_or_b64 exec, exec, s[18:19]
.LBB142_22:                             ;   in Loop: Header=BB142_2 Depth=1
	s_or_b64 exec, exec, s[16:17]
	v_sub_u32_e32 v78, v64, v6
	v_lshl_add_u32 v8, v6, 3, v33
	v_lshlrev_b32_e32 v80, 3, v78
	ds_read_b64 v[2:3], v8
	ds_read_b64 v[4:5], v80
	v_add_u32_e32 v79, v6, v29
	v_cmp_le_i32_e64 s[16:17], v31, v79
	v_cmp_gt_i32_e64 s[14:15], v32, v78
                                        ; implicit-def: $vgpr6_vgpr7
	s_waitcnt lgkmcnt(0)
	v_cmp_lt_i64_e64 s[18:19], v[4:5], v[2:3]
	s_or_b64 s[16:17], s[16:17], s[18:19]
	s_and_b64 s[14:15], s[14:15], s[16:17]
	s_xor_b64 s[16:17], s[14:15], -1
	s_and_saveexec_b64 s[18:19], s[16:17]
	s_xor_b64 s[16:17], exec, s[18:19]
	s_cbranch_execz .LBB142_24
; %bb.23:                               ;   in Loop: Header=BB142_2 Depth=1
	ds_read_b64 v[6:7], v8 offset:8
                                        ; implicit-def: $vgpr80
.LBB142_24:                             ;   in Loop: Header=BB142_2 Depth=1
	s_or_saveexec_b64 s[16:17], s[16:17]
	v_mov_b64_e32 v[8:9], v[4:5]
	s_xor_b64 exec, exec, s[16:17]
	s_cbranch_execz .LBB142_26
; %bb.25:                               ;   in Loop: Header=BB142_2 Depth=1
	ds_read_b64 v[8:9], v80 offset:8
	s_waitcnt lgkmcnt(1)
	v_mov_b64_e32 v[6:7], v[2:3]
.LBB142_26:                             ;   in Loop: Header=BB142_2 Depth=1
	s_or_b64 exec, exec, s[16:17]
	v_cndmask_b32_e64 v3, v3, v5, s[14:15]
	v_add_u32_e32 v5, 1, v79
	v_cndmask_b32_e64 v2, v2, v4, s[14:15]
	v_add_u32_e32 v4, 1, v78
	v_cndmask_b32_e64 v5, v5, v79, s[14:15]
	v_cndmask_b32_e64 v4, v78, v4, s[14:15]
	v_cmp_ge_i32_e64 s[16:17], v5, v31
	s_waitcnt lgkmcnt(0)
	v_cmp_lt_i64_e64 s[18:19], v[8:9], v[6:7]
	v_cmp_lt_i32_e64 s[14:15], v4, v32
	s_or_b64 s[16:17], s[16:17], s[18:19]
	s_and_b64 s[14:15], s[14:15], s[16:17]
	v_cndmask_b32_e64 v5, v7, v9, s[14:15]
	v_cndmask_b32_e64 v4, v6, v8, s[14:15]
	v_mov_b32_e32 v6, v40
	s_barrier
	ds_write2_b64 v10, v[2:3], v[4:5] offset1:1
	s_waitcnt lgkmcnt(0)
	s_barrier
	s_and_saveexec_b64 s[16:17], s[4:5]
	s_cbranch_execz .LBB142_30
; %bb.27:                               ;   in Loop: Header=BB142_2 Depth=1
	s_mov_b64 s[18:19], 0
	v_mov_b32_e32 v6, v40
	v_mov_b32_e32 v2, v41
.LBB142_28:                             ;   Parent Loop BB142_2 Depth=1
                                        ; =>  This Inner Loop Header: Depth=2
	v_sub_u32_e32 v3, v2, v6
	v_lshrrev_b32_e32 v4, 31, v3
	v_add_u32_e32 v3, v3, v4
	v_ashrrev_i32_e32 v3, 1, v3
	v_add_u32_e32 v3, v3, v6
	v_lshl_add_u32 v4, v3, 3, v65
	v_xad_u32 v5, v3, -1, v37
	v_lshl_add_u32 v7, v5, 3, v66
	ds_read_b64 v[4:5], v4
	ds_read_b64 v[8:9], v7
	v_add_u32_e32 v7, 1, v3
	s_waitcnt lgkmcnt(0)
	v_cmp_lt_i64_e64 s[14:15], v[8:9], v[4:5]
	s_nop 1
	v_cndmask_b32_e64 v2, v2, v3, s[14:15]
	v_cndmask_b32_e64 v6, v7, v6, s[14:15]
	v_cmp_ge_i32_e64 s[14:15], v6, v2
	s_or_b64 s[18:19], s[14:15], s[18:19]
	s_andn2_b64 exec, exec, s[18:19]
	s_cbranch_execnz .LBB142_28
; %bb.29:                               ;   in Loop: Header=BB142_2 Depth=1
	s_or_b64 exec, exec, s[18:19]
.LBB142_30:                             ;   in Loop: Header=BB142_2 Depth=1
	s_or_b64 exec, exec, s[16:17]
	v_sub_u32_e32 v78, v67, v6
	v_lshl_add_u32 v8, v6, 3, v65
	v_lshlrev_b32_e32 v80, 3, v78
	ds_read_b64 v[2:3], v8
	ds_read_b64 v[4:5], v80
	v_add_u32_e32 v79, v6, v36
	v_cmp_le_i32_e64 s[16:17], v38, v79
	v_cmp_gt_i32_e64 s[14:15], v39, v78
                                        ; implicit-def: $vgpr6_vgpr7
	s_waitcnt lgkmcnt(0)
	v_cmp_lt_i64_e64 s[18:19], v[4:5], v[2:3]
	s_or_b64 s[16:17], s[16:17], s[18:19]
	s_and_b64 s[14:15], s[14:15], s[16:17]
	s_xor_b64 s[16:17], s[14:15], -1
	s_and_saveexec_b64 s[18:19], s[16:17]
	s_xor_b64 s[16:17], exec, s[18:19]
	s_cbranch_execz .LBB142_32
; %bb.31:                               ;   in Loop: Header=BB142_2 Depth=1
	ds_read_b64 v[6:7], v8 offset:8
                                        ; implicit-def: $vgpr80
.LBB142_32:                             ;   in Loop: Header=BB142_2 Depth=1
	s_or_saveexec_b64 s[16:17], s[16:17]
	v_mov_b64_e32 v[8:9], v[4:5]
	s_xor_b64 exec, exec, s[16:17]
	s_cbranch_execz .LBB142_34
; %bb.33:                               ;   in Loop: Header=BB142_2 Depth=1
	ds_read_b64 v[8:9], v80 offset:8
	s_waitcnt lgkmcnt(1)
	v_mov_b64_e32 v[6:7], v[2:3]
.LBB142_34:                             ;   in Loop: Header=BB142_2 Depth=1
	s_or_b64 exec, exec, s[16:17]
	v_cndmask_b32_e64 v3, v3, v5, s[14:15]
	v_add_u32_e32 v5, 1, v79
	v_cndmask_b32_e64 v2, v2, v4, s[14:15]
	v_add_u32_e32 v4, 1, v78
	v_cndmask_b32_e64 v5, v5, v79, s[14:15]
	v_cndmask_b32_e64 v4, v78, v4, s[14:15]
	v_cmp_ge_i32_e64 s[16:17], v5, v38
	s_waitcnt lgkmcnt(0)
	v_cmp_lt_i64_e64 s[18:19], v[8:9], v[6:7]
	v_cmp_lt_i32_e64 s[14:15], v4, v39
	s_or_b64 s[16:17], s[16:17], s[18:19]
	s_and_b64 s[14:15], s[14:15], s[16:17]
	v_cndmask_b32_e64 v5, v7, v9, s[14:15]
	v_cndmask_b32_e64 v4, v6, v8, s[14:15]
	v_mov_b32_e32 v6, v46
	s_barrier
	ds_write2_b64 v10, v[2:3], v[4:5] offset1:1
	s_waitcnt lgkmcnt(0)
	s_barrier
	s_and_saveexec_b64 s[16:17], s[6:7]
	s_cbranch_execz .LBB142_38
; %bb.35:                               ;   in Loop: Header=BB142_2 Depth=1
	s_mov_b64 s[18:19], 0
	v_mov_b32_e32 v6, v46
	v_mov_b32_e32 v2, v47
.LBB142_36:                             ;   Parent Loop BB142_2 Depth=1
                                        ; =>  This Inner Loop Header: Depth=2
	v_sub_u32_e32 v3, v2, v6
	v_lshrrev_b32_e32 v4, 31, v3
	v_add_u32_e32 v3, v3, v4
	v_ashrrev_i32_e32 v3, 1, v3
	v_add_u32_e32 v3, v3, v6
	v_lshl_add_u32 v4, v3, 3, v68
	v_xad_u32 v5, v3, -1, v43
	v_lshl_add_u32 v7, v5, 3, v69
	ds_read_b64 v[4:5], v4
	ds_read_b64 v[8:9], v7
	v_add_u32_e32 v7, 1, v3
	s_waitcnt lgkmcnt(0)
	v_cmp_lt_i64_e64 s[14:15], v[8:9], v[4:5]
	s_nop 1
	v_cndmask_b32_e64 v2, v2, v3, s[14:15]
	v_cndmask_b32_e64 v6, v7, v6, s[14:15]
	v_cmp_ge_i32_e64 s[14:15], v6, v2
	s_or_b64 s[18:19], s[14:15], s[18:19]
	s_andn2_b64 exec, exec, s[18:19]
	s_cbranch_execnz .LBB142_36
; %bb.37:                               ;   in Loop: Header=BB142_2 Depth=1
	s_or_b64 exec, exec, s[18:19]
.LBB142_38:                             ;   in Loop: Header=BB142_2 Depth=1
	s_or_b64 exec, exec, s[16:17]
	v_sub_u32_e32 v78, v70, v6
	v_lshl_add_u32 v8, v6, 3, v68
	v_lshlrev_b32_e32 v80, 3, v78
	ds_read_b64 v[2:3], v8
	ds_read_b64 v[4:5], v80
	v_add_u32_e32 v79, v6, v42
	v_cmp_le_i32_e64 s[16:17], v44, v79
	v_cmp_gt_i32_e64 s[14:15], v45, v78
                                        ; implicit-def: $vgpr6_vgpr7
	s_waitcnt lgkmcnt(0)
	v_cmp_lt_i64_e64 s[18:19], v[4:5], v[2:3]
	s_or_b64 s[16:17], s[16:17], s[18:19]
	s_and_b64 s[14:15], s[14:15], s[16:17]
	s_xor_b64 s[16:17], s[14:15], -1
	s_and_saveexec_b64 s[18:19], s[16:17]
	s_xor_b64 s[16:17], exec, s[18:19]
	s_cbranch_execz .LBB142_40
; %bb.39:                               ;   in Loop: Header=BB142_2 Depth=1
	ds_read_b64 v[6:7], v8 offset:8
                                        ; implicit-def: $vgpr80
.LBB142_40:                             ;   in Loop: Header=BB142_2 Depth=1
	s_or_saveexec_b64 s[16:17], s[16:17]
	v_mov_b64_e32 v[8:9], v[4:5]
	s_xor_b64 exec, exec, s[16:17]
	s_cbranch_execz .LBB142_42
; %bb.41:                               ;   in Loop: Header=BB142_2 Depth=1
	ds_read_b64 v[8:9], v80 offset:8
	s_waitcnt lgkmcnt(1)
	v_mov_b64_e32 v[6:7], v[2:3]
.LBB142_42:                             ;   in Loop: Header=BB142_2 Depth=1
	s_or_b64 exec, exec, s[16:17]
	v_cndmask_b32_e64 v3, v3, v5, s[14:15]
	v_add_u32_e32 v5, 1, v79
	v_cndmask_b32_e64 v2, v2, v4, s[14:15]
	v_add_u32_e32 v4, 1, v78
	v_cndmask_b32_e64 v5, v5, v79, s[14:15]
	v_cndmask_b32_e64 v4, v78, v4, s[14:15]
	v_cmp_ge_i32_e64 s[16:17], v5, v44
	s_waitcnt lgkmcnt(0)
	v_cmp_lt_i64_e64 s[18:19], v[8:9], v[6:7]
	v_cmp_lt_i32_e64 s[14:15], v4, v45
	s_or_b64 s[16:17], s[16:17], s[18:19]
	s_and_b64 s[14:15], s[14:15], s[16:17]
	v_cndmask_b32_e64 v5, v7, v9, s[14:15]
	v_cndmask_b32_e64 v4, v6, v8, s[14:15]
	v_mov_b32_e32 v6, v52
	s_barrier
	ds_write2_b64 v10, v[2:3], v[4:5] offset1:1
	s_waitcnt lgkmcnt(0)
	s_barrier
	s_and_saveexec_b64 s[16:17], s[8:9]
	s_cbranch_execz .LBB142_46
; %bb.43:                               ;   in Loop: Header=BB142_2 Depth=1
	s_mov_b64 s[18:19], 0
	v_mov_b32_e32 v6, v52
	v_mov_b32_e32 v2, v53
.LBB142_44:                             ;   Parent Loop BB142_2 Depth=1
                                        ; =>  This Inner Loop Header: Depth=2
	v_sub_u32_e32 v3, v2, v6
	v_lshrrev_b32_e32 v4, 31, v3
	v_add_u32_e32 v3, v3, v4
	v_ashrrev_i32_e32 v3, 1, v3
	v_add_u32_e32 v3, v3, v6
	v_lshl_add_u32 v4, v3, 3, v71
	v_xad_u32 v5, v3, -1, v49
	v_lshl_add_u32 v7, v5, 3, v72
	ds_read_b64 v[4:5], v4
	ds_read_b64 v[8:9], v7
	v_add_u32_e32 v7, 1, v3
	s_waitcnt lgkmcnt(0)
	v_cmp_lt_i64_e64 s[14:15], v[8:9], v[4:5]
	s_nop 1
	v_cndmask_b32_e64 v2, v2, v3, s[14:15]
	v_cndmask_b32_e64 v6, v7, v6, s[14:15]
	v_cmp_ge_i32_e64 s[14:15], v6, v2
	s_or_b64 s[18:19], s[14:15], s[18:19]
	s_andn2_b64 exec, exec, s[18:19]
	s_cbranch_execnz .LBB142_44
; %bb.45:                               ;   in Loop: Header=BB142_2 Depth=1
	s_or_b64 exec, exec, s[18:19]
.LBB142_46:                             ;   in Loop: Header=BB142_2 Depth=1
	s_or_b64 exec, exec, s[16:17]
	v_sub_u32_e32 v78, v73, v6
	v_lshl_add_u32 v8, v6, 3, v71
	v_lshlrev_b32_e32 v80, 3, v78
	ds_read_b64 v[2:3], v8
	ds_read_b64 v[4:5], v80
	v_add_u32_e32 v79, v6, v48
	v_cmp_le_i32_e64 s[16:17], v50, v79
	v_cmp_gt_i32_e64 s[14:15], v51, v78
                                        ; implicit-def: $vgpr6_vgpr7
	s_waitcnt lgkmcnt(0)
	v_cmp_lt_i64_e64 s[18:19], v[4:5], v[2:3]
	s_or_b64 s[16:17], s[16:17], s[18:19]
	s_and_b64 s[14:15], s[14:15], s[16:17]
	s_xor_b64 s[16:17], s[14:15], -1
	s_and_saveexec_b64 s[18:19], s[16:17]
	s_xor_b64 s[16:17], exec, s[18:19]
	s_cbranch_execz .LBB142_48
; %bb.47:                               ;   in Loop: Header=BB142_2 Depth=1
	ds_read_b64 v[6:7], v8 offset:8
                                        ; implicit-def: $vgpr80
.LBB142_48:                             ;   in Loop: Header=BB142_2 Depth=1
	s_or_saveexec_b64 s[16:17], s[16:17]
	v_mov_b64_e32 v[8:9], v[4:5]
	s_xor_b64 exec, exec, s[16:17]
	s_cbranch_execz .LBB142_50
; %bb.49:                               ;   in Loop: Header=BB142_2 Depth=1
	ds_read_b64 v[8:9], v80 offset:8
	s_waitcnt lgkmcnt(1)
	v_mov_b64_e32 v[6:7], v[2:3]
.LBB142_50:                             ;   in Loop: Header=BB142_2 Depth=1
	s_or_b64 exec, exec, s[16:17]
	v_cndmask_b32_e64 v3, v3, v5, s[14:15]
	v_add_u32_e32 v5, 1, v79
	v_cndmask_b32_e64 v2, v2, v4, s[14:15]
	v_add_u32_e32 v4, 1, v78
	v_cndmask_b32_e64 v5, v5, v79, s[14:15]
	v_cndmask_b32_e64 v4, v78, v4, s[14:15]
	v_cmp_ge_i32_e64 s[16:17], v5, v50
	s_waitcnt lgkmcnt(0)
	v_cmp_lt_i64_e64 s[18:19], v[8:9], v[6:7]
	v_cmp_lt_i32_e64 s[14:15], v4, v51
	s_or_b64 s[16:17], s[16:17], s[18:19]
	s_and_b64 s[14:15], s[14:15], s[16:17]
	v_cndmask_b32_e64 v5, v7, v9, s[14:15]
	v_cndmask_b32_e64 v4, v6, v8, s[14:15]
	v_mov_b32_e32 v6, v59
	s_barrier
	ds_write2_b64 v10, v[2:3], v[4:5] offset1:1
	s_waitcnt lgkmcnt(0)
	s_barrier
	s_and_saveexec_b64 s[16:17], s[10:11]
	s_cbranch_execz .LBB142_54
; %bb.51:                               ;   in Loop: Header=BB142_2 Depth=1
	s_mov_b64 s[18:19], 0
	v_mov_b32_e32 v6, v59
	v_mov_b32_e32 v2, v60
.LBB142_52:                             ;   Parent Loop BB142_2 Depth=1
                                        ; =>  This Inner Loop Header: Depth=2
	v_sub_u32_e32 v3, v2, v6
	v_lshrrev_b32_e32 v4, 31, v3
	v_add_u32_e32 v3, v3, v4
	v_ashrrev_i32_e32 v3, 1, v3
	v_add_u32_e32 v3, v3, v6
	v_lshl_add_u32 v4, v3, 3, v74
	v_xad_u32 v5, v3, -1, v56
	v_lshl_add_u32 v7, v5, 3, v75
	ds_read_b64 v[4:5], v4
	ds_read_b64 v[8:9], v7
	v_add_u32_e32 v7, 1, v3
	s_waitcnt lgkmcnt(0)
	v_cmp_lt_i64_e64 s[14:15], v[8:9], v[4:5]
	s_nop 1
	v_cndmask_b32_e64 v2, v2, v3, s[14:15]
	v_cndmask_b32_e64 v6, v7, v6, s[14:15]
	v_cmp_ge_i32_e64 s[14:15], v6, v2
	s_or_b64 s[18:19], s[14:15], s[18:19]
	s_andn2_b64 exec, exec, s[18:19]
	s_cbranch_execnz .LBB142_52
; %bb.53:                               ;   in Loop: Header=BB142_2 Depth=1
	s_or_b64 exec, exec, s[18:19]
.LBB142_54:                             ;   in Loop: Header=BB142_2 Depth=1
	s_or_b64 exec, exec, s[16:17]
	v_sub_u32_e32 v78, v76, v6
	v_lshl_add_u32 v8, v6, 3, v74
	v_lshlrev_b32_e32 v80, 3, v78
	ds_read_b64 v[2:3], v8
	ds_read_b64 v[4:5], v80
	v_add_u32_e32 v79, v6, v55
	v_cmp_le_i32_e64 s[16:17], v57, v79
	v_cmp_gt_i32_e64 s[14:15], v58, v78
                                        ; implicit-def: $vgpr6_vgpr7
	s_waitcnt lgkmcnt(0)
	v_cmp_lt_i64_e64 s[18:19], v[4:5], v[2:3]
	s_or_b64 s[16:17], s[16:17], s[18:19]
	s_and_b64 s[14:15], s[14:15], s[16:17]
	s_xor_b64 s[16:17], s[14:15], -1
	s_and_saveexec_b64 s[18:19], s[16:17]
	s_xor_b64 s[16:17], exec, s[18:19]
	s_cbranch_execz .LBB142_56
; %bb.55:                               ;   in Loop: Header=BB142_2 Depth=1
	ds_read_b64 v[6:7], v8 offset:8
                                        ; implicit-def: $vgpr80
.LBB142_56:                             ;   in Loop: Header=BB142_2 Depth=1
	s_or_saveexec_b64 s[16:17], s[16:17]
	v_mov_b64_e32 v[8:9], v[4:5]
	s_xor_b64 exec, exec, s[16:17]
	s_cbranch_execz .LBB142_58
; %bb.57:                               ;   in Loop: Header=BB142_2 Depth=1
	ds_read_b64 v[8:9], v80 offset:8
	s_waitcnt lgkmcnt(1)
	v_mov_b64_e32 v[6:7], v[2:3]
.LBB142_58:                             ;   in Loop: Header=BB142_2 Depth=1
	s_or_b64 exec, exec, s[16:17]
	v_cndmask_b32_e64 v3, v3, v5, s[14:15]
	v_add_u32_e32 v5, 1, v79
	v_cndmask_b32_e64 v2, v2, v4, s[14:15]
	v_add_u32_e32 v4, 1, v78
	v_cndmask_b32_e64 v5, v5, v79, s[14:15]
	v_cndmask_b32_e64 v4, v78, v4, s[14:15]
	v_cmp_ge_i32_e64 s[16:17], v5, v57
	s_waitcnt lgkmcnt(0)
	v_cmp_lt_i64_e64 s[18:19], v[8:9], v[6:7]
	v_cmp_lt_i32_e64 s[14:15], v4, v58
	s_or_b64 s[16:17], s[16:17], s[18:19]
	s_and_b64 s[14:15], s[14:15], s[16:17]
	v_cndmask_b32_e64 v5, v7, v9, s[14:15]
	v_cndmask_b32_e64 v4, v6, v8, s[14:15]
	v_mov_b32_e32 v78, v61
	s_barrier
	ds_write2_b64 v10, v[2:3], v[4:5] offset1:1
	s_waitcnt lgkmcnt(0)
	s_barrier
	s_and_saveexec_b64 s[16:17], s[12:13]
	s_cbranch_execz .LBB142_62
; %bb.59:                               ;   in Loop: Header=BB142_2 Depth=1
	s_mov_b64 s[18:19], 0
	v_mov_b32_e32 v78, v61
	v_mov_b32_e32 v2, v62
.LBB142_60:                             ;   Parent Loop BB142_2 Depth=1
                                        ; =>  This Inner Loop Header: Depth=2
	v_sub_u32_e32 v3, v2, v78
	v_lshrrev_b32_e32 v4, 31, v3
	v_add_u32_e32 v3, v3, v4
	v_ashrrev_i32_e32 v3, 1, v3
	v_add_u32_e32 v3, v3, v78
	v_xad_u32 v5, v3, -1, v1
	v_mov_b32_e32 v6, 0x800
	v_lshlrev_b32_e32 v4, 3, v3
	v_lshl_add_u32 v6, v5, 3, v6
	ds_read_b64 v[4:5], v4
	ds_read_b64 v[6:7], v6
	v_add_u32_e32 v8, 1, v3
	s_waitcnt lgkmcnt(0)
	v_cmp_lt_i64_e64 s[14:15], v[6:7], v[4:5]
	s_nop 1
	v_cndmask_b32_e64 v2, v2, v3, s[14:15]
	v_cndmask_b32_e64 v78, v8, v78, s[14:15]
	v_cmp_ge_i32_e64 s[14:15], v78, v2
	s_or_b64 s[18:19], s[14:15], s[18:19]
	s_andn2_b64 exec, exec, s[18:19]
	s_cbranch_execnz .LBB142_60
; %bb.61:                               ;   in Loop: Header=BB142_2 Depth=1
	s_or_b64 exec, exec, s[18:19]
.LBB142_62:                             ;   in Loop: Header=BB142_2 Depth=1
	s_or_b64 exec, exec, s[16:17]
	v_sub_u32_e32 v79, v77, v78
	v_lshlrev_b32_e32 v8, 3, v78
	v_lshlrev_b32_e32 v80, 3, v79
	ds_read_b64 v[2:3], v8
	ds_read_b64 v[4:5], v80
	v_cmp_le_i32_e64 s[16:17], v54, v78
	v_cmp_gt_i32_e64 s[14:15], s20, v79
                                        ; implicit-def: $vgpr6_vgpr7
	s_waitcnt lgkmcnt(0)
	v_cmp_lt_i64_e64 s[18:19], v[4:5], v[2:3]
	s_or_b64 s[16:17], s[16:17], s[18:19]
	s_and_b64 s[14:15], s[14:15], s[16:17]
	s_xor_b64 s[16:17], s[14:15], -1
	s_and_saveexec_b64 s[18:19], s[16:17]
	s_xor_b64 s[16:17], exec, s[18:19]
	s_cbranch_execz .LBB142_64
; %bb.63:                               ;   in Loop: Header=BB142_2 Depth=1
	ds_read_b64 v[6:7], v8 offset:8
	v_add_u32_e32 v78, 1, v78
                                        ; implicit-def: $vgpr80
.LBB142_64:                             ;   in Loop: Header=BB142_2 Depth=1
	s_or_saveexec_b64 s[16:17], s[16:17]
	v_mov_b64_e32 v[8:9], v[4:5]
	s_xor_b64 exec, exec, s[16:17]
	s_cbranch_execz .LBB142_1
; %bb.65:                               ;   in Loop: Header=BB142_2 Depth=1
	ds_read_b64 v[8:9], v80 offset:8
	v_add_u32_e32 v79, 1, v79
	s_waitcnt lgkmcnt(1)
	v_mov_b64_e32 v[6:7], v[2:3]
	s_branch .LBB142_1
.LBB142_66:
	s_add_u32 s0, s22, s26
	s_addc_u32 s1, s23, s27
	v_lshlrev_b32_e32 v0, 3, v0
	global_store_dwordx2 v0, v[2:3], s[0:1]
	global_store_dwordx2 v0, v[4:5], s[0:1] offset:2048
	s_endpgm
	.section	.rodata,"a",@progbits
	.p2align	6, 0x0
	.amdhsa_kernel _Z16sort_keys_kernelIxLj256ELj2EN10test_utils4lessELj10EEvPKT_PS2_T2_
		.amdhsa_group_segment_fixed_size 4104
		.amdhsa_private_segment_fixed_size 0
		.amdhsa_kernarg_size 20
		.amdhsa_user_sgpr_count 2
		.amdhsa_user_sgpr_dispatch_ptr 0
		.amdhsa_user_sgpr_queue_ptr 0
		.amdhsa_user_sgpr_kernarg_segment_ptr 1
		.amdhsa_user_sgpr_dispatch_id 0
		.amdhsa_user_sgpr_kernarg_preload_length 0
		.amdhsa_user_sgpr_kernarg_preload_offset 0
		.amdhsa_user_sgpr_private_segment_size 0
		.amdhsa_uses_dynamic_stack 0
		.amdhsa_enable_private_segment 0
		.amdhsa_system_sgpr_workgroup_id_x 1
		.amdhsa_system_sgpr_workgroup_id_y 0
		.amdhsa_system_sgpr_workgroup_id_z 0
		.amdhsa_system_sgpr_workgroup_info 0
		.amdhsa_system_vgpr_workitem_id 0
		.amdhsa_next_free_vgpr 81
		.amdhsa_next_free_sgpr 28
		.amdhsa_accum_offset 84
		.amdhsa_reserve_vcc 1
		.amdhsa_float_round_mode_32 0
		.amdhsa_float_round_mode_16_64 0
		.amdhsa_float_denorm_mode_32 3
		.amdhsa_float_denorm_mode_16_64 3
		.amdhsa_dx10_clamp 1
		.amdhsa_ieee_mode 1
		.amdhsa_fp16_overflow 0
		.amdhsa_tg_split 0
		.amdhsa_exception_fp_ieee_invalid_op 0
		.amdhsa_exception_fp_denorm_src 0
		.amdhsa_exception_fp_ieee_div_zero 0
		.amdhsa_exception_fp_ieee_overflow 0
		.amdhsa_exception_fp_ieee_underflow 0
		.amdhsa_exception_fp_ieee_inexact 0
		.amdhsa_exception_int_div_zero 0
	.end_amdhsa_kernel
	.section	.text._Z16sort_keys_kernelIxLj256ELj2EN10test_utils4lessELj10EEvPKT_PS2_T2_,"axG",@progbits,_Z16sort_keys_kernelIxLj256ELj2EN10test_utils4lessELj10EEvPKT_PS2_T2_,comdat
.Lfunc_end142:
	.size	_Z16sort_keys_kernelIxLj256ELj2EN10test_utils4lessELj10EEvPKT_PS2_T2_, .Lfunc_end142-_Z16sort_keys_kernelIxLj256ELj2EN10test_utils4lessELj10EEvPKT_PS2_T2_
                                        ; -- End function
	.section	.AMDGPU.csdata,"",@progbits
; Kernel info:
; codeLenInByte = 3832
; NumSgprs: 34
; NumVgprs: 81
; NumAgprs: 0
; TotalNumVgprs: 81
; ScratchSize: 0
; MemoryBound: 0
; FloatMode: 240
; IeeeMode: 1
; LDSByteSize: 4104 bytes/workgroup (compile time only)
; SGPRBlocks: 4
; VGPRBlocks: 10
; NumSGPRsForWavesPerEU: 34
; NumVGPRsForWavesPerEU: 81
; AccumOffset: 84
; Occupancy: 5
; WaveLimiterHint : 1
; COMPUTE_PGM_RSRC2:SCRATCH_EN: 0
; COMPUTE_PGM_RSRC2:USER_SGPR: 2
; COMPUTE_PGM_RSRC2:TRAP_HANDLER: 0
; COMPUTE_PGM_RSRC2:TGID_X_EN: 1
; COMPUTE_PGM_RSRC2:TGID_Y_EN: 0
; COMPUTE_PGM_RSRC2:TGID_Z_EN: 0
; COMPUTE_PGM_RSRC2:TIDIG_COMP_CNT: 0
; COMPUTE_PGM_RSRC3_GFX90A:ACCUM_OFFSET: 20
; COMPUTE_PGM_RSRC3_GFX90A:TG_SPLIT: 0
	.section	.text._Z17sort_pairs_kernelIxLj256ELj2EN10test_utils4lessELj10EEvPKT_PS2_T2_,"axG",@progbits,_Z17sort_pairs_kernelIxLj256ELj2EN10test_utils4lessELj10EEvPKT_PS2_T2_,comdat
	.protected	_Z17sort_pairs_kernelIxLj256ELj2EN10test_utils4lessELj10EEvPKT_PS2_T2_ ; -- Begin function _Z17sort_pairs_kernelIxLj256ELj2EN10test_utils4lessELj10EEvPKT_PS2_T2_
	.globl	_Z17sort_pairs_kernelIxLj256ELj2EN10test_utils4lessELj10EEvPKT_PS2_T2_
	.p2align	8
	.type	_Z17sort_pairs_kernelIxLj256ELj2EN10test_utils4lessELj10EEvPKT_PS2_T2_,@function
_Z17sort_pairs_kernelIxLj256ELj2EN10test_utils4lessELj10EEvPKT_PS2_T2_: ; @_Z17sort_pairs_kernelIxLj256ELj2EN10test_utils4lessELj10EEvPKT_PS2_T2_
; %bb.0:
	s_load_dwordx4 s[20:23], s[0:1], 0x0
	s_lshl_b32 s26, s2, 9
	s_mov_b32 s27, 0
	s_lshl_b64 s[24:25], s[26:27], 3
	v_lshlrev_b32_e32 v1, 3, v0
	s_waitcnt lgkmcnt(0)
	s_add_u32 s0, s20, s24
	s_addc_u32 s1, s21, s25
	global_load_dwordx2 v[2:3], v1, s[0:1]
	global_load_dwordx2 v[4:5], v1, s[0:1] offset:2048
	v_lshlrev_b32_e32 v1, 1, v0
	v_and_b32_e32 v19, 0x1fc, v1
	v_or_b32_e32 v21, 2, v19
	v_add_u32_e32 v22, 4, v19
	v_and_b32_e32 v28, 0x1f8, v1
	v_and_b32_e32 v20, 2, v1
	v_sub_u32_e32 v7, v22, v21
	v_or_b32_e32 v30, 4, v28
	v_add_u32_e32 v31, 8, v28
	v_and_b32_e32 v37, 0x1f0, v1
	v_sub_u32_e32 v6, v21, v19
	v_sub_u32_e32 v8, v20, v7
	v_cmp_ge_i32_e32 vcc, v20, v7
	v_and_b32_e32 v29, 6, v1
	v_sub_u32_e32 v7, v31, v30
	v_or_b32_e32 v39, 8, v37
	v_add_u32_e32 v40, 16, v37
	v_and_b32_e32 v44, 0x1e0, v1
	v_cndmask_b32_e32 v25, 0, v8, vcc
	v_min_i32_e32 v26, v20, v6
	v_sub_u32_e32 v6, v30, v28
	v_sub_u32_e32 v8, v29, v7
	v_cmp_ge_i32_e64 s[0:1], v29, v7
	v_and_b32_e32 v38, 14, v1
	v_sub_u32_e32 v7, v40, v39
	v_or_b32_e32 v46, 16, v44
	v_add_u32_e32 v47, 32, v44
	v_and_b32_e32 v50, 0x1c0, v1
	v_cndmask_b32_e64 v34, 0, v8, s[0:1]
	v_min_i32_e32 v35, v29, v6
	v_sub_u32_e32 v6, v39, v37
	v_sub_u32_e32 v8, v38, v7
	v_cmp_ge_i32_e64 s[2:3], v38, v7
	v_and_b32_e32 v45, 30, v1
	v_sub_u32_e32 v7, v47, v46
	v_or_b32_e32 v52, 32, v50
	v_add_u32_e32 v53, 64, v50
	v_and_b32_e32 v56, 0x180, v1
	v_cndmask_b32_e64 v42, 0, v8, s[2:3]
	;; [unrolled: 10-line block ×3, first 2 shown]
	v_min_i32_e32 v49, v45, v6
	v_sub_u32_e32 v6, v52, v50
	v_sub_u32_e32 v8, v51, v7
	v_cmp_ge_i32_e64 s[6:7], v51, v7
	v_and_b32_e32 v57, 0x7e, v1
	v_sub_u32_e32 v7, v59, v58
	v_or_b32_e32 v65, 0x80, v63
	v_add_u32_e32 v66, 0x100, v63
	v_cndmask_b32_e64 v54, 0, v8, s[6:7]
	v_min_i32_e32 v55, v51, v6
	v_sub_u32_e32 v6, v58, v56
	v_sub_u32_e32 v8, v57, v7
	v_cmp_ge_i32_e64 s[8:9], v57, v7
	v_and_b32_e32 v64, 0xfe, v1
	v_sub_u32_e32 v7, v66, v65
	v_cndmask_b32_e64 v60, 0, v8, s[8:9]
	v_min_i32_e32 v61, v57, v6
	v_mov_b32_e32 v62, 0x100
	v_sub_u32_e32 v6, v65, v63
	v_sub_u32_e32 v8, v64, v7
	v_cmp_ge_i32_e64 s[10:11], v64, v7
	v_min_i32_e32 v68, v64, v6
	v_sub_u32_e64 v69, v1, v62 clamp
	v_cndmask_b32_e64 v67, 0, v8, s[10:11]
	v_min_i32_e32 v70, 0x100, v1
	v_lshlrev_b32_e32 v18, 4, v0
	v_lshlrev_b32_e32 v23, 3, v19
	;; [unrolled: 1-line block ×3, first 2 shown]
	v_cmp_lt_i32_e32 vcc, v25, v26
	v_add_u32_e32 v27, v21, v20
	v_lshlrev_b32_e32 v32, 3, v28
	v_lshlrev_b32_e32 v33, 3, v30
	v_cmp_lt_i32_e64 s[0:1], v34, v35
	v_add_u32_e32 v36, v30, v29
	v_lshlrev_b32_e32 v41, 3, v37
	v_cmp_lt_i32_e64 s[2:3], v42, v43
	v_cmp_lt_i32_e64 s[4:5], v48, v49
	;; [unrolled: 1-line block ×6, first 2 shown]
	s_movk_i32 s26, 0x200
	v_lshlrev_b32_e32 v71, 3, v39
	v_add_u32_e32 v72, v39, v38
	v_lshlrev_b32_e32 v73, 3, v44
	v_lshlrev_b32_e32 v74, 3, v46
	v_add_u32_e32 v75, v46, v45
	v_lshlrev_b32_e32 v76, 3, v50
	;; [unrolled: 3-line block ×4, first 2 shown]
	v_lshlrev_b32_e32 v83, 3, v65
	v_add_u32_e32 v84, v65, v64
	v_mov_b32_e32 v85, 0x800
	v_add_u32_e32 v86, 0x100, v1
	s_waitcnt vmcnt(1)
	v_lshl_add_u64 v[6:7], v[2:3], 0, 1
	s_waitcnt vmcnt(0)
	v_lshl_add_u64 v[8:9], v[4:5], 0, 1
	s_branch .LBB143_2
.LBB143_1:                              ;   in Loop: Header=BB143_2 Depth=1
	s_or_b64 exec, exec, s[16:17]
	v_cmp_ge_i32_e64 s[18:19], v13, v62
	s_waitcnt lgkmcnt(0)
	v_cmp_lt_i64_e64 s[20:21], v[16:17], v[14:15]
	v_cmp_gt_i32_e64 s[16:17], s26, v12
	s_or_b64 s[18:19], s[18:19], s[20:21]
	s_and_b64 s[16:17], s[16:17], s[18:19]
	v_cndmask_b32_e64 v3, v5, v11, s[14:15]
	v_cndmask_b32_e64 v11, v13, v12, s[16:17]
	s_barrier
	ds_write2_b64 v18, v[6:7], v[8:9] offset1:1
	v_lshlrev_b32_e32 v2, 3, v2
	v_lshlrev_b32_e32 v8, 3, v11
	s_waitcnt lgkmcnt(0)
	s_barrier
	ds_read_b64 v[6:7], v2
	ds_read_b64 v[8:9], v8
	s_add_i32 s27, s27, 1
	v_cndmask_b32_e64 v5, v15, v17, s[16:17]
	v_cndmask_b32_e64 v2, v4, v10, s[14:15]
	s_cmp_eq_u32 s27, 10
	v_cndmask_b32_e64 v4, v14, v16, s[16:17]
	s_cbranch_scc1 .LBB143_66
.LBB143_2:                              ; =>This Loop Header: Depth=1
                                        ;     Child Loop BB143_4 Depth 2
                                        ;     Child Loop BB143_12 Depth 2
	;; [unrolled: 1-line block ×8, first 2 shown]
	v_cmp_lt_i64_e64 s[14:15], v[4:5], v[2:3]
	s_barrier
	s_nop 0
	v_cndmask_b32_e64 v11, v5, v3, s[14:15]
	v_cndmask_b32_e64 v10, v4, v2, s[14:15]
	;; [unrolled: 1-line block ×4, first 2 shown]
	ds_write2_b64 v18, v[2:3], v[10:11] offset1:1
	v_mov_b32_e32 v2, v25
	s_waitcnt lgkmcnt(0)
	s_barrier
	s_and_saveexec_b64 s[18:19], vcc
	s_cbranch_execz .LBB143_6
; %bb.3:                                ;   in Loop: Header=BB143_2 Depth=1
	s_mov_b64 s[20:21], 0
	v_mov_b32_e32 v2, v25
	v_mov_b32_e32 v3, v26
.LBB143_4:                              ;   Parent Loop BB143_2 Depth=1
                                        ; =>  This Inner Loop Header: Depth=2
	v_sub_u32_e32 v4, v3, v2
	v_lshrrev_b32_e32 v5, 31, v4
	v_add_u32_e32 v4, v4, v5
	v_ashrrev_i32_e32 v4, 1, v4
	v_add_u32_e32 v12, v4, v2
	v_xad_u32 v5, v12, -1, v20
	v_lshl_add_u32 v4, v12, 3, v23
	v_lshl_add_u32 v10, v5, 3, v24
	ds_read_b64 v[4:5], v4
	ds_read_b64 v[10:11], v10
	v_add_u32_e32 v13, 1, v12
	s_waitcnt lgkmcnt(0)
	v_cmp_lt_i64_e64 s[16:17], v[10:11], v[4:5]
	s_nop 1
	v_cndmask_b32_e64 v3, v3, v12, s[16:17]
	v_cndmask_b32_e64 v2, v13, v2, s[16:17]
	v_cmp_ge_i32_e64 s[16:17], v2, v3
	s_or_b64 s[20:21], s[16:17], s[20:21]
	s_andn2_b64 exec, exec, s[20:21]
	s_cbranch_execnz .LBB143_4
; %bb.5:                                ;   in Loop: Header=BB143_2 Depth=1
	s_or_b64 exec, exec, s[20:21]
.LBB143_6:                              ;   in Loop: Header=BB143_2 Depth=1
	s_or_b64 exec, exec, s[18:19]
	v_sub_u32_e32 v14, v27, v2
	v_lshl_add_u32 v12, v2, 3, v23
	v_lshlrev_b32_e32 v16, 3, v14
	ds_read_b64 v[4:5], v12
	ds_read_b64 v[10:11], v16
	v_add_u32_e32 v15, v2, v19
	v_cmp_le_i32_e64 s[18:19], v21, v15
	v_cmp_gt_i32_e64 s[16:17], v22, v14
                                        ; implicit-def: $vgpr2_vgpr3
	s_waitcnt lgkmcnt(0)
	v_cmp_lt_i64_e64 s[20:21], v[10:11], v[4:5]
	s_or_b64 s[18:19], s[18:19], s[20:21]
	s_and_b64 s[16:17], s[16:17], s[18:19]
	s_xor_b64 s[18:19], s[16:17], -1
	s_and_saveexec_b64 s[20:21], s[18:19]
	s_xor_b64 s[18:19], exec, s[20:21]
	s_cbranch_execz .LBB143_8
; %bb.7:                                ;   in Loop: Header=BB143_2 Depth=1
	ds_read_b64 v[2:3], v12 offset:8
                                        ; implicit-def: $vgpr16
.LBB143_8:                              ;   in Loop: Header=BB143_2 Depth=1
	s_or_saveexec_b64 s[18:19], s[18:19]
	v_mov_b64_e32 v[12:13], v[10:11]
	s_xor_b64 exec, exec, s[18:19]
	s_cbranch_execz .LBB143_10
; %bb.9:                                ;   in Loop: Header=BB143_2 Depth=1
	ds_read_b64 v[12:13], v16 offset:8
	s_waitcnt lgkmcnt(1)
	v_mov_b64_e32 v[2:3], v[4:5]
.LBB143_10:                             ;   in Loop: Header=BB143_2 Depth=1
	s_or_b64 exec, exec, s[18:19]
	v_cndmask_b32_e64 v11, v5, v11, s[16:17]
	v_add_u32_e32 v5, 1, v15
	v_cndmask_b32_e64 v10, v4, v10, s[16:17]
	v_add_u32_e32 v4, 1, v14
	v_cndmask_b32_e64 v17, v5, v15, s[16:17]
	v_cndmask_b32_e64 v16, v14, v4, s[16:17]
	;; [unrolled: 1-line block ×3, first 2 shown]
	v_cmp_ge_i32_e64 s[16:17], v17, v21
	s_waitcnt lgkmcnt(0)
	v_cmp_lt_i64_e64 s[18:19], v[12:13], v[2:3]
	v_cndmask_b32_e64 v5, v9, v7, s[14:15]
	v_cndmask_b32_e64 v4, v8, v6, s[14:15]
	;; [unrolled: 1-line block ×4, first 2 shown]
	v_cmp_lt_i32_e64 s[14:15], v16, v22
	s_or_b64 s[16:17], s[16:17], s[18:19]
	s_and_b64 s[14:15], s[14:15], s[16:17]
	v_cndmask_b32_e64 v8, v2, v12, s[14:15]
	v_cndmask_b32_e64 v2, v17, v16, s[14:15]
	;; [unrolled: 1-line block ×3, first 2 shown]
	s_barrier
	ds_write2_b64 v18, v[6:7], v[4:5] offset1:1
	v_lshlrev_b32_e32 v3, 3, v14
	v_lshlrev_b32_e32 v4, 3, v2
	s_waitcnt lgkmcnt(0)
	s_barrier
	ds_read_b64 v[2:3], v3
	ds_read_b64 v[4:5], v4
	s_waitcnt lgkmcnt(0)
	s_barrier
	ds_write2_b64 v18, v[10:11], v[8:9] offset1:1
	v_mov_b32_e32 v10, v34
	s_waitcnt lgkmcnt(0)
	s_barrier
	s_and_saveexec_b64 s[16:17], s[0:1]
	s_cbranch_execz .LBB143_14
; %bb.11:                               ;   in Loop: Header=BB143_2 Depth=1
	s_mov_b64 s[18:19], 0
	v_mov_b32_e32 v10, v34
	v_mov_b32_e32 v6, v35
.LBB143_12:                             ;   Parent Loop BB143_2 Depth=1
                                        ; =>  This Inner Loop Header: Depth=2
	v_sub_u32_e32 v7, v6, v10
	v_lshrrev_b32_e32 v8, 31, v7
	v_add_u32_e32 v7, v7, v8
	v_ashrrev_i32_e32 v7, 1, v7
	v_add_u32_e32 v7, v7, v10
	v_lshl_add_u32 v8, v7, 3, v32
	v_xad_u32 v9, v7, -1, v29
	v_lshl_add_u32 v11, v9, 3, v33
	ds_read_b64 v[8:9], v8
	ds_read_b64 v[12:13], v11
	v_add_u32_e32 v11, 1, v7
	s_waitcnt lgkmcnt(0)
	v_cmp_lt_i64_e64 s[14:15], v[12:13], v[8:9]
	s_nop 1
	v_cndmask_b32_e64 v6, v6, v7, s[14:15]
	v_cndmask_b32_e64 v10, v11, v10, s[14:15]
	v_cmp_ge_i32_e64 s[14:15], v10, v6
	s_or_b64 s[18:19], s[14:15], s[18:19]
	s_andn2_b64 exec, exec, s[18:19]
	s_cbranch_execnz .LBB143_12
; %bb.13:                               ;   in Loop: Header=BB143_2 Depth=1
	s_or_b64 exec, exec, s[18:19]
.LBB143_14:                             ;   in Loop: Header=BB143_2 Depth=1
	s_or_b64 exec, exec, s[16:17]
	v_sub_u32_e32 v14, v36, v10
	v_lshl_add_u32 v12, v10, 3, v32
	v_lshlrev_b32_e32 v16, 3, v14
	ds_read_b64 v[6:7], v12
	ds_read_b64 v[8:9], v16
	v_add_u32_e32 v15, v10, v28
	v_cmp_le_i32_e64 s[16:17], v30, v15
	v_cmp_gt_i32_e64 s[14:15], v31, v14
                                        ; implicit-def: $vgpr10_vgpr11
	s_waitcnt lgkmcnt(0)
	v_cmp_lt_i64_e64 s[18:19], v[8:9], v[6:7]
	s_or_b64 s[16:17], s[16:17], s[18:19]
	s_and_b64 s[14:15], s[14:15], s[16:17]
	s_xor_b64 s[16:17], s[14:15], -1
	s_and_saveexec_b64 s[18:19], s[16:17]
	s_xor_b64 s[16:17], exec, s[18:19]
	s_cbranch_execz .LBB143_16
; %bb.15:                               ;   in Loop: Header=BB143_2 Depth=1
	ds_read_b64 v[10:11], v12 offset:8
                                        ; implicit-def: $vgpr16
.LBB143_16:                             ;   in Loop: Header=BB143_2 Depth=1
	s_or_saveexec_b64 s[16:17], s[16:17]
	v_mov_b64_e32 v[12:13], v[8:9]
	s_xor_b64 exec, exec, s[16:17]
	s_cbranch_execz .LBB143_18
; %bb.17:                               ;   in Loop: Header=BB143_2 Depth=1
	ds_read_b64 v[12:13], v16 offset:8
	s_waitcnt lgkmcnt(1)
	v_mov_b64_e32 v[10:11], v[6:7]
.LBB143_18:                             ;   in Loop: Header=BB143_2 Depth=1
	s_or_b64 exec, exec, s[16:17]
	v_cndmask_b32_e64 v7, v7, v9, s[14:15]
	v_add_u32_e32 v9, 1, v15
	v_cndmask_b32_e64 v6, v6, v8, s[14:15]
	v_add_u32_e32 v8, 1, v14
	v_cndmask_b32_e64 v17, v9, v15, s[14:15]
	v_cndmask_b32_e64 v16, v14, v8, s[14:15]
	v_cmp_ge_i32_e64 s[16:17], v17, v30
	s_waitcnt lgkmcnt(0)
	v_cmp_lt_i64_e64 s[18:19], v[12:13], v[10:11]
	v_cndmask_b32_e64 v14, v15, v14, s[14:15]
	v_cmp_lt_i32_e64 s[14:15], v16, v31
	s_or_b64 s[16:17], s[16:17], s[18:19]
	s_and_b64 s[14:15], s[14:15], s[16:17]
	v_cndmask_b32_e64 v8, v10, v12, s[14:15]
	v_cndmask_b32_e64 v10, v17, v16, s[14:15]
	s_barrier
	ds_write2_b64 v18, v[2:3], v[4:5] offset1:1
	v_lshlrev_b32_e32 v2, 3, v14
	v_lshlrev_b32_e32 v4, 3, v10
	s_waitcnt lgkmcnt(0)
	s_barrier
	ds_read_b64 v[2:3], v2
	ds_read_b64 v[4:5], v4
	v_cndmask_b32_e64 v9, v11, v13, s[14:15]
	v_mov_b32_e32 v10, v42
	s_waitcnt lgkmcnt(0)
	s_barrier
	ds_write2_b64 v18, v[6:7], v[8:9] offset1:1
	s_waitcnt lgkmcnt(0)
	s_barrier
	s_and_saveexec_b64 s[16:17], s[2:3]
	s_cbranch_execz .LBB143_22
; %bb.19:                               ;   in Loop: Header=BB143_2 Depth=1
	s_mov_b64 s[18:19], 0
	v_mov_b32_e32 v10, v42
	v_mov_b32_e32 v6, v43
.LBB143_20:                             ;   Parent Loop BB143_2 Depth=1
                                        ; =>  This Inner Loop Header: Depth=2
	v_sub_u32_e32 v7, v6, v10
	v_lshrrev_b32_e32 v8, 31, v7
	v_add_u32_e32 v7, v7, v8
	v_ashrrev_i32_e32 v7, 1, v7
	v_add_u32_e32 v7, v7, v10
	v_lshl_add_u32 v8, v7, 3, v41
	v_xad_u32 v9, v7, -1, v38
	v_lshl_add_u32 v11, v9, 3, v71
	ds_read_b64 v[8:9], v8
	ds_read_b64 v[12:13], v11
	v_add_u32_e32 v11, 1, v7
	s_waitcnt lgkmcnt(0)
	v_cmp_lt_i64_e64 s[14:15], v[12:13], v[8:9]
	s_nop 1
	v_cndmask_b32_e64 v6, v6, v7, s[14:15]
	v_cndmask_b32_e64 v10, v11, v10, s[14:15]
	v_cmp_ge_i32_e64 s[14:15], v10, v6
	s_or_b64 s[18:19], s[14:15], s[18:19]
	s_andn2_b64 exec, exec, s[18:19]
	s_cbranch_execnz .LBB143_20
; %bb.21:                               ;   in Loop: Header=BB143_2 Depth=1
	s_or_b64 exec, exec, s[18:19]
.LBB143_22:                             ;   in Loop: Header=BB143_2 Depth=1
	s_or_b64 exec, exec, s[16:17]
	v_sub_u32_e32 v14, v72, v10
	v_lshl_add_u32 v12, v10, 3, v41
	v_lshlrev_b32_e32 v16, 3, v14
	ds_read_b64 v[6:7], v12
	ds_read_b64 v[8:9], v16
	v_add_u32_e32 v15, v10, v37
	v_cmp_le_i32_e64 s[16:17], v39, v15
	v_cmp_gt_i32_e64 s[14:15], v40, v14
                                        ; implicit-def: $vgpr10_vgpr11
	s_waitcnt lgkmcnt(0)
	v_cmp_lt_i64_e64 s[18:19], v[8:9], v[6:7]
	s_or_b64 s[16:17], s[16:17], s[18:19]
	s_and_b64 s[14:15], s[14:15], s[16:17]
	s_xor_b64 s[16:17], s[14:15], -1
	s_and_saveexec_b64 s[18:19], s[16:17]
	s_xor_b64 s[16:17], exec, s[18:19]
	s_cbranch_execz .LBB143_24
; %bb.23:                               ;   in Loop: Header=BB143_2 Depth=1
	ds_read_b64 v[10:11], v12 offset:8
                                        ; implicit-def: $vgpr16
.LBB143_24:                             ;   in Loop: Header=BB143_2 Depth=1
	s_or_saveexec_b64 s[16:17], s[16:17]
	v_mov_b64_e32 v[12:13], v[8:9]
	s_xor_b64 exec, exec, s[16:17]
	s_cbranch_execz .LBB143_26
; %bb.25:                               ;   in Loop: Header=BB143_2 Depth=1
	ds_read_b64 v[12:13], v16 offset:8
	s_waitcnt lgkmcnt(1)
	v_mov_b64_e32 v[10:11], v[6:7]
.LBB143_26:                             ;   in Loop: Header=BB143_2 Depth=1
	s_or_b64 exec, exec, s[16:17]
	v_cndmask_b32_e64 v7, v7, v9, s[14:15]
	v_add_u32_e32 v9, 1, v15
	v_cndmask_b32_e64 v6, v6, v8, s[14:15]
	v_add_u32_e32 v8, 1, v14
	v_cndmask_b32_e64 v17, v9, v15, s[14:15]
	v_cndmask_b32_e64 v16, v14, v8, s[14:15]
	v_cmp_ge_i32_e64 s[16:17], v17, v39
	s_waitcnt lgkmcnt(0)
	v_cmp_lt_i64_e64 s[18:19], v[12:13], v[10:11]
	v_cndmask_b32_e64 v14, v15, v14, s[14:15]
	v_cmp_lt_i32_e64 s[14:15], v16, v40
	s_or_b64 s[16:17], s[16:17], s[18:19]
	s_and_b64 s[14:15], s[14:15], s[16:17]
	v_cndmask_b32_e64 v8, v10, v12, s[14:15]
	v_cndmask_b32_e64 v10, v17, v16, s[14:15]
	s_barrier
	ds_write2_b64 v18, v[2:3], v[4:5] offset1:1
	v_lshlrev_b32_e32 v2, 3, v14
	v_lshlrev_b32_e32 v4, 3, v10
	s_waitcnt lgkmcnt(0)
	s_barrier
	ds_read_b64 v[2:3], v2
	ds_read_b64 v[4:5], v4
	v_cndmask_b32_e64 v9, v11, v13, s[14:15]
	v_mov_b32_e32 v10, v48
	s_waitcnt lgkmcnt(0)
	s_barrier
	ds_write2_b64 v18, v[6:7], v[8:9] offset1:1
	s_waitcnt lgkmcnt(0)
	s_barrier
	s_and_saveexec_b64 s[16:17], s[4:5]
	s_cbranch_execz .LBB143_30
; %bb.27:                               ;   in Loop: Header=BB143_2 Depth=1
	s_mov_b64 s[18:19], 0
	v_mov_b32_e32 v10, v48
	v_mov_b32_e32 v6, v49
.LBB143_28:                             ;   Parent Loop BB143_2 Depth=1
                                        ; =>  This Inner Loop Header: Depth=2
	v_sub_u32_e32 v7, v6, v10
	v_lshrrev_b32_e32 v8, 31, v7
	v_add_u32_e32 v7, v7, v8
	v_ashrrev_i32_e32 v7, 1, v7
	v_add_u32_e32 v7, v7, v10
	v_lshl_add_u32 v8, v7, 3, v73
	v_xad_u32 v9, v7, -1, v45
	v_lshl_add_u32 v11, v9, 3, v74
	ds_read_b64 v[8:9], v8
	ds_read_b64 v[12:13], v11
	v_add_u32_e32 v11, 1, v7
	s_waitcnt lgkmcnt(0)
	v_cmp_lt_i64_e64 s[14:15], v[12:13], v[8:9]
	s_nop 1
	v_cndmask_b32_e64 v6, v6, v7, s[14:15]
	v_cndmask_b32_e64 v10, v11, v10, s[14:15]
	v_cmp_ge_i32_e64 s[14:15], v10, v6
	s_or_b64 s[18:19], s[14:15], s[18:19]
	s_andn2_b64 exec, exec, s[18:19]
	s_cbranch_execnz .LBB143_28
; %bb.29:                               ;   in Loop: Header=BB143_2 Depth=1
	s_or_b64 exec, exec, s[18:19]
.LBB143_30:                             ;   in Loop: Header=BB143_2 Depth=1
	s_or_b64 exec, exec, s[16:17]
	v_sub_u32_e32 v14, v75, v10
	v_lshl_add_u32 v12, v10, 3, v73
	v_lshlrev_b32_e32 v16, 3, v14
	ds_read_b64 v[6:7], v12
	ds_read_b64 v[8:9], v16
	v_add_u32_e32 v15, v10, v44
	v_cmp_le_i32_e64 s[16:17], v46, v15
	v_cmp_gt_i32_e64 s[14:15], v47, v14
                                        ; implicit-def: $vgpr10_vgpr11
	s_waitcnt lgkmcnt(0)
	v_cmp_lt_i64_e64 s[18:19], v[8:9], v[6:7]
	s_or_b64 s[16:17], s[16:17], s[18:19]
	s_and_b64 s[14:15], s[14:15], s[16:17]
	s_xor_b64 s[16:17], s[14:15], -1
	s_and_saveexec_b64 s[18:19], s[16:17]
	s_xor_b64 s[16:17], exec, s[18:19]
	s_cbranch_execz .LBB143_32
; %bb.31:                               ;   in Loop: Header=BB143_2 Depth=1
	ds_read_b64 v[10:11], v12 offset:8
                                        ; implicit-def: $vgpr16
.LBB143_32:                             ;   in Loop: Header=BB143_2 Depth=1
	s_or_saveexec_b64 s[16:17], s[16:17]
	v_mov_b64_e32 v[12:13], v[8:9]
	s_xor_b64 exec, exec, s[16:17]
	s_cbranch_execz .LBB143_34
; %bb.33:                               ;   in Loop: Header=BB143_2 Depth=1
	ds_read_b64 v[12:13], v16 offset:8
	s_waitcnt lgkmcnt(1)
	v_mov_b64_e32 v[10:11], v[6:7]
.LBB143_34:                             ;   in Loop: Header=BB143_2 Depth=1
	s_or_b64 exec, exec, s[16:17]
	v_cndmask_b32_e64 v7, v7, v9, s[14:15]
	v_add_u32_e32 v9, 1, v15
	v_cndmask_b32_e64 v6, v6, v8, s[14:15]
	v_add_u32_e32 v8, 1, v14
	v_cndmask_b32_e64 v17, v9, v15, s[14:15]
	v_cndmask_b32_e64 v16, v14, v8, s[14:15]
	v_cmp_ge_i32_e64 s[16:17], v17, v46
	s_waitcnt lgkmcnt(0)
	v_cmp_lt_i64_e64 s[18:19], v[12:13], v[10:11]
	v_cndmask_b32_e64 v14, v15, v14, s[14:15]
	v_cmp_lt_i32_e64 s[14:15], v16, v47
	s_or_b64 s[16:17], s[16:17], s[18:19]
	s_and_b64 s[14:15], s[14:15], s[16:17]
	v_cndmask_b32_e64 v8, v10, v12, s[14:15]
	v_cndmask_b32_e64 v10, v17, v16, s[14:15]
	s_barrier
	ds_write2_b64 v18, v[2:3], v[4:5] offset1:1
	v_lshlrev_b32_e32 v2, 3, v14
	v_lshlrev_b32_e32 v4, 3, v10
	s_waitcnt lgkmcnt(0)
	s_barrier
	ds_read_b64 v[2:3], v2
	ds_read_b64 v[4:5], v4
	v_cndmask_b32_e64 v9, v11, v13, s[14:15]
	v_mov_b32_e32 v10, v54
	s_waitcnt lgkmcnt(0)
	s_barrier
	ds_write2_b64 v18, v[6:7], v[8:9] offset1:1
	s_waitcnt lgkmcnt(0)
	s_barrier
	s_and_saveexec_b64 s[16:17], s[6:7]
	s_cbranch_execz .LBB143_38
; %bb.35:                               ;   in Loop: Header=BB143_2 Depth=1
	s_mov_b64 s[18:19], 0
	v_mov_b32_e32 v10, v54
	v_mov_b32_e32 v6, v55
.LBB143_36:                             ;   Parent Loop BB143_2 Depth=1
                                        ; =>  This Inner Loop Header: Depth=2
	v_sub_u32_e32 v7, v6, v10
	v_lshrrev_b32_e32 v8, 31, v7
	v_add_u32_e32 v7, v7, v8
	v_ashrrev_i32_e32 v7, 1, v7
	v_add_u32_e32 v7, v7, v10
	v_lshl_add_u32 v8, v7, 3, v76
	v_xad_u32 v9, v7, -1, v51
	v_lshl_add_u32 v11, v9, 3, v77
	ds_read_b64 v[8:9], v8
	ds_read_b64 v[12:13], v11
	v_add_u32_e32 v11, 1, v7
	s_waitcnt lgkmcnt(0)
	v_cmp_lt_i64_e64 s[14:15], v[12:13], v[8:9]
	s_nop 1
	v_cndmask_b32_e64 v6, v6, v7, s[14:15]
	v_cndmask_b32_e64 v10, v11, v10, s[14:15]
	v_cmp_ge_i32_e64 s[14:15], v10, v6
	s_or_b64 s[18:19], s[14:15], s[18:19]
	s_andn2_b64 exec, exec, s[18:19]
	s_cbranch_execnz .LBB143_36
; %bb.37:                               ;   in Loop: Header=BB143_2 Depth=1
	s_or_b64 exec, exec, s[18:19]
.LBB143_38:                             ;   in Loop: Header=BB143_2 Depth=1
	s_or_b64 exec, exec, s[16:17]
	v_sub_u32_e32 v14, v78, v10
	v_lshl_add_u32 v12, v10, 3, v76
	v_lshlrev_b32_e32 v16, 3, v14
	ds_read_b64 v[6:7], v12
	ds_read_b64 v[8:9], v16
	v_add_u32_e32 v15, v10, v50
	v_cmp_le_i32_e64 s[16:17], v52, v15
	v_cmp_gt_i32_e64 s[14:15], v53, v14
                                        ; implicit-def: $vgpr10_vgpr11
	s_waitcnt lgkmcnt(0)
	v_cmp_lt_i64_e64 s[18:19], v[8:9], v[6:7]
	s_or_b64 s[16:17], s[16:17], s[18:19]
	s_and_b64 s[14:15], s[14:15], s[16:17]
	s_xor_b64 s[16:17], s[14:15], -1
	s_and_saveexec_b64 s[18:19], s[16:17]
	s_xor_b64 s[16:17], exec, s[18:19]
	s_cbranch_execz .LBB143_40
; %bb.39:                               ;   in Loop: Header=BB143_2 Depth=1
	ds_read_b64 v[10:11], v12 offset:8
                                        ; implicit-def: $vgpr16
.LBB143_40:                             ;   in Loop: Header=BB143_2 Depth=1
	s_or_saveexec_b64 s[16:17], s[16:17]
	v_mov_b64_e32 v[12:13], v[8:9]
	s_xor_b64 exec, exec, s[16:17]
	s_cbranch_execz .LBB143_42
; %bb.41:                               ;   in Loop: Header=BB143_2 Depth=1
	ds_read_b64 v[12:13], v16 offset:8
	s_waitcnt lgkmcnt(1)
	v_mov_b64_e32 v[10:11], v[6:7]
.LBB143_42:                             ;   in Loop: Header=BB143_2 Depth=1
	s_or_b64 exec, exec, s[16:17]
	v_cndmask_b32_e64 v7, v7, v9, s[14:15]
	v_add_u32_e32 v9, 1, v15
	v_cndmask_b32_e64 v6, v6, v8, s[14:15]
	v_add_u32_e32 v8, 1, v14
	v_cndmask_b32_e64 v17, v9, v15, s[14:15]
	v_cndmask_b32_e64 v16, v14, v8, s[14:15]
	v_cmp_ge_i32_e64 s[16:17], v17, v52
	s_waitcnt lgkmcnt(0)
	v_cmp_lt_i64_e64 s[18:19], v[12:13], v[10:11]
	v_cndmask_b32_e64 v14, v15, v14, s[14:15]
	v_cmp_lt_i32_e64 s[14:15], v16, v53
	s_or_b64 s[16:17], s[16:17], s[18:19]
	s_and_b64 s[14:15], s[14:15], s[16:17]
	v_cndmask_b32_e64 v8, v10, v12, s[14:15]
	v_cndmask_b32_e64 v10, v17, v16, s[14:15]
	s_barrier
	ds_write2_b64 v18, v[2:3], v[4:5] offset1:1
	v_lshlrev_b32_e32 v2, 3, v14
	v_lshlrev_b32_e32 v4, 3, v10
	s_waitcnt lgkmcnt(0)
	s_barrier
	ds_read_b64 v[2:3], v2
	ds_read_b64 v[4:5], v4
	v_cndmask_b32_e64 v9, v11, v13, s[14:15]
	v_mov_b32_e32 v10, v60
	s_waitcnt lgkmcnt(0)
	s_barrier
	ds_write2_b64 v18, v[6:7], v[8:9] offset1:1
	s_waitcnt lgkmcnt(0)
	s_barrier
	s_and_saveexec_b64 s[16:17], s[8:9]
	s_cbranch_execz .LBB143_46
; %bb.43:                               ;   in Loop: Header=BB143_2 Depth=1
	s_mov_b64 s[18:19], 0
	v_mov_b32_e32 v10, v60
	v_mov_b32_e32 v6, v61
.LBB143_44:                             ;   Parent Loop BB143_2 Depth=1
                                        ; =>  This Inner Loop Header: Depth=2
	v_sub_u32_e32 v7, v6, v10
	v_lshrrev_b32_e32 v8, 31, v7
	v_add_u32_e32 v7, v7, v8
	v_ashrrev_i32_e32 v7, 1, v7
	v_add_u32_e32 v7, v7, v10
	v_lshl_add_u32 v8, v7, 3, v79
	v_xad_u32 v9, v7, -1, v57
	v_lshl_add_u32 v11, v9, 3, v80
	ds_read_b64 v[8:9], v8
	ds_read_b64 v[12:13], v11
	v_add_u32_e32 v11, 1, v7
	s_waitcnt lgkmcnt(0)
	v_cmp_lt_i64_e64 s[14:15], v[12:13], v[8:9]
	s_nop 1
	v_cndmask_b32_e64 v6, v6, v7, s[14:15]
	v_cndmask_b32_e64 v10, v11, v10, s[14:15]
	v_cmp_ge_i32_e64 s[14:15], v10, v6
	s_or_b64 s[18:19], s[14:15], s[18:19]
	s_andn2_b64 exec, exec, s[18:19]
	s_cbranch_execnz .LBB143_44
; %bb.45:                               ;   in Loop: Header=BB143_2 Depth=1
	s_or_b64 exec, exec, s[18:19]
.LBB143_46:                             ;   in Loop: Header=BB143_2 Depth=1
	s_or_b64 exec, exec, s[16:17]
	v_sub_u32_e32 v14, v81, v10
	v_lshl_add_u32 v12, v10, 3, v79
	v_lshlrev_b32_e32 v16, 3, v14
	ds_read_b64 v[6:7], v12
	ds_read_b64 v[8:9], v16
	v_add_u32_e32 v15, v10, v56
	v_cmp_le_i32_e64 s[16:17], v58, v15
	v_cmp_gt_i32_e64 s[14:15], v59, v14
                                        ; implicit-def: $vgpr10_vgpr11
	s_waitcnt lgkmcnt(0)
	v_cmp_lt_i64_e64 s[18:19], v[8:9], v[6:7]
	s_or_b64 s[16:17], s[16:17], s[18:19]
	s_and_b64 s[14:15], s[14:15], s[16:17]
	s_xor_b64 s[16:17], s[14:15], -1
	s_and_saveexec_b64 s[18:19], s[16:17]
	s_xor_b64 s[16:17], exec, s[18:19]
	s_cbranch_execz .LBB143_48
; %bb.47:                               ;   in Loop: Header=BB143_2 Depth=1
	ds_read_b64 v[10:11], v12 offset:8
                                        ; implicit-def: $vgpr16
.LBB143_48:                             ;   in Loop: Header=BB143_2 Depth=1
	s_or_saveexec_b64 s[16:17], s[16:17]
	v_mov_b64_e32 v[12:13], v[8:9]
	s_xor_b64 exec, exec, s[16:17]
	s_cbranch_execz .LBB143_50
; %bb.49:                               ;   in Loop: Header=BB143_2 Depth=1
	ds_read_b64 v[12:13], v16 offset:8
	s_waitcnt lgkmcnt(1)
	v_mov_b64_e32 v[10:11], v[6:7]
.LBB143_50:                             ;   in Loop: Header=BB143_2 Depth=1
	s_or_b64 exec, exec, s[16:17]
	v_cndmask_b32_e64 v7, v7, v9, s[14:15]
	v_add_u32_e32 v9, 1, v15
	v_cndmask_b32_e64 v6, v6, v8, s[14:15]
	v_add_u32_e32 v8, 1, v14
	v_cndmask_b32_e64 v17, v9, v15, s[14:15]
	v_cndmask_b32_e64 v16, v14, v8, s[14:15]
	v_cmp_ge_i32_e64 s[16:17], v17, v58
	s_waitcnt lgkmcnt(0)
	v_cmp_lt_i64_e64 s[18:19], v[12:13], v[10:11]
	v_cndmask_b32_e64 v14, v15, v14, s[14:15]
	v_cmp_lt_i32_e64 s[14:15], v16, v59
	s_or_b64 s[16:17], s[16:17], s[18:19]
	s_and_b64 s[14:15], s[14:15], s[16:17]
	v_cndmask_b32_e64 v8, v10, v12, s[14:15]
	v_cndmask_b32_e64 v10, v17, v16, s[14:15]
	s_barrier
	ds_write2_b64 v18, v[2:3], v[4:5] offset1:1
	v_lshlrev_b32_e32 v2, 3, v14
	v_lshlrev_b32_e32 v4, 3, v10
	s_waitcnt lgkmcnt(0)
	s_barrier
	ds_read_b64 v[2:3], v2
	ds_read_b64 v[4:5], v4
	v_cndmask_b32_e64 v9, v11, v13, s[14:15]
	v_mov_b32_e32 v10, v67
	s_waitcnt lgkmcnt(0)
	s_barrier
	ds_write2_b64 v18, v[6:7], v[8:9] offset1:1
	s_waitcnt lgkmcnt(0)
	s_barrier
	s_and_saveexec_b64 s[16:17], s[10:11]
	s_cbranch_execz .LBB143_54
; %bb.51:                               ;   in Loop: Header=BB143_2 Depth=1
	s_mov_b64 s[18:19], 0
	v_mov_b32_e32 v10, v67
	v_mov_b32_e32 v6, v68
.LBB143_52:                             ;   Parent Loop BB143_2 Depth=1
                                        ; =>  This Inner Loop Header: Depth=2
	v_sub_u32_e32 v7, v6, v10
	v_lshrrev_b32_e32 v8, 31, v7
	v_add_u32_e32 v7, v7, v8
	v_ashrrev_i32_e32 v7, 1, v7
	v_add_u32_e32 v7, v7, v10
	v_lshl_add_u32 v8, v7, 3, v82
	v_xad_u32 v9, v7, -1, v64
	v_lshl_add_u32 v11, v9, 3, v83
	ds_read_b64 v[8:9], v8
	ds_read_b64 v[12:13], v11
	v_add_u32_e32 v11, 1, v7
	s_waitcnt lgkmcnt(0)
	v_cmp_lt_i64_e64 s[14:15], v[12:13], v[8:9]
	s_nop 1
	v_cndmask_b32_e64 v6, v6, v7, s[14:15]
	v_cndmask_b32_e64 v10, v11, v10, s[14:15]
	v_cmp_ge_i32_e64 s[14:15], v10, v6
	s_or_b64 s[18:19], s[14:15], s[18:19]
	s_andn2_b64 exec, exec, s[18:19]
	s_cbranch_execnz .LBB143_52
; %bb.53:                               ;   in Loop: Header=BB143_2 Depth=1
	s_or_b64 exec, exec, s[18:19]
.LBB143_54:                             ;   in Loop: Header=BB143_2 Depth=1
	s_or_b64 exec, exec, s[16:17]
	v_sub_u32_e32 v14, v84, v10
	v_lshl_add_u32 v12, v10, 3, v82
	v_lshlrev_b32_e32 v16, 3, v14
	ds_read_b64 v[6:7], v12
	ds_read_b64 v[8:9], v16
	v_add_u32_e32 v15, v10, v63
	v_cmp_le_i32_e64 s[16:17], v65, v15
	v_cmp_gt_i32_e64 s[14:15], v66, v14
                                        ; implicit-def: $vgpr10_vgpr11
	s_waitcnt lgkmcnt(0)
	v_cmp_lt_i64_e64 s[18:19], v[8:9], v[6:7]
	s_or_b64 s[16:17], s[16:17], s[18:19]
	s_and_b64 s[14:15], s[14:15], s[16:17]
	s_xor_b64 s[16:17], s[14:15], -1
	s_and_saveexec_b64 s[18:19], s[16:17]
	s_xor_b64 s[16:17], exec, s[18:19]
	s_cbranch_execz .LBB143_56
; %bb.55:                               ;   in Loop: Header=BB143_2 Depth=1
	ds_read_b64 v[10:11], v12 offset:8
                                        ; implicit-def: $vgpr16
.LBB143_56:                             ;   in Loop: Header=BB143_2 Depth=1
	s_or_saveexec_b64 s[16:17], s[16:17]
	v_mov_b64_e32 v[12:13], v[8:9]
	s_xor_b64 exec, exec, s[16:17]
	s_cbranch_execz .LBB143_58
; %bb.57:                               ;   in Loop: Header=BB143_2 Depth=1
	ds_read_b64 v[12:13], v16 offset:8
	s_waitcnt lgkmcnt(1)
	v_mov_b64_e32 v[10:11], v[6:7]
.LBB143_58:                             ;   in Loop: Header=BB143_2 Depth=1
	s_or_b64 exec, exec, s[16:17]
	v_cndmask_b32_e64 v17, v7, v9, s[14:15]
	v_add_u32_e32 v7, 1, v15
	v_cndmask_b32_e64 v16, v6, v8, s[14:15]
	v_add_u32_e32 v6, 1, v14
	v_cndmask_b32_e64 v7, v7, v15, s[14:15]
	v_cndmask_b32_e64 v6, v14, v6, s[14:15]
	v_cmp_ge_i32_e64 s[16:17], v7, v65
	s_waitcnt lgkmcnt(0)
	v_cmp_lt_i64_e64 s[18:19], v[12:13], v[10:11]
	v_cndmask_b32_e64 v8, v15, v14, s[14:15]
	v_cmp_lt_i32_e64 s[14:15], v6, v66
	s_or_b64 s[16:17], s[16:17], s[18:19]
	s_and_b64 s[14:15], s[14:15], s[16:17]
	v_cndmask_b32_e64 v6, v7, v6, s[14:15]
	s_barrier
	ds_write2_b64 v18, v[2:3], v[4:5] offset1:1
	v_lshlrev_b32_e32 v2, 3, v8
	s_waitcnt lgkmcnt(0)
	s_barrier
	v_lshlrev_b32_e32 v3, 3, v6
	ds_read_b64 v[6:7], v2
	ds_read_b64 v[8:9], v3
	v_cndmask_b32_e64 v11, v11, v13, s[14:15]
	v_cndmask_b32_e64 v10, v10, v12, s[14:15]
	v_mov_b32_e32 v2, v69
	s_waitcnt lgkmcnt(0)
	s_barrier
	ds_write2_b64 v18, v[16:17], v[10:11] offset1:1
	s_waitcnt lgkmcnt(0)
	s_barrier
	s_and_saveexec_b64 s[16:17], s[12:13]
	s_cbranch_execz .LBB143_62
; %bb.59:                               ;   in Loop: Header=BB143_2 Depth=1
	s_mov_b64 s[18:19], 0
	v_mov_b32_e32 v2, v69
	v_mov_b32_e32 v3, v70
.LBB143_60:                             ;   Parent Loop BB143_2 Depth=1
                                        ; =>  This Inner Loop Header: Depth=2
	v_sub_u32_e32 v4, v3, v2
	v_lshrrev_b32_e32 v5, 31, v4
	v_add_u32_e32 v4, v4, v5
	v_ashrrev_i32_e32 v4, 1, v4
	v_add_u32_e32 v12, v4, v2
	v_xad_u32 v5, v12, -1, v1
	v_lshlrev_b32_e32 v4, 3, v12
	v_lshl_add_u32 v10, v5, 3, v85
	ds_read_b64 v[4:5], v4
	ds_read_b64 v[10:11], v10
	v_add_u32_e32 v13, 1, v12
	s_waitcnt lgkmcnt(0)
	v_cmp_lt_i64_e64 s[14:15], v[10:11], v[4:5]
	s_nop 1
	v_cndmask_b32_e64 v3, v3, v12, s[14:15]
	v_cndmask_b32_e64 v2, v13, v2, s[14:15]
	v_cmp_ge_i32_e64 s[14:15], v2, v3
	s_or_b64 s[18:19], s[14:15], s[18:19]
	s_andn2_b64 exec, exec, s[18:19]
	s_cbranch_execnz .LBB143_60
; %bb.61:                               ;   in Loop: Header=BB143_2 Depth=1
	s_or_b64 exec, exec, s[18:19]
.LBB143_62:                             ;   in Loop: Header=BB143_2 Depth=1
	s_or_b64 exec, exec, s[16:17]
	v_sub_u32_e32 v12, v86, v2
	v_lshlrev_b32_e32 v16, 3, v2
	v_lshlrev_b32_e32 v3, 3, v12
	ds_read_b64 v[4:5], v16
	ds_read_b64 v[10:11], v3
	v_cmp_le_i32_e64 s[16:17], v62, v2
	v_cmp_gt_i32_e64 s[14:15], s26, v12
                                        ; implicit-def: $vgpr14_vgpr15
                                        ; implicit-def: $vgpr13
	s_waitcnt lgkmcnt(0)
	v_cmp_lt_i64_e64 s[18:19], v[10:11], v[4:5]
	s_or_b64 s[16:17], s[16:17], s[18:19]
	s_and_b64 s[14:15], s[14:15], s[16:17]
	s_xor_b64 s[16:17], s[14:15], -1
	s_and_saveexec_b64 s[18:19], s[16:17]
	s_xor_b64 s[16:17], exec, s[18:19]
	s_cbranch_execz .LBB143_64
; %bb.63:                               ;   in Loop: Header=BB143_2 Depth=1
	ds_read_b64 v[14:15], v16 offset:8
	v_add_u32_e32 v13, 1, v2
                                        ; implicit-def: $vgpr3
.LBB143_64:                             ;   in Loop: Header=BB143_2 Depth=1
	s_or_saveexec_b64 s[16:17], s[16:17]
	v_mov_b64_e32 v[16:17], v[10:11]
	s_xor_b64 exec, exec, s[16:17]
	s_cbranch_execz .LBB143_1
; %bb.65:                               ;   in Loop: Header=BB143_2 Depth=1
	ds_read_b64 v[16:17], v3 offset:8
	v_mov_b32_e32 v13, v2
	s_waitcnt lgkmcnt(1)
	v_add_u32_e32 v14, 1, v12
	v_mov_b64_e32 v[2:3], v[12:13]
	v_mov_b32_e32 v12, v14
	v_mov_b64_e32 v[14:15], v[4:5]
	s_branch .LBB143_1
.LBB143_66:
	s_add_u32 s0, s22, s24
	s_waitcnt lgkmcnt(1)
	v_lshl_add_u64 v[2:3], v[2:3], 0, v[6:7]
	s_addc_u32 s1, s23, s25
	v_lshlrev_b32_e32 v0, 3, v0
	s_waitcnt lgkmcnt(0)
	v_lshl_add_u64 v[4:5], v[4:5], 0, v[8:9]
	global_store_dwordx2 v0, v[2:3], s[0:1]
	global_store_dwordx2 v0, v[4:5], s[0:1] offset:2048
	s_endpgm
	.section	.rodata,"a",@progbits
	.p2align	6, 0x0
	.amdhsa_kernel _Z17sort_pairs_kernelIxLj256ELj2EN10test_utils4lessELj10EEvPKT_PS2_T2_
		.amdhsa_group_segment_fixed_size 4104
		.amdhsa_private_segment_fixed_size 0
		.amdhsa_kernarg_size 20
		.amdhsa_user_sgpr_count 2
		.amdhsa_user_sgpr_dispatch_ptr 0
		.amdhsa_user_sgpr_queue_ptr 0
		.amdhsa_user_sgpr_kernarg_segment_ptr 1
		.amdhsa_user_sgpr_dispatch_id 0
		.amdhsa_user_sgpr_kernarg_preload_length 0
		.amdhsa_user_sgpr_kernarg_preload_offset 0
		.amdhsa_user_sgpr_private_segment_size 0
		.amdhsa_uses_dynamic_stack 0
		.amdhsa_enable_private_segment 0
		.amdhsa_system_sgpr_workgroup_id_x 1
		.amdhsa_system_sgpr_workgroup_id_y 0
		.amdhsa_system_sgpr_workgroup_id_z 0
		.amdhsa_system_sgpr_workgroup_info 0
		.amdhsa_system_vgpr_workitem_id 0
		.amdhsa_next_free_vgpr 87
		.amdhsa_next_free_sgpr 28
		.amdhsa_accum_offset 88
		.amdhsa_reserve_vcc 1
		.amdhsa_float_round_mode_32 0
		.amdhsa_float_round_mode_16_64 0
		.amdhsa_float_denorm_mode_32 3
		.amdhsa_float_denorm_mode_16_64 3
		.amdhsa_dx10_clamp 1
		.amdhsa_ieee_mode 1
		.amdhsa_fp16_overflow 0
		.amdhsa_tg_split 0
		.amdhsa_exception_fp_ieee_invalid_op 0
		.amdhsa_exception_fp_denorm_src 0
		.amdhsa_exception_fp_ieee_div_zero 0
		.amdhsa_exception_fp_ieee_overflow 0
		.amdhsa_exception_fp_ieee_underflow 0
		.amdhsa_exception_fp_ieee_inexact 0
		.amdhsa_exception_int_div_zero 0
	.end_amdhsa_kernel
	.section	.text._Z17sort_pairs_kernelIxLj256ELj2EN10test_utils4lessELj10EEvPKT_PS2_T2_,"axG",@progbits,_Z17sort_pairs_kernelIxLj256ELj2EN10test_utils4lessELj10EEvPKT_PS2_T2_,comdat
.Lfunc_end143:
	.size	_Z17sort_pairs_kernelIxLj256ELj2EN10test_utils4lessELj10EEvPKT_PS2_T2_, .Lfunc_end143-_Z17sort_pairs_kernelIxLj256ELj2EN10test_utils4lessELj10EEvPKT_PS2_T2_
                                        ; -- End function
	.section	.AMDGPU.csdata,"",@progbits
; Kernel info:
; codeLenInByte = 4420
; NumSgprs: 34
; NumVgprs: 87
; NumAgprs: 0
; TotalNumVgprs: 87
; ScratchSize: 0
; MemoryBound: 0
; FloatMode: 240
; IeeeMode: 1
; LDSByteSize: 4104 bytes/workgroup (compile time only)
; SGPRBlocks: 4
; VGPRBlocks: 10
; NumSGPRsForWavesPerEU: 34
; NumVGPRsForWavesPerEU: 87
; AccumOffset: 88
; Occupancy: 5
; WaveLimiterHint : 1
; COMPUTE_PGM_RSRC2:SCRATCH_EN: 0
; COMPUTE_PGM_RSRC2:USER_SGPR: 2
; COMPUTE_PGM_RSRC2:TRAP_HANDLER: 0
; COMPUTE_PGM_RSRC2:TGID_X_EN: 1
; COMPUTE_PGM_RSRC2:TGID_Y_EN: 0
; COMPUTE_PGM_RSRC2:TGID_Z_EN: 0
; COMPUTE_PGM_RSRC2:TIDIG_COMP_CNT: 0
; COMPUTE_PGM_RSRC3_GFX90A:ACCUM_OFFSET: 21
; COMPUTE_PGM_RSRC3_GFX90A:TG_SPLIT: 0
	.section	.text._Z16sort_keys_kernelIxLj256ELj3EN10test_utils4lessELj10EEvPKT_PS2_T2_,"axG",@progbits,_Z16sort_keys_kernelIxLj256ELj3EN10test_utils4lessELj10EEvPKT_PS2_T2_,comdat
	.protected	_Z16sort_keys_kernelIxLj256ELj3EN10test_utils4lessELj10EEvPKT_PS2_T2_ ; -- Begin function _Z16sort_keys_kernelIxLj256ELj3EN10test_utils4lessELj10EEvPKT_PS2_T2_
	.globl	_Z16sort_keys_kernelIxLj256ELj3EN10test_utils4lessELj10EEvPKT_PS2_T2_
	.p2align	8
	.type	_Z16sort_keys_kernelIxLj256ELj3EN10test_utils4lessELj10EEvPKT_PS2_T2_,@function
_Z16sort_keys_kernelIxLj256ELj3EN10test_utils4lessELj10EEvPKT_PS2_T2_: ; @_Z16sort_keys_kernelIxLj256ELj3EN10test_utils4lessELj10EEvPKT_PS2_T2_
; %bb.0:
	s_load_dwordx4 s[20:23], s[0:1], 0x0
	s_mul_i32 s24, s2, 0x300
	s_mov_b32 s25, 0
	s_lshl_b64 s[26:27], s[24:25], 3
	v_mov_b32_e32 v9, 0
	s_waitcnt lgkmcnt(0)
	s_add_u32 s0, s20, s26
	s_addc_u32 s1, s21, s27
	v_lshlrev_b32_e32 v8, 3, v0
	v_lshl_add_u64 v[2:3], s[0:1], 0, v[8:9]
	s_movk_i32 s2, 0x1000
	v_add_co_u32_e32 v10, vcc, s2, v2
	v_and_b32_e32 v1, 0xfe, v0
	s_nop 0
	v_addc_co_u32_e32 v11, vcc, 0, v3, vcc
	global_load_dwordx2 v[6:7], v8, s[0:1] offset:2048
	global_load_dwordx2 v[4:5], v8, s[0:1]
	global_load_dwordx2 v[2:3], v[10:11], off
	v_mul_u32_u24_e32 v8, 3, v1
	v_and_b32_e32 v1, 1, v0
	v_min_u32_e32 v9, 0x2fd, v8
	v_cmp_eq_u32_e32 vcc, 1, v1
	v_min_u32_e32 v14, 0x300, v8
	v_add_u32_e32 v15, 3, v9
	v_min_u32_e32 v8, 0x2fa, v8
	v_cndmask_b32_e64 v1, 0, 3, vcc
	v_add_u32_e32 v16, 6, v8
	v_sub_u32_e32 v8, v15, v14
	v_sub_u32_e32 v10, v16, v15
	v_min_i32_e32 v18, v1, v8
	v_and_b32_e32 v8, 0xfc, v0
	v_sub_u32_e32 v11, v1, v10
	v_cmp_ge_i32_e32 vcc, v1, v10
	v_mul_u32_u24_e32 v8, 3, v8
	v_and_b32_e32 v10, 3, v0
	v_cndmask_b32_e32 v17, 0, v11, vcc
	v_min_u32_e32 v11, 0x2fa, v8
	v_min_u32_e32 v20, 0x300, v8
	v_add_u32_e32 v21, 6, v11
	v_min_u32_e32 v8, 0x2f4, v8
	v_mul_u32_u24_e32 v19, 3, v10
	v_add_u32_e32 v22, 12, v8
	v_sub_u32_e32 v8, v21, v20
	v_min_i32_e32 v24, v19, v8
	v_and_b32_e32 v8, 0xf8, v0
	v_sub_u32_e32 v12, v22, v21
	v_mul_u32_u24_e32 v8, 3, v8
	v_sub_u32_e32 v13, v19, v12
	v_cmp_ge_i32_e64 s[0:1], v19, v12
	v_min_u32_e32 v12, 0x2f4, v8
	v_mad_u32_u24 v25, v10, 3, v21
	v_and_b32_e32 v10, 7, v0
	v_min_u32_e32 v27, 0x300, v8
	v_add_u32_e32 v28, 12, v12
	v_min_u32_e32 v8, 0x2e8, v8
	v_mul_u32_u24_e32 v26, 3, v10
	v_add_u32_e32 v29, 24, v8
	v_sub_u32_e32 v8, v28, v27
	v_min_i32_e32 v31, v26, v8
	v_and_b32_e32 v8, 0xf0, v0
	v_and_b32_e32 v37, 0xe0, v0
	v_cndmask_b32_e64 v23, 0, v13, s[0:1]
	v_sub_u32_e32 v13, v29, v28
	v_mul_u32_u24_e32 v8, 3, v8
	v_mul_u32_u24_e32 v53, 3, v37
	v_and_b32_e32 v40, 0xc0, v0
	v_mov_b32_e32 v46, 0x60
	v_sub_u32_e32 v30, v26, v13
	v_cmp_ge_i32_e64 s[2:3], v26, v13
	v_min_u32_e32 v34, 0x300, v8
	v_min_u32_e32 v13, 0x2e8, v8
	v_min_u32_e32 v8, 0x2d0, v8
	v_min_u32_e32 v71, 0x2d0, v53
	v_min_u32_e32 v39, 0x2a0, v53
	v_mul_u32_u24_e32 v57, 3, v40
	v_and_b32_e32 v43, 0x80, v0
	v_lshl_add_u32 v46, v12, 3, v46
	v_mov_b32_e32 v12, 0xc0
	v_mad_u32_u24 v32, v10, 3, v28
	v_and_b32_e32 v10, 15, v0
	v_add_u32_e32 v35, 24, v13
	v_add_u32_e32 v36, 48, v8
	v_and_b32_e32 v56, 31, v0
	v_add_u32_e32 v38, 48, v71
	v_add_u32_e32 v39, 0x60, v39
	v_min_u32_e32 v48, 0x2a0, v57
	v_min_u32_e32 v42, 0x240, v57
	v_mul_u32_u24_e32 v61, 3, v43
	v_lshl_add_u32 v47, v13, 3, v12
	v_mov_b32_e32 v12, 0x300
	v_mul_u32_u24_e32 v33, 3, v10
	v_sub_u32_e32 v8, v36, v35
	v_mul_u32_u24_e32 v37, 3, v56
	v_sub_u32_e32 v54, v39, v38
	v_and_b32_e32 v60, 63, v0
	v_add_u32_e32 v41, 0x60, v48
	v_add_u32_e32 v42, 0xc0, v42
	v_min_u32_e32 v49, 0x240, v61
	v_min_u32_e32 v45, 0x180, v61
	v_lshl_add_u32 v48, v48, 3, v12
	v_mov_b32_e32 v12, 0x600
	v_min_u32_e32 v53, 0x300, v53
	v_sub_u32_e32 v55, v37, v54
	v_mul_u32_u24_e32 v40, 3, v60
	v_sub_u32_e32 v58, v42, v41
	v_and_b32_e32 v64, 0x7f, v0
	v_add_u32_e32 v44, 0xc0, v49
	v_add_u32_e32 v45, 0x180, v45
	v_lshl_add_u32 v49, v49, 3, v12
	v_sub_u32_e32 v12, v33, v8
	v_cmp_ge_i32_e64 s[4:5], v33, v8
	v_cmp_ge_i32_e64 s[6:7], v37, v54
	v_sub_u32_e32 v8, v38, v53
	v_min_u32_e32 v57, 0x300, v57
	v_sub_u32_e32 v59, v40, v58
	v_mul_u32_u24_e32 v43, 3, v64
	v_sub_u32_e32 v62, v45, v44
	v_cndmask_b32_e64 v54, 0, v55, s[6:7]
	v_min_i32_e32 v55, v37, v8
	v_cmp_ge_i32_e64 s[8:9], v40, v58
	v_sub_u32_e32 v8, v41, v57
	v_min_u32_e32 v61, 0x300, v61
	v_sub_u32_e32 v63, v43, v62
	v_sub_u32_e32 v13, v35, v34
	v_cndmask_b32_e64 v58, 0, v59, s[8:9]
	v_min_i32_e32 v59, v40, v8
	v_cmp_ge_i32_e64 s[10:11], v43, v62
	v_sub_u32_e32 v8, v44, v61
	v_mul_u32_u24_e32 v65, 3, v0
	v_mov_b32_e32 v66, 0x180
	v_cndmask_b32_e64 v30, 0, v30, s[2:3]
	v_cndmask_b32_e64 v50, 0, v12, s[4:5]
	v_min_i32_e32 v51, v33, v13
	v_cndmask_b32_e64 v62, 0, v63, s[10:11]
	v_min_i32_e32 v63, v43, v8
	v_sub_u32_e64 v67, v65, v66 clamp
	v_min_i32_e32 v68, 0x180, v65
	s_movk_i32 s28, 0x300
	v_cmp_lt_i32_e32 vcc, v17, v18
	v_cmp_lt_i32_e64 s[0:1], v23, v24
	v_cmp_lt_i32_e64 s[2:3], v30, v31
	;; [unrolled: 1-line block ×3, first 2 shown]
	v_mad_u32_u24 v52, v10, 3, v35
	v_cmp_lt_i32_e64 s[6:7], v54, v55
	v_mad_u32_u24 v56, v56, 3, v38
	v_cmp_lt_i32_e64 s[8:9], v58, v59
	;; [unrolled: 2-line block ×4, first 2 shown]
	v_lshl_add_u32 v69, v9, 3, 24
	v_lshl_add_u32 v70, v11, 3, 48
	;; [unrolled: 1-line block ×3, first 2 shown]
	v_lshlrev_b32_e32 v72, 3, v65
	v_lshlrev_b32_e32 v73, 3, v14
	v_add_u32_e32 v74, v15, v1
	v_lshlrev_b32_e32 v75, 3, v20
	v_lshlrev_b32_e32 v76, 3, v27
	v_lshlrev_b32_e32 v77, 3, v34
	v_lshlrev_b32_e32 v78, 3, v53
	v_lshlrev_b32_e32 v79, 3, v57
	v_lshlrev_b32_e32 v80, 3, v61
	v_mad_u32_u24 v81, v0, 3, v66
	v_mov_b32_e32 v82, 0xc00
	s_branch .LBB144_2
.LBB144_1:                              ;   in Loop: Header=BB144_2 Depth=1
	s_or_b64 exec, exec, s[18:19]
	v_cndmask_b32_e64 v7, v7, v9, s[16:17]
	v_cndmask_b32_e64 v6, v6, v8, s[16:17]
	v_cmp_ge_i32_e64 s[16:17], v84, v66
	s_waitcnt lgkmcnt(0)
	v_cmp_lt_i64_e64 s[18:19], v[12:13], v[10:11]
	v_cndmask_b32_e64 v5, v3, v5, s[14:15]
	v_cndmask_b32_e64 v4, v2, v4, s[14:15]
	v_cmp_gt_i32_e64 s[14:15], s28, v83
	s_or_b64 s[16:17], s[16:17], s[18:19]
	s_and_b64 s[14:15], s[14:15], s[16:17]
	s_add_i32 s25, s25, 1
	v_cndmask_b32_e64 v3, v11, v13, s[14:15]
	s_cmp_eq_u32 s25, 10
	v_cndmask_b32_e64 v2, v10, v12, s[14:15]
	s_cbranch_scc1 .LBB144_98
.LBB144_2:                              ; =>This Loop Header: Depth=1
                                        ;     Child Loop BB144_4 Depth 2
                                        ;     Child Loop BB144_16 Depth 2
	;; [unrolled: 1-line block ×8, first 2 shown]
	s_waitcnt vmcnt(1)
	v_cmp_lt_i64_e64 s[14:15], v[6:7], v[4:5]
	s_barrier
	s_nop 0
	v_cndmask_b32_e64 v9, v5, v7, s[14:15]
	v_cndmask_b32_e64 v8, v4, v6, s[14:15]
	;; [unrolled: 1-line block ×4, first 2 shown]
	v_cmp_gt_i64_e64 s[14:15], v[6:7], v[4:5]
	s_nop 1
	v_cndmask_b32_e64 v5, v5, v7, s[14:15]
	v_cndmask_b32_e64 v4, v4, v6, s[14:15]
	s_waitcnt vmcnt(0)
	v_cmp_lt_i64_e64 s[14:15], v[2:3], v[4:5]
	s_nop 1
	v_cndmask_b32_e64 v7, v3, v5, s[14:15]
	v_cndmask_b32_e64 v6, v2, v4, s[14:15]
	;; [unrolled: 1-line block ×6, first 2 shown]
	v_cmp_lt_i64_e64 s[14:15], v[2:3], v[8:9]
	s_nop 1
	v_cndmask_b32_e64 v3, v10, v9, s[14:15]
	v_cndmask_b32_e64 v2, v11, v8, s[14:15]
	v_cndmask_b32_e64 v5, v9, v5, s[14:15]
	v_cndmask_b32_e64 v4, v8, v4, s[14:15]
	ds_write2_b64 v72, v[4:5], v[2:3] offset1:1
	ds_write_b64 v72, v[6:7] offset:16
	v_mov_b32_e32 v6, v17
	s_waitcnt lgkmcnt(0)
	s_barrier
	s_and_saveexec_b64 s[16:17], vcc
	s_cbranch_execz .LBB144_6
; %bb.3:                                ;   in Loop: Header=BB144_2 Depth=1
	s_mov_b64 s[18:19], 0
	v_mov_b32_e32 v6, v17
	v_mov_b32_e32 v2, v18
.LBB144_4:                              ;   Parent Loop BB144_2 Depth=1
                                        ; =>  This Inner Loop Header: Depth=2
	v_sub_u32_e32 v3, v2, v6
	v_lshrrev_b32_e32 v4, 31, v3
	v_add_u32_e32 v3, v3, v4
	v_ashrrev_i32_e32 v3, 1, v3
	v_add_u32_e32 v3, v3, v6
	v_lshl_add_u32 v4, v3, 3, v73
	v_xad_u32 v5, v3, -1, v1
	v_lshl_add_u32 v7, v5, 3, v69
	ds_read_b64 v[4:5], v4
	ds_read_b64 v[8:9], v7
	v_add_u32_e32 v7, 1, v3
	s_waitcnt lgkmcnt(0)
	v_cmp_lt_i64_e64 s[14:15], v[8:9], v[4:5]
	s_nop 1
	v_cndmask_b32_e64 v2, v2, v3, s[14:15]
	v_cndmask_b32_e64 v6, v7, v6, s[14:15]
	v_cmp_ge_i32_e64 s[14:15], v6, v2
	s_or_b64 s[18:19], s[14:15], s[18:19]
	s_andn2_b64 exec, exec, s[18:19]
	s_cbranch_execnz .LBB144_4
; %bb.5:                                ;   in Loop: Header=BB144_2 Depth=1
	s_or_b64 exec, exec, s[18:19]
.LBB144_6:                              ;   in Loop: Header=BB144_2 Depth=1
	s_or_b64 exec, exec, s[16:17]
	v_sub_u32_e32 v10, v74, v6
	v_lshl_add_u32 v8, v6, 3, v73
	v_lshlrev_b32_e32 v12, 3, v10
	ds_read_b64 v[2:3], v8
	ds_read_b64 v[4:5], v12
	v_add_u32_e32 v11, v6, v14
	v_cmp_le_i32_e64 s[16:17], v15, v11
	v_cmp_gt_i32_e64 s[14:15], v16, v10
                                        ; implicit-def: $vgpr6_vgpr7
	s_waitcnt lgkmcnt(0)
	v_cmp_lt_i64_e64 s[18:19], v[4:5], v[2:3]
	s_or_b64 s[16:17], s[16:17], s[18:19]
	s_and_b64 s[14:15], s[14:15], s[16:17]
	s_xor_b64 s[16:17], s[14:15], -1
	s_and_saveexec_b64 s[18:19], s[16:17]
	s_xor_b64 s[16:17], exec, s[18:19]
	s_cbranch_execz .LBB144_8
; %bb.7:                                ;   in Loop: Header=BB144_2 Depth=1
	ds_read_b64 v[6:7], v8 offset:8
                                        ; implicit-def: $vgpr12
.LBB144_8:                              ;   in Loop: Header=BB144_2 Depth=1
	s_or_saveexec_b64 s[16:17], s[16:17]
	v_mov_b64_e32 v[8:9], v[4:5]
	s_xor_b64 exec, exec, s[16:17]
	s_cbranch_execz .LBB144_10
; %bb.9:                                ;   in Loop: Header=BB144_2 Depth=1
	ds_read_b64 v[8:9], v12 offset:8
	s_waitcnt lgkmcnt(1)
	v_mov_b64_e32 v[6:7], v[2:3]
.LBB144_10:                             ;   in Loop: Header=BB144_2 Depth=1
	s_or_b64 exec, exec, s[16:17]
	v_add_u32_e32 v13, 1, v11
	v_add_u32_e32 v12, 1, v10
	v_cndmask_b32_e64 v84, v13, v11, s[14:15]
	v_cndmask_b32_e64 v83, v10, v12, s[14:15]
	v_cmp_ge_i32_e64 s[18:19], v84, v15
	s_waitcnt lgkmcnt(0)
	v_cmp_lt_i64_e64 s[20:21], v[8:9], v[6:7]
	v_cmp_lt_i32_e64 s[16:17], v83, v16
	s_or_b64 s[18:19], s[18:19], s[20:21]
	s_and_b64 s[16:17], s[16:17], s[18:19]
	s_xor_b64 s[18:19], s[16:17], -1
                                        ; implicit-def: $vgpr10_vgpr11
	s_and_saveexec_b64 s[20:21], s[18:19]
	s_xor_b64 s[18:19], exec, s[20:21]
	s_cbranch_execz .LBB144_12
; %bb.11:                               ;   in Loop: Header=BB144_2 Depth=1
	v_lshlrev_b32_e32 v10, 3, v84
	ds_read_b64 v[10:11], v10 offset:8
.LBB144_12:                             ;   in Loop: Header=BB144_2 Depth=1
	s_or_saveexec_b64 s[18:19], s[18:19]
	v_mov_b64_e32 v[12:13], v[8:9]
	s_xor_b64 exec, exec, s[18:19]
	s_cbranch_execz .LBB144_14
; %bb.13:                               ;   in Loop: Header=BB144_2 Depth=1
	s_waitcnt lgkmcnt(0)
	v_lshlrev_b32_e32 v10, 3, v83
	ds_read_b64 v[12:13], v10 offset:8
	v_mov_b64_e32 v[10:11], v[6:7]
.LBB144_14:                             ;   in Loop: Header=BB144_2 Depth=1
	s_or_b64 exec, exec, s[18:19]
	v_cndmask_b32_e64 v7, v7, v9, s[16:17]
	v_add_u32_e32 v9, 1, v84
	v_cndmask_b32_e64 v6, v6, v8, s[16:17]
	v_add_u32_e32 v8, 1, v83
	v_cndmask_b32_e64 v9, v9, v84, s[16:17]
	v_cndmask_b32_e64 v8, v83, v8, s[16:17]
	v_cmp_ge_i32_e64 s[16:17], v9, v15
	s_waitcnt lgkmcnt(0)
	v_cmp_lt_i64_e64 s[18:19], v[12:13], v[10:11]
	v_cndmask_b32_e64 v3, v3, v5, s[14:15]
	v_cndmask_b32_e64 v2, v2, v4, s[14:15]
	v_cmp_lt_i32_e64 s[14:15], v8, v16
	s_or_b64 s[16:17], s[16:17], s[18:19]
	s_and_b64 s[14:15], s[14:15], s[16:17]
	v_cndmask_b32_e64 v5, v11, v13, s[14:15]
	v_cndmask_b32_e64 v4, v10, v12, s[14:15]
	s_barrier
	ds_write2_b64 v72, v[2:3], v[6:7] offset1:1
	ds_write_b64 v72, v[4:5] offset:16
	v_mov_b32_e32 v6, v23
	s_waitcnt lgkmcnt(0)
	s_barrier
	s_and_saveexec_b64 s[16:17], s[0:1]
	s_cbranch_execz .LBB144_18
; %bb.15:                               ;   in Loop: Header=BB144_2 Depth=1
	s_mov_b64 s[18:19], 0
	v_mov_b32_e32 v6, v23
	v_mov_b32_e32 v2, v24
.LBB144_16:                             ;   Parent Loop BB144_2 Depth=1
                                        ; =>  This Inner Loop Header: Depth=2
	v_sub_u32_e32 v3, v2, v6
	v_lshrrev_b32_e32 v4, 31, v3
	v_add_u32_e32 v3, v3, v4
	v_ashrrev_i32_e32 v3, 1, v3
	v_add_u32_e32 v3, v3, v6
	v_lshl_add_u32 v4, v3, 3, v75
	v_xad_u32 v5, v3, -1, v19
	v_lshl_add_u32 v7, v5, 3, v70
	ds_read_b64 v[4:5], v4
	ds_read_b64 v[8:9], v7
	v_add_u32_e32 v7, 1, v3
	s_waitcnt lgkmcnt(0)
	v_cmp_lt_i64_e64 s[14:15], v[8:9], v[4:5]
	s_nop 1
	v_cndmask_b32_e64 v2, v2, v3, s[14:15]
	v_cndmask_b32_e64 v6, v7, v6, s[14:15]
	v_cmp_ge_i32_e64 s[14:15], v6, v2
	s_or_b64 s[18:19], s[14:15], s[18:19]
	s_andn2_b64 exec, exec, s[18:19]
	s_cbranch_execnz .LBB144_16
; %bb.17:                               ;   in Loop: Header=BB144_2 Depth=1
	s_or_b64 exec, exec, s[18:19]
.LBB144_18:                             ;   in Loop: Header=BB144_2 Depth=1
	s_or_b64 exec, exec, s[16:17]
	v_sub_u32_e32 v10, v25, v6
	v_lshl_add_u32 v8, v6, 3, v75
	v_lshlrev_b32_e32 v12, 3, v10
	ds_read_b64 v[2:3], v8
	ds_read_b64 v[4:5], v12
	v_add_u32_e32 v11, v6, v20
	v_cmp_le_i32_e64 s[16:17], v21, v11
	v_cmp_gt_i32_e64 s[14:15], v22, v10
                                        ; implicit-def: $vgpr6_vgpr7
	s_waitcnt lgkmcnt(0)
	v_cmp_lt_i64_e64 s[18:19], v[4:5], v[2:3]
	s_or_b64 s[16:17], s[16:17], s[18:19]
	s_and_b64 s[14:15], s[14:15], s[16:17]
	s_xor_b64 s[16:17], s[14:15], -1
	s_and_saveexec_b64 s[18:19], s[16:17]
	s_xor_b64 s[16:17], exec, s[18:19]
	s_cbranch_execz .LBB144_20
; %bb.19:                               ;   in Loop: Header=BB144_2 Depth=1
	ds_read_b64 v[6:7], v8 offset:8
                                        ; implicit-def: $vgpr12
.LBB144_20:                             ;   in Loop: Header=BB144_2 Depth=1
	s_or_saveexec_b64 s[16:17], s[16:17]
	v_mov_b64_e32 v[8:9], v[4:5]
	s_xor_b64 exec, exec, s[16:17]
	s_cbranch_execz .LBB144_22
; %bb.21:                               ;   in Loop: Header=BB144_2 Depth=1
	ds_read_b64 v[8:9], v12 offset:8
	s_waitcnt lgkmcnt(1)
	v_mov_b64_e32 v[6:7], v[2:3]
.LBB144_22:                             ;   in Loop: Header=BB144_2 Depth=1
	s_or_b64 exec, exec, s[16:17]
	v_add_u32_e32 v13, 1, v11
	v_add_u32_e32 v12, 1, v10
	v_cndmask_b32_e64 v84, v13, v11, s[14:15]
	v_cndmask_b32_e64 v83, v10, v12, s[14:15]
	v_cmp_ge_i32_e64 s[18:19], v84, v21
	s_waitcnt lgkmcnt(0)
	v_cmp_lt_i64_e64 s[20:21], v[8:9], v[6:7]
	v_cmp_lt_i32_e64 s[16:17], v83, v22
	s_or_b64 s[18:19], s[18:19], s[20:21]
	s_and_b64 s[16:17], s[16:17], s[18:19]
	s_xor_b64 s[18:19], s[16:17], -1
                                        ; implicit-def: $vgpr10_vgpr11
	s_and_saveexec_b64 s[20:21], s[18:19]
	s_xor_b64 s[18:19], exec, s[20:21]
	s_cbranch_execz .LBB144_24
; %bb.23:                               ;   in Loop: Header=BB144_2 Depth=1
	v_lshlrev_b32_e32 v10, 3, v84
	ds_read_b64 v[10:11], v10 offset:8
.LBB144_24:                             ;   in Loop: Header=BB144_2 Depth=1
	s_or_saveexec_b64 s[18:19], s[18:19]
	v_mov_b64_e32 v[12:13], v[8:9]
	s_xor_b64 exec, exec, s[18:19]
	s_cbranch_execz .LBB144_26
; %bb.25:                               ;   in Loop: Header=BB144_2 Depth=1
	s_waitcnt lgkmcnt(0)
	v_lshlrev_b32_e32 v10, 3, v83
	ds_read_b64 v[12:13], v10 offset:8
	v_mov_b64_e32 v[10:11], v[6:7]
.LBB144_26:                             ;   in Loop: Header=BB144_2 Depth=1
	s_or_b64 exec, exec, s[18:19]
	v_cndmask_b32_e64 v7, v7, v9, s[16:17]
	v_add_u32_e32 v9, 1, v84
	v_cndmask_b32_e64 v6, v6, v8, s[16:17]
	v_add_u32_e32 v8, 1, v83
	v_cndmask_b32_e64 v9, v9, v84, s[16:17]
	v_cndmask_b32_e64 v8, v83, v8, s[16:17]
	v_cmp_ge_i32_e64 s[16:17], v9, v21
	s_waitcnt lgkmcnt(0)
	v_cmp_lt_i64_e64 s[18:19], v[12:13], v[10:11]
	v_cndmask_b32_e64 v3, v3, v5, s[14:15]
	v_cndmask_b32_e64 v2, v2, v4, s[14:15]
	v_cmp_lt_i32_e64 s[14:15], v8, v22
	s_or_b64 s[16:17], s[16:17], s[18:19]
	s_and_b64 s[14:15], s[14:15], s[16:17]
	v_cndmask_b32_e64 v5, v11, v13, s[14:15]
	v_cndmask_b32_e64 v4, v10, v12, s[14:15]
	s_barrier
	ds_write2_b64 v72, v[2:3], v[6:7] offset1:1
	ds_write_b64 v72, v[4:5] offset:16
	v_mov_b32_e32 v6, v30
	s_waitcnt lgkmcnt(0)
	s_barrier
	s_and_saveexec_b64 s[16:17], s[2:3]
	s_cbranch_execz .LBB144_30
; %bb.27:                               ;   in Loop: Header=BB144_2 Depth=1
	s_mov_b64 s[18:19], 0
	v_mov_b32_e32 v6, v30
	v_mov_b32_e32 v2, v31
.LBB144_28:                             ;   Parent Loop BB144_2 Depth=1
                                        ; =>  This Inner Loop Header: Depth=2
	v_sub_u32_e32 v3, v2, v6
	v_lshrrev_b32_e32 v4, 31, v3
	v_add_u32_e32 v3, v3, v4
	v_ashrrev_i32_e32 v3, 1, v3
	v_add_u32_e32 v3, v3, v6
	v_lshl_add_u32 v4, v3, 3, v76
	v_xad_u32 v5, v3, -1, v26
	v_lshl_add_u32 v7, v5, 3, v46
	ds_read_b64 v[4:5], v4
	ds_read_b64 v[8:9], v7
	v_add_u32_e32 v7, 1, v3
	s_waitcnt lgkmcnt(0)
	v_cmp_lt_i64_e64 s[14:15], v[8:9], v[4:5]
	s_nop 1
	v_cndmask_b32_e64 v2, v2, v3, s[14:15]
	v_cndmask_b32_e64 v6, v7, v6, s[14:15]
	v_cmp_ge_i32_e64 s[14:15], v6, v2
	s_or_b64 s[18:19], s[14:15], s[18:19]
	s_andn2_b64 exec, exec, s[18:19]
	s_cbranch_execnz .LBB144_28
; %bb.29:                               ;   in Loop: Header=BB144_2 Depth=1
	s_or_b64 exec, exec, s[18:19]
.LBB144_30:                             ;   in Loop: Header=BB144_2 Depth=1
	s_or_b64 exec, exec, s[16:17]
	v_sub_u32_e32 v10, v32, v6
	v_lshl_add_u32 v8, v6, 3, v76
	v_lshlrev_b32_e32 v12, 3, v10
	ds_read_b64 v[2:3], v8
	ds_read_b64 v[4:5], v12
	v_add_u32_e32 v11, v6, v27
	v_cmp_le_i32_e64 s[16:17], v28, v11
	v_cmp_gt_i32_e64 s[14:15], v29, v10
                                        ; implicit-def: $vgpr6_vgpr7
	s_waitcnt lgkmcnt(0)
	v_cmp_lt_i64_e64 s[18:19], v[4:5], v[2:3]
	s_or_b64 s[16:17], s[16:17], s[18:19]
	s_and_b64 s[14:15], s[14:15], s[16:17]
	s_xor_b64 s[16:17], s[14:15], -1
	s_and_saveexec_b64 s[18:19], s[16:17]
	s_xor_b64 s[16:17], exec, s[18:19]
	s_cbranch_execz .LBB144_32
; %bb.31:                               ;   in Loop: Header=BB144_2 Depth=1
	ds_read_b64 v[6:7], v8 offset:8
                                        ; implicit-def: $vgpr12
.LBB144_32:                             ;   in Loop: Header=BB144_2 Depth=1
	s_or_saveexec_b64 s[16:17], s[16:17]
	v_mov_b64_e32 v[8:9], v[4:5]
	s_xor_b64 exec, exec, s[16:17]
	s_cbranch_execz .LBB144_34
; %bb.33:                               ;   in Loop: Header=BB144_2 Depth=1
	ds_read_b64 v[8:9], v12 offset:8
	s_waitcnt lgkmcnt(1)
	v_mov_b64_e32 v[6:7], v[2:3]
.LBB144_34:                             ;   in Loop: Header=BB144_2 Depth=1
	s_or_b64 exec, exec, s[16:17]
	v_add_u32_e32 v13, 1, v11
	v_add_u32_e32 v12, 1, v10
	v_cndmask_b32_e64 v84, v13, v11, s[14:15]
	v_cndmask_b32_e64 v83, v10, v12, s[14:15]
	v_cmp_ge_i32_e64 s[18:19], v84, v28
	s_waitcnt lgkmcnt(0)
	v_cmp_lt_i64_e64 s[20:21], v[8:9], v[6:7]
	v_cmp_lt_i32_e64 s[16:17], v83, v29
	s_or_b64 s[18:19], s[18:19], s[20:21]
	s_and_b64 s[16:17], s[16:17], s[18:19]
	s_xor_b64 s[18:19], s[16:17], -1
                                        ; implicit-def: $vgpr10_vgpr11
	s_and_saveexec_b64 s[20:21], s[18:19]
	s_xor_b64 s[18:19], exec, s[20:21]
	s_cbranch_execz .LBB144_36
; %bb.35:                               ;   in Loop: Header=BB144_2 Depth=1
	v_lshlrev_b32_e32 v10, 3, v84
	ds_read_b64 v[10:11], v10 offset:8
.LBB144_36:                             ;   in Loop: Header=BB144_2 Depth=1
	s_or_saveexec_b64 s[18:19], s[18:19]
	v_mov_b64_e32 v[12:13], v[8:9]
	s_xor_b64 exec, exec, s[18:19]
	s_cbranch_execz .LBB144_38
; %bb.37:                               ;   in Loop: Header=BB144_2 Depth=1
	s_waitcnt lgkmcnt(0)
	v_lshlrev_b32_e32 v10, 3, v83
	ds_read_b64 v[12:13], v10 offset:8
	v_mov_b64_e32 v[10:11], v[6:7]
.LBB144_38:                             ;   in Loop: Header=BB144_2 Depth=1
	s_or_b64 exec, exec, s[18:19]
	v_cndmask_b32_e64 v7, v7, v9, s[16:17]
	v_add_u32_e32 v9, 1, v84
	v_cndmask_b32_e64 v6, v6, v8, s[16:17]
	v_add_u32_e32 v8, 1, v83
	v_cndmask_b32_e64 v9, v9, v84, s[16:17]
	v_cndmask_b32_e64 v8, v83, v8, s[16:17]
	v_cmp_ge_i32_e64 s[16:17], v9, v28
	s_waitcnt lgkmcnt(0)
	v_cmp_lt_i64_e64 s[18:19], v[12:13], v[10:11]
	v_cndmask_b32_e64 v3, v3, v5, s[14:15]
	v_cndmask_b32_e64 v2, v2, v4, s[14:15]
	v_cmp_lt_i32_e64 s[14:15], v8, v29
	s_or_b64 s[16:17], s[16:17], s[18:19]
	s_and_b64 s[14:15], s[14:15], s[16:17]
	v_cndmask_b32_e64 v5, v11, v13, s[14:15]
	v_cndmask_b32_e64 v4, v10, v12, s[14:15]
	s_barrier
	ds_write2_b64 v72, v[2:3], v[6:7] offset1:1
	ds_write_b64 v72, v[4:5] offset:16
	v_mov_b32_e32 v6, v50
	s_waitcnt lgkmcnt(0)
	s_barrier
	s_and_saveexec_b64 s[16:17], s[4:5]
	s_cbranch_execz .LBB144_42
; %bb.39:                               ;   in Loop: Header=BB144_2 Depth=1
	s_mov_b64 s[18:19], 0
	v_mov_b32_e32 v6, v50
	v_mov_b32_e32 v2, v51
.LBB144_40:                             ;   Parent Loop BB144_2 Depth=1
                                        ; =>  This Inner Loop Header: Depth=2
	v_sub_u32_e32 v3, v2, v6
	v_lshrrev_b32_e32 v4, 31, v3
	v_add_u32_e32 v3, v3, v4
	v_ashrrev_i32_e32 v3, 1, v3
	v_add_u32_e32 v3, v3, v6
	v_lshl_add_u32 v4, v3, 3, v77
	v_xad_u32 v5, v3, -1, v33
	v_lshl_add_u32 v7, v5, 3, v47
	ds_read_b64 v[4:5], v4
	ds_read_b64 v[8:9], v7
	v_add_u32_e32 v7, 1, v3
	s_waitcnt lgkmcnt(0)
	v_cmp_lt_i64_e64 s[14:15], v[8:9], v[4:5]
	s_nop 1
	v_cndmask_b32_e64 v2, v2, v3, s[14:15]
	v_cndmask_b32_e64 v6, v7, v6, s[14:15]
	v_cmp_ge_i32_e64 s[14:15], v6, v2
	s_or_b64 s[18:19], s[14:15], s[18:19]
	s_andn2_b64 exec, exec, s[18:19]
	s_cbranch_execnz .LBB144_40
; %bb.41:                               ;   in Loop: Header=BB144_2 Depth=1
	s_or_b64 exec, exec, s[18:19]
.LBB144_42:                             ;   in Loop: Header=BB144_2 Depth=1
	s_or_b64 exec, exec, s[16:17]
	v_sub_u32_e32 v10, v52, v6
	v_lshl_add_u32 v8, v6, 3, v77
	v_lshlrev_b32_e32 v12, 3, v10
	ds_read_b64 v[2:3], v8
	ds_read_b64 v[4:5], v12
	v_add_u32_e32 v11, v6, v34
	v_cmp_le_i32_e64 s[16:17], v35, v11
	v_cmp_gt_i32_e64 s[14:15], v36, v10
                                        ; implicit-def: $vgpr6_vgpr7
	s_waitcnt lgkmcnt(0)
	v_cmp_lt_i64_e64 s[18:19], v[4:5], v[2:3]
	s_or_b64 s[16:17], s[16:17], s[18:19]
	s_and_b64 s[14:15], s[14:15], s[16:17]
	s_xor_b64 s[16:17], s[14:15], -1
	s_and_saveexec_b64 s[18:19], s[16:17]
	s_xor_b64 s[16:17], exec, s[18:19]
	s_cbranch_execz .LBB144_44
; %bb.43:                               ;   in Loop: Header=BB144_2 Depth=1
	ds_read_b64 v[6:7], v8 offset:8
                                        ; implicit-def: $vgpr12
.LBB144_44:                             ;   in Loop: Header=BB144_2 Depth=1
	s_or_saveexec_b64 s[16:17], s[16:17]
	v_mov_b64_e32 v[8:9], v[4:5]
	s_xor_b64 exec, exec, s[16:17]
	s_cbranch_execz .LBB144_46
; %bb.45:                               ;   in Loop: Header=BB144_2 Depth=1
	ds_read_b64 v[8:9], v12 offset:8
	s_waitcnt lgkmcnt(1)
	v_mov_b64_e32 v[6:7], v[2:3]
.LBB144_46:                             ;   in Loop: Header=BB144_2 Depth=1
	s_or_b64 exec, exec, s[16:17]
	v_add_u32_e32 v13, 1, v11
	v_add_u32_e32 v12, 1, v10
	v_cndmask_b32_e64 v84, v13, v11, s[14:15]
	v_cndmask_b32_e64 v83, v10, v12, s[14:15]
	v_cmp_ge_i32_e64 s[18:19], v84, v35
	s_waitcnt lgkmcnt(0)
	v_cmp_lt_i64_e64 s[20:21], v[8:9], v[6:7]
	v_cmp_lt_i32_e64 s[16:17], v83, v36
	s_or_b64 s[18:19], s[18:19], s[20:21]
	s_and_b64 s[16:17], s[16:17], s[18:19]
	s_xor_b64 s[18:19], s[16:17], -1
                                        ; implicit-def: $vgpr10_vgpr11
	s_and_saveexec_b64 s[20:21], s[18:19]
	s_xor_b64 s[18:19], exec, s[20:21]
	s_cbranch_execz .LBB144_48
; %bb.47:                               ;   in Loop: Header=BB144_2 Depth=1
	v_lshlrev_b32_e32 v10, 3, v84
	ds_read_b64 v[10:11], v10 offset:8
.LBB144_48:                             ;   in Loop: Header=BB144_2 Depth=1
	s_or_saveexec_b64 s[18:19], s[18:19]
	v_mov_b64_e32 v[12:13], v[8:9]
	s_xor_b64 exec, exec, s[18:19]
	s_cbranch_execz .LBB144_50
; %bb.49:                               ;   in Loop: Header=BB144_2 Depth=1
	s_waitcnt lgkmcnt(0)
	v_lshlrev_b32_e32 v10, 3, v83
	ds_read_b64 v[12:13], v10 offset:8
	v_mov_b64_e32 v[10:11], v[6:7]
.LBB144_50:                             ;   in Loop: Header=BB144_2 Depth=1
	s_or_b64 exec, exec, s[18:19]
	v_cndmask_b32_e64 v7, v7, v9, s[16:17]
	v_add_u32_e32 v9, 1, v84
	v_cndmask_b32_e64 v6, v6, v8, s[16:17]
	v_add_u32_e32 v8, 1, v83
	v_cndmask_b32_e64 v9, v9, v84, s[16:17]
	v_cndmask_b32_e64 v8, v83, v8, s[16:17]
	v_cmp_ge_i32_e64 s[16:17], v9, v35
	s_waitcnt lgkmcnt(0)
	v_cmp_lt_i64_e64 s[18:19], v[12:13], v[10:11]
	v_cndmask_b32_e64 v3, v3, v5, s[14:15]
	v_cndmask_b32_e64 v2, v2, v4, s[14:15]
	v_cmp_lt_i32_e64 s[14:15], v8, v36
	s_or_b64 s[16:17], s[16:17], s[18:19]
	s_and_b64 s[14:15], s[14:15], s[16:17]
	v_cndmask_b32_e64 v5, v11, v13, s[14:15]
	v_cndmask_b32_e64 v4, v10, v12, s[14:15]
	s_barrier
	ds_write2_b64 v72, v[2:3], v[6:7] offset1:1
	ds_write_b64 v72, v[4:5] offset:16
	v_mov_b32_e32 v6, v54
	s_waitcnt lgkmcnt(0)
	s_barrier
	s_and_saveexec_b64 s[16:17], s[6:7]
	s_cbranch_execz .LBB144_54
; %bb.51:                               ;   in Loop: Header=BB144_2 Depth=1
	s_mov_b64 s[18:19], 0
	v_mov_b32_e32 v6, v54
	v_mov_b32_e32 v2, v55
.LBB144_52:                             ;   Parent Loop BB144_2 Depth=1
                                        ; =>  This Inner Loop Header: Depth=2
	v_sub_u32_e32 v3, v2, v6
	v_lshrrev_b32_e32 v4, 31, v3
	v_add_u32_e32 v3, v3, v4
	v_ashrrev_i32_e32 v3, 1, v3
	v_add_u32_e32 v3, v3, v6
	v_lshl_add_u32 v4, v3, 3, v78
	v_xad_u32 v5, v3, -1, v37
	v_lshl_add_u32 v7, v5, 3, v71
	ds_read_b64 v[4:5], v4
	ds_read_b64 v[8:9], v7
	v_add_u32_e32 v7, 1, v3
	s_waitcnt lgkmcnt(0)
	v_cmp_lt_i64_e64 s[14:15], v[8:9], v[4:5]
	s_nop 1
	v_cndmask_b32_e64 v2, v2, v3, s[14:15]
	v_cndmask_b32_e64 v6, v7, v6, s[14:15]
	v_cmp_ge_i32_e64 s[14:15], v6, v2
	s_or_b64 s[18:19], s[14:15], s[18:19]
	s_andn2_b64 exec, exec, s[18:19]
	s_cbranch_execnz .LBB144_52
; %bb.53:                               ;   in Loop: Header=BB144_2 Depth=1
	s_or_b64 exec, exec, s[18:19]
.LBB144_54:                             ;   in Loop: Header=BB144_2 Depth=1
	s_or_b64 exec, exec, s[16:17]
	v_sub_u32_e32 v10, v56, v6
	v_lshl_add_u32 v8, v6, 3, v78
	v_lshlrev_b32_e32 v12, 3, v10
	ds_read_b64 v[2:3], v8
	ds_read_b64 v[4:5], v12
	v_add_u32_e32 v11, v6, v53
	v_cmp_le_i32_e64 s[16:17], v38, v11
	v_cmp_gt_i32_e64 s[14:15], v39, v10
                                        ; implicit-def: $vgpr6_vgpr7
	s_waitcnt lgkmcnt(0)
	v_cmp_lt_i64_e64 s[18:19], v[4:5], v[2:3]
	s_or_b64 s[16:17], s[16:17], s[18:19]
	s_and_b64 s[14:15], s[14:15], s[16:17]
	s_xor_b64 s[16:17], s[14:15], -1
	s_and_saveexec_b64 s[18:19], s[16:17]
	s_xor_b64 s[16:17], exec, s[18:19]
	s_cbranch_execz .LBB144_56
; %bb.55:                               ;   in Loop: Header=BB144_2 Depth=1
	ds_read_b64 v[6:7], v8 offset:8
                                        ; implicit-def: $vgpr12
.LBB144_56:                             ;   in Loop: Header=BB144_2 Depth=1
	s_or_saveexec_b64 s[16:17], s[16:17]
	v_mov_b64_e32 v[8:9], v[4:5]
	s_xor_b64 exec, exec, s[16:17]
	s_cbranch_execz .LBB144_58
; %bb.57:                               ;   in Loop: Header=BB144_2 Depth=1
	ds_read_b64 v[8:9], v12 offset:8
	s_waitcnt lgkmcnt(1)
	v_mov_b64_e32 v[6:7], v[2:3]
.LBB144_58:                             ;   in Loop: Header=BB144_2 Depth=1
	s_or_b64 exec, exec, s[16:17]
	v_add_u32_e32 v13, 1, v11
	v_add_u32_e32 v12, 1, v10
	v_cndmask_b32_e64 v84, v13, v11, s[14:15]
	v_cndmask_b32_e64 v83, v10, v12, s[14:15]
	v_cmp_ge_i32_e64 s[18:19], v84, v38
	s_waitcnt lgkmcnt(0)
	v_cmp_lt_i64_e64 s[20:21], v[8:9], v[6:7]
	v_cmp_lt_i32_e64 s[16:17], v83, v39
	s_or_b64 s[18:19], s[18:19], s[20:21]
	s_and_b64 s[16:17], s[16:17], s[18:19]
	s_xor_b64 s[18:19], s[16:17], -1
                                        ; implicit-def: $vgpr10_vgpr11
	s_and_saveexec_b64 s[20:21], s[18:19]
	s_xor_b64 s[18:19], exec, s[20:21]
	s_cbranch_execz .LBB144_60
; %bb.59:                               ;   in Loop: Header=BB144_2 Depth=1
	v_lshlrev_b32_e32 v10, 3, v84
	ds_read_b64 v[10:11], v10 offset:8
.LBB144_60:                             ;   in Loop: Header=BB144_2 Depth=1
	s_or_saveexec_b64 s[18:19], s[18:19]
	v_mov_b64_e32 v[12:13], v[8:9]
	s_xor_b64 exec, exec, s[18:19]
	s_cbranch_execz .LBB144_62
; %bb.61:                               ;   in Loop: Header=BB144_2 Depth=1
	s_waitcnt lgkmcnt(0)
	v_lshlrev_b32_e32 v10, 3, v83
	ds_read_b64 v[12:13], v10 offset:8
	v_mov_b64_e32 v[10:11], v[6:7]
.LBB144_62:                             ;   in Loop: Header=BB144_2 Depth=1
	s_or_b64 exec, exec, s[18:19]
	v_cndmask_b32_e64 v7, v7, v9, s[16:17]
	v_add_u32_e32 v9, 1, v84
	v_cndmask_b32_e64 v6, v6, v8, s[16:17]
	v_add_u32_e32 v8, 1, v83
	v_cndmask_b32_e64 v9, v9, v84, s[16:17]
	v_cndmask_b32_e64 v8, v83, v8, s[16:17]
	v_cmp_ge_i32_e64 s[16:17], v9, v38
	s_waitcnt lgkmcnt(0)
	v_cmp_lt_i64_e64 s[18:19], v[12:13], v[10:11]
	v_cndmask_b32_e64 v3, v3, v5, s[14:15]
	v_cndmask_b32_e64 v2, v2, v4, s[14:15]
	v_cmp_lt_i32_e64 s[14:15], v8, v39
	s_or_b64 s[16:17], s[16:17], s[18:19]
	s_and_b64 s[14:15], s[14:15], s[16:17]
	v_cndmask_b32_e64 v5, v11, v13, s[14:15]
	v_cndmask_b32_e64 v4, v10, v12, s[14:15]
	s_barrier
	ds_write2_b64 v72, v[2:3], v[6:7] offset1:1
	ds_write_b64 v72, v[4:5] offset:16
	v_mov_b32_e32 v6, v58
	s_waitcnt lgkmcnt(0)
	s_barrier
	s_and_saveexec_b64 s[16:17], s[8:9]
	s_cbranch_execz .LBB144_66
; %bb.63:                               ;   in Loop: Header=BB144_2 Depth=1
	s_mov_b64 s[18:19], 0
	v_mov_b32_e32 v6, v58
	v_mov_b32_e32 v2, v59
.LBB144_64:                             ;   Parent Loop BB144_2 Depth=1
                                        ; =>  This Inner Loop Header: Depth=2
	v_sub_u32_e32 v3, v2, v6
	v_lshrrev_b32_e32 v4, 31, v3
	v_add_u32_e32 v3, v3, v4
	v_ashrrev_i32_e32 v3, 1, v3
	v_add_u32_e32 v3, v3, v6
	v_lshl_add_u32 v4, v3, 3, v79
	v_xad_u32 v5, v3, -1, v40
	v_lshl_add_u32 v7, v5, 3, v48
	ds_read_b64 v[4:5], v4
	ds_read_b64 v[8:9], v7
	v_add_u32_e32 v7, 1, v3
	s_waitcnt lgkmcnt(0)
	v_cmp_lt_i64_e64 s[14:15], v[8:9], v[4:5]
	s_nop 1
	v_cndmask_b32_e64 v2, v2, v3, s[14:15]
	v_cndmask_b32_e64 v6, v7, v6, s[14:15]
	v_cmp_ge_i32_e64 s[14:15], v6, v2
	s_or_b64 s[18:19], s[14:15], s[18:19]
	s_andn2_b64 exec, exec, s[18:19]
	s_cbranch_execnz .LBB144_64
; %bb.65:                               ;   in Loop: Header=BB144_2 Depth=1
	s_or_b64 exec, exec, s[18:19]
.LBB144_66:                             ;   in Loop: Header=BB144_2 Depth=1
	s_or_b64 exec, exec, s[16:17]
	v_sub_u32_e32 v10, v60, v6
	v_lshl_add_u32 v8, v6, 3, v79
	v_lshlrev_b32_e32 v12, 3, v10
	ds_read_b64 v[2:3], v8
	ds_read_b64 v[4:5], v12
	v_add_u32_e32 v11, v6, v57
	v_cmp_le_i32_e64 s[16:17], v41, v11
	v_cmp_gt_i32_e64 s[14:15], v42, v10
                                        ; implicit-def: $vgpr6_vgpr7
	s_waitcnt lgkmcnt(0)
	v_cmp_lt_i64_e64 s[18:19], v[4:5], v[2:3]
	s_or_b64 s[16:17], s[16:17], s[18:19]
	s_and_b64 s[14:15], s[14:15], s[16:17]
	s_xor_b64 s[16:17], s[14:15], -1
	s_and_saveexec_b64 s[18:19], s[16:17]
	s_xor_b64 s[16:17], exec, s[18:19]
	s_cbranch_execz .LBB144_68
; %bb.67:                               ;   in Loop: Header=BB144_2 Depth=1
	ds_read_b64 v[6:7], v8 offset:8
                                        ; implicit-def: $vgpr12
.LBB144_68:                             ;   in Loop: Header=BB144_2 Depth=1
	s_or_saveexec_b64 s[16:17], s[16:17]
	v_mov_b64_e32 v[8:9], v[4:5]
	s_xor_b64 exec, exec, s[16:17]
	s_cbranch_execz .LBB144_70
; %bb.69:                               ;   in Loop: Header=BB144_2 Depth=1
	ds_read_b64 v[8:9], v12 offset:8
	s_waitcnt lgkmcnt(1)
	v_mov_b64_e32 v[6:7], v[2:3]
.LBB144_70:                             ;   in Loop: Header=BB144_2 Depth=1
	s_or_b64 exec, exec, s[16:17]
	v_add_u32_e32 v13, 1, v11
	v_add_u32_e32 v12, 1, v10
	v_cndmask_b32_e64 v84, v13, v11, s[14:15]
	v_cndmask_b32_e64 v83, v10, v12, s[14:15]
	v_cmp_ge_i32_e64 s[18:19], v84, v41
	s_waitcnt lgkmcnt(0)
	v_cmp_lt_i64_e64 s[20:21], v[8:9], v[6:7]
	v_cmp_lt_i32_e64 s[16:17], v83, v42
	s_or_b64 s[18:19], s[18:19], s[20:21]
	s_and_b64 s[16:17], s[16:17], s[18:19]
	s_xor_b64 s[18:19], s[16:17], -1
                                        ; implicit-def: $vgpr10_vgpr11
	s_and_saveexec_b64 s[20:21], s[18:19]
	s_xor_b64 s[18:19], exec, s[20:21]
	s_cbranch_execz .LBB144_72
; %bb.71:                               ;   in Loop: Header=BB144_2 Depth=1
	v_lshlrev_b32_e32 v10, 3, v84
	ds_read_b64 v[10:11], v10 offset:8
.LBB144_72:                             ;   in Loop: Header=BB144_2 Depth=1
	s_or_saveexec_b64 s[18:19], s[18:19]
	v_mov_b64_e32 v[12:13], v[8:9]
	s_xor_b64 exec, exec, s[18:19]
	s_cbranch_execz .LBB144_74
; %bb.73:                               ;   in Loop: Header=BB144_2 Depth=1
	s_waitcnt lgkmcnt(0)
	v_lshlrev_b32_e32 v10, 3, v83
	ds_read_b64 v[12:13], v10 offset:8
	v_mov_b64_e32 v[10:11], v[6:7]
.LBB144_74:                             ;   in Loop: Header=BB144_2 Depth=1
	s_or_b64 exec, exec, s[18:19]
	v_cndmask_b32_e64 v7, v7, v9, s[16:17]
	v_add_u32_e32 v9, 1, v84
	v_cndmask_b32_e64 v6, v6, v8, s[16:17]
	v_add_u32_e32 v8, 1, v83
	v_cndmask_b32_e64 v9, v9, v84, s[16:17]
	v_cndmask_b32_e64 v8, v83, v8, s[16:17]
	v_cmp_ge_i32_e64 s[16:17], v9, v41
	s_waitcnt lgkmcnt(0)
	v_cmp_lt_i64_e64 s[18:19], v[12:13], v[10:11]
	v_cndmask_b32_e64 v3, v3, v5, s[14:15]
	v_cndmask_b32_e64 v2, v2, v4, s[14:15]
	v_cmp_lt_i32_e64 s[14:15], v8, v42
	s_or_b64 s[16:17], s[16:17], s[18:19]
	s_and_b64 s[14:15], s[14:15], s[16:17]
	v_cndmask_b32_e64 v5, v11, v13, s[14:15]
	v_cndmask_b32_e64 v4, v10, v12, s[14:15]
	s_barrier
	ds_write2_b64 v72, v[2:3], v[6:7] offset1:1
	ds_write_b64 v72, v[4:5] offset:16
	v_mov_b32_e32 v6, v62
	s_waitcnt lgkmcnt(0)
	s_barrier
	s_and_saveexec_b64 s[16:17], s[10:11]
	s_cbranch_execz .LBB144_78
; %bb.75:                               ;   in Loop: Header=BB144_2 Depth=1
	s_mov_b64 s[18:19], 0
	v_mov_b32_e32 v6, v62
	v_mov_b32_e32 v2, v63
.LBB144_76:                             ;   Parent Loop BB144_2 Depth=1
                                        ; =>  This Inner Loop Header: Depth=2
	v_sub_u32_e32 v3, v2, v6
	v_lshrrev_b32_e32 v4, 31, v3
	v_add_u32_e32 v3, v3, v4
	v_ashrrev_i32_e32 v3, 1, v3
	v_add_u32_e32 v3, v3, v6
	v_lshl_add_u32 v4, v3, 3, v80
	v_xad_u32 v5, v3, -1, v43
	v_lshl_add_u32 v7, v5, 3, v49
	ds_read_b64 v[4:5], v4
	ds_read_b64 v[8:9], v7
	v_add_u32_e32 v7, 1, v3
	s_waitcnt lgkmcnt(0)
	v_cmp_lt_i64_e64 s[14:15], v[8:9], v[4:5]
	s_nop 1
	v_cndmask_b32_e64 v2, v2, v3, s[14:15]
	v_cndmask_b32_e64 v6, v7, v6, s[14:15]
	v_cmp_ge_i32_e64 s[14:15], v6, v2
	s_or_b64 s[18:19], s[14:15], s[18:19]
	s_andn2_b64 exec, exec, s[18:19]
	s_cbranch_execnz .LBB144_76
; %bb.77:                               ;   in Loop: Header=BB144_2 Depth=1
	s_or_b64 exec, exec, s[18:19]
.LBB144_78:                             ;   in Loop: Header=BB144_2 Depth=1
	s_or_b64 exec, exec, s[16:17]
	v_sub_u32_e32 v10, v64, v6
	v_lshl_add_u32 v8, v6, 3, v80
	v_lshlrev_b32_e32 v12, 3, v10
	ds_read_b64 v[2:3], v8
	ds_read_b64 v[4:5], v12
	v_add_u32_e32 v11, v6, v61
	v_cmp_le_i32_e64 s[16:17], v44, v11
	v_cmp_gt_i32_e64 s[14:15], v45, v10
                                        ; implicit-def: $vgpr6_vgpr7
	s_waitcnt lgkmcnt(0)
	v_cmp_lt_i64_e64 s[18:19], v[4:5], v[2:3]
	s_or_b64 s[16:17], s[16:17], s[18:19]
	s_and_b64 s[14:15], s[14:15], s[16:17]
	s_xor_b64 s[16:17], s[14:15], -1
	s_and_saveexec_b64 s[18:19], s[16:17]
	s_xor_b64 s[16:17], exec, s[18:19]
	s_cbranch_execz .LBB144_80
; %bb.79:                               ;   in Loop: Header=BB144_2 Depth=1
	ds_read_b64 v[6:7], v8 offset:8
                                        ; implicit-def: $vgpr12
.LBB144_80:                             ;   in Loop: Header=BB144_2 Depth=1
	s_or_saveexec_b64 s[16:17], s[16:17]
	v_mov_b64_e32 v[8:9], v[4:5]
	s_xor_b64 exec, exec, s[16:17]
	s_cbranch_execz .LBB144_82
; %bb.81:                               ;   in Loop: Header=BB144_2 Depth=1
	ds_read_b64 v[8:9], v12 offset:8
	s_waitcnt lgkmcnt(1)
	v_mov_b64_e32 v[6:7], v[2:3]
.LBB144_82:                             ;   in Loop: Header=BB144_2 Depth=1
	s_or_b64 exec, exec, s[16:17]
	v_add_u32_e32 v13, 1, v11
	v_add_u32_e32 v12, 1, v10
	v_cndmask_b32_e64 v84, v13, v11, s[14:15]
	v_cndmask_b32_e64 v83, v10, v12, s[14:15]
	v_cmp_ge_i32_e64 s[18:19], v84, v44
	s_waitcnt lgkmcnt(0)
	v_cmp_lt_i64_e64 s[20:21], v[8:9], v[6:7]
	v_cmp_lt_i32_e64 s[16:17], v83, v45
	s_or_b64 s[18:19], s[18:19], s[20:21]
	s_and_b64 s[16:17], s[16:17], s[18:19]
	s_xor_b64 s[18:19], s[16:17], -1
                                        ; implicit-def: $vgpr10_vgpr11
	s_and_saveexec_b64 s[20:21], s[18:19]
	s_xor_b64 s[18:19], exec, s[20:21]
	s_cbranch_execz .LBB144_84
; %bb.83:                               ;   in Loop: Header=BB144_2 Depth=1
	v_lshlrev_b32_e32 v10, 3, v84
	ds_read_b64 v[10:11], v10 offset:8
.LBB144_84:                             ;   in Loop: Header=BB144_2 Depth=1
	s_or_saveexec_b64 s[18:19], s[18:19]
	v_mov_b64_e32 v[12:13], v[8:9]
	s_xor_b64 exec, exec, s[18:19]
	s_cbranch_execz .LBB144_86
; %bb.85:                               ;   in Loop: Header=BB144_2 Depth=1
	s_waitcnt lgkmcnt(0)
	v_lshlrev_b32_e32 v10, 3, v83
	ds_read_b64 v[12:13], v10 offset:8
	v_mov_b64_e32 v[10:11], v[6:7]
.LBB144_86:                             ;   in Loop: Header=BB144_2 Depth=1
	s_or_b64 exec, exec, s[18:19]
	v_cndmask_b32_e64 v7, v7, v9, s[16:17]
	v_add_u32_e32 v9, 1, v84
	v_cndmask_b32_e64 v6, v6, v8, s[16:17]
	v_add_u32_e32 v8, 1, v83
	v_cndmask_b32_e64 v9, v9, v84, s[16:17]
	v_cndmask_b32_e64 v8, v83, v8, s[16:17]
	v_cmp_ge_i32_e64 s[16:17], v9, v44
	s_waitcnt lgkmcnt(0)
	v_cmp_lt_i64_e64 s[18:19], v[12:13], v[10:11]
	v_cndmask_b32_e64 v3, v3, v5, s[14:15]
	v_cndmask_b32_e64 v2, v2, v4, s[14:15]
	v_cmp_lt_i32_e64 s[14:15], v8, v45
	s_or_b64 s[16:17], s[16:17], s[18:19]
	s_and_b64 s[14:15], s[14:15], s[16:17]
	v_cndmask_b32_e64 v4, v10, v12, s[14:15]
	v_mov_b32_e32 v10, v67
	v_cndmask_b32_e64 v5, v11, v13, s[14:15]
	s_barrier
	ds_write2_b64 v72, v[2:3], v[6:7] offset1:1
	ds_write_b64 v72, v[4:5] offset:16
	s_waitcnt lgkmcnt(0)
	s_barrier
	s_and_saveexec_b64 s[16:17], s[12:13]
	s_cbranch_execz .LBB144_90
; %bb.87:                               ;   in Loop: Header=BB144_2 Depth=1
	s_mov_b64 s[18:19], 0
	v_mov_b32_e32 v10, v67
	v_mov_b32_e32 v2, v68
.LBB144_88:                             ;   Parent Loop BB144_2 Depth=1
                                        ; =>  This Inner Loop Header: Depth=2
	v_sub_u32_e32 v3, v2, v10
	v_lshrrev_b32_e32 v4, 31, v3
	v_add_u32_e32 v3, v3, v4
	v_ashrrev_i32_e32 v3, 1, v3
	v_add_u32_e32 v3, v3, v10
	v_xad_u32 v5, v3, -1, v65
	v_lshlrev_b32_e32 v4, 3, v3
	v_lshl_add_u32 v6, v5, 3, v82
	ds_read_b64 v[4:5], v4
	ds_read_b64 v[6:7], v6
	v_add_u32_e32 v8, 1, v3
	s_waitcnt lgkmcnt(0)
	v_cmp_lt_i64_e64 s[14:15], v[6:7], v[4:5]
	s_nop 1
	v_cndmask_b32_e64 v2, v2, v3, s[14:15]
	v_cndmask_b32_e64 v10, v8, v10, s[14:15]
	v_cmp_ge_i32_e64 s[14:15], v10, v2
	s_or_b64 s[18:19], s[14:15], s[18:19]
	s_andn2_b64 exec, exec, s[18:19]
	s_cbranch_execnz .LBB144_88
; %bb.89:                               ;   in Loop: Header=BB144_2 Depth=1
	s_or_b64 exec, exec, s[18:19]
.LBB144_90:                             ;   in Loop: Header=BB144_2 Depth=1
	s_or_b64 exec, exec, s[16:17]
	v_sub_u32_e32 v11, v81, v10
	v_lshlrev_b32_e32 v8, 3, v10
	v_lshlrev_b32_e32 v12, 3, v11
	ds_read_b64 v[2:3], v8
	ds_read_b64 v[4:5], v12
	v_cmp_le_i32_e64 s[16:17], v66, v10
	v_cmp_gt_i32_e64 s[14:15], s28, v11
                                        ; implicit-def: $vgpr6_vgpr7
	s_waitcnt lgkmcnt(0)
	v_cmp_lt_i64_e64 s[18:19], v[4:5], v[2:3]
	s_or_b64 s[16:17], s[16:17], s[18:19]
	s_and_b64 s[14:15], s[14:15], s[16:17]
	s_xor_b64 s[16:17], s[14:15], -1
	s_and_saveexec_b64 s[18:19], s[16:17]
	s_xor_b64 s[16:17], exec, s[18:19]
	s_cbranch_execz .LBB144_92
; %bb.91:                               ;   in Loop: Header=BB144_2 Depth=1
	ds_read_b64 v[6:7], v8 offset:8
                                        ; implicit-def: $vgpr12
.LBB144_92:                             ;   in Loop: Header=BB144_2 Depth=1
	s_or_saveexec_b64 s[16:17], s[16:17]
	v_mov_b64_e32 v[8:9], v[4:5]
	s_xor_b64 exec, exec, s[16:17]
	s_cbranch_execz .LBB144_94
; %bb.93:                               ;   in Loop: Header=BB144_2 Depth=1
	ds_read_b64 v[8:9], v12 offset:8
	s_waitcnt lgkmcnt(1)
	v_mov_b64_e32 v[6:7], v[2:3]
.LBB144_94:                             ;   in Loop: Header=BB144_2 Depth=1
	s_or_b64 exec, exec, s[16:17]
	v_add_u32_e32 v13, 1, v10
	v_add_u32_e32 v12, 1, v11
	v_cndmask_b32_e64 v85, v13, v10, s[14:15]
	v_cndmask_b32_e64 v83, v11, v12, s[14:15]
	v_cmp_ge_i32_e64 s[18:19], v85, v66
	s_waitcnt lgkmcnt(0)
	v_cmp_lt_i64_e64 s[20:21], v[8:9], v[6:7]
	v_cmp_gt_i32_e64 s[16:17], s28, v83
	s_or_b64 s[18:19], s[18:19], s[20:21]
	s_and_b64 s[16:17], s[16:17], s[18:19]
	s_xor_b64 s[18:19], s[16:17], -1
                                        ; implicit-def: $vgpr10_vgpr11
                                        ; implicit-def: $vgpr84
	s_and_saveexec_b64 s[20:21], s[18:19]
	s_xor_b64 s[18:19], exec, s[20:21]
	s_cbranch_execz .LBB144_96
; %bb.95:                               ;   in Loop: Header=BB144_2 Depth=1
	v_lshlrev_b32_e32 v10, 3, v85
	ds_read_b64 v[10:11], v10 offset:8
	v_add_u32_e32 v84, 1, v85
                                        ; implicit-def: $vgpr85
.LBB144_96:                             ;   in Loop: Header=BB144_2 Depth=1
	s_or_saveexec_b64 s[18:19], s[18:19]
	v_mov_b64_e32 v[12:13], v[8:9]
	s_xor_b64 exec, exec, s[18:19]
	s_cbranch_execz .LBB144_1
; %bb.97:                               ;   in Loop: Header=BB144_2 Depth=1
	s_waitcnt lgkmcnt(0)
	v_lshlrev_b32_e32 v10, 3, v83
	ds_read_b64 v[12:13], v10 offset:8
	v_add_u32_e32 v83, 1, v83
	v_mov_b32_e32 v84, v85
	v_mov_b64_e32 v[10:11], v[6:7]
	s_branch .LBB144_1
.LBB144_98:
	s_add_u32 s0, s22, s26
	s_addc_u32 s1, s23, s27
	v_lshlrev_b32_e32 v0, 3, v0
	v_mov_b32_e32 v1, 0
	v_lshl_add_u64 v[8:9], s[0:1], 0, v[0:1]
	global_store_dwordx2 v0, v[4:5], s[0:1]
	global_store_dwordx2 v0, v[6:7], s[0:1] offset:2048
	v_add_co_u32_e32 v0, vcc, 0x1000, v8
	s_nop 1
	v_addc_co_u32_e32 v1, vcc, 0, v9, vcc
	global_store_dwordx2 v[0:1], v[2:3], off
	s_endpgm
	.section	.rodata,"a",@progbits
	.p2align	6, 0x0
	.amdhsa_kernel _Z16sort_keys_kernelIxLj256ELj3EN10test_utils4lessELj10EEvPKT_PS2_T2_
		.amdhsa_group_segment_fixed_size 6152
		.amdhsa_private_segment_fixed_size 0
		.amdhsa_kernarg_size 20
		.amdhsa_user_sgpr_count 2
		.amdhsa_user_sgpr_dispatch_ptr 0
		.amdhsa_user_sgpr_queue_ptr 0
		.amdhsa_user_sgpr_kernarg_segment_ptr 1
		.amdhsa_user_sgpr_dispatch_id 0
		.amdhsa_user_sgpr_kernarg_preload_length 0
		.amdhsa_user_sgpr_kernarg_preload_offset 0
		.amdhsa_user_sgpr_private_segment_size 0
		.amdhsa_uses_dynamic_stack 0
		.amdhsa_enable_private_segment 0
		.amdhsa_system_sgpr_workgroup_id_x 1
		.amdhsa_system_sgpr_workgroup_id_y 0
		.amdhsa_system_sgpr_workgroup_id_z 0
		.amdhsa_system_sgpr_workgroup_info 0
		.amdhsa_system_vgpr_workitem_id 0
		.amdhsa_next_free_vgpr 86
		.amdhsa_next_free_sgpr 29
		.amdhsa_accum_offset 88
		.amdhsa_reserve_vcc 1
		.amdhsa_float_round_mode_32 0
		.amdhsa_float_round_mode_16_64 0
		.amdhsa_float_denorm_mode_32 3
		.amdhsa_float_denorm_mode_16_64 3
		.amdhsa_dx10_clamp 1
		.amdhsa_ieee_mode 1
		.amdhsa_fp16_overflow 0
		.amdhsa_tg_split 0
		.amdhsa_exception_fp_ieee_invalid_op 0
		.amdhsa_exception_fp_denorm_src 0
		.amdhsa_exception_fp_ieee_div_zero 0
		.amdhsa_exception_fp_ieee_overflow 0
		.amdhsa_exception_fp_ieee_underflow 0
		.amdhsa_exception_fp_ieee_inexact 0
		.amdhsa_exception_int_div_zero 0
	.end_amdhsa_kernel
	.section	.text._Z16sort_keys_kernelIxLj256ELj3EN10test_utils4lessELj10EEvPKT_PS2_T2_,"axG",@progbits,_Z16sort_keys_kernelIxLj256ELj3EN10test_utils4lessELj10EEvPKT_PS2_T2_,comdat
.Lfunc_end144:
	.size	_Z16sort_keys_kernelIxLj256ELj3EN10test_utils4lessELj10EEvPKT_PS2_T2_, .Lfunc_end144-_Z16sort_keys_kernelIxLj256ELj3EN10test_utils4lessELj10EEvPKT_PS2_T2_
                                        ; -- End function
	.section	.AMDGPU.csdata,"",@progbits
; Kernel info:
; codeLenInByte = 5584
; NumSgprs: 35
; NumVgprs: 86
; NumAgprs: 0
; TotalNumVgprs: 86
; ScratchSize: 0
; MemoryBound: 0
; FloatMode: 240
; IeeeMode: 1
; LDSByteSize: 6152 bytes/workgroup (compile time only)
; SGPRBlocks: 4
; VGPRBlocks: 10
; NumSGPRsForWavesPerEU: 35
; NumVGPRsForWavesPerEU: 86
; AccumOffset: 88
; Occupancy: 5
; WaveLimiterHint : 1
; COMPUTE_PGM_RSRC2:SCRATCH_EN: 0
; COMPUTE_PGM_RSRC2:USER_SGPR: 2
; COMPUTE_PGM_RSRC2:TRAP_HANDLER: 0
; COMPUTE_PGM_RSRC2:TGID_X_EN: 1
; COMPUTE_PGM_RSRC2:TGID_Y_EN: 0
; COMPUTE_PGM_RSRC2:TGID_Z_EN: 0
; COMPUTE_PGM_RSRC2:TIDIG_COMP_CNT: 0
; COMPUTE_PGM_RSRC3_GFX90A:ACCUM_OFFSET: 21
; COMPUTE_PGM_RSRC3_GFX90A:TG_SPLIT: 0
	.section	.text._Z17sort_pairs_kernelIxLj256ELj3EN10test_utils4lessELj10EEvPKT_PS2_T2_,"axG",@progbits,_Z17sort_pairs_kernelIxLj256ELj3EN10test_utils4lessELj10EEvPKT_PS2_T2_,comdat
	.protected	_Z17sort_pairs_kernelIxLj256ELj3EN10test_utils4lessELj10EEvPKT_PS2_T2_ ; -- Begin function _Z17sort_pairs_kernelIxLj256ELj3EN10test_utils4lessELj10EEvPKT_PS2_T2_
	.globl	_Z17sort_pairs_kernelIxLj256ELj3EN10test_utils4lessELj10EEvPKT_PS2_T2_
	.p2align	8
	.type	_Z17sort_pairs_kernelIxLj256ELj3EN10test_utils4lessELj10EEvPKT_PS2_T2_,@function
_Z17sort_pairs_kernelIxLj256ELj3EN10test_utils4lessELj10EEvPKT_PS2_T2_: ; @_Z17sort_pairs_kernelIxLj256ELj3EN10test_utils4lessELj10EEvPKT_PS2_T2_
; %bb.0:
	s_load_dwordx4 s[28:31], s[0:1], 0x0
	s_mul_i32 s36, s2, 0x300
	s_mov_b32 s37, 0
	s_lshl_b64 s[34:35], s[36:37], 3
	v_mov_b32_e32 v9, 0
	s_waitcnt lgkmcnt(0)
	s_add_u32 s0, s28, s34
	s_addc_u32 s1, s29, s35
	v_lshlrev_b32_e32 v8, 3, v0
	v_lshl_add_u64 v[2:3], s[0:1], 0, v[8:9]
	s_movk_i32 s2, 0x1000
	v_add_co_u32_e32 v10, vcc, s2, v2
	v_and_b32_e32 v1, 0xfe, v0
	s_nop 0
	v_addc_co_u32_e32 v11, vcc, 0, v3, vcc
	global_load_dwordx2 v[4:5], v8, s[0:1] offset:2048
	global_load_dwordx2 v[2:3], v8, s[0:1]
	global_load_dwordx2 v[6:7], v[10:11], off
	v_mul_u32_u24_e32 v8, 3, v1
	v_and_b32_e32 v1, 1, v0
	v_min_u32_e32 v9, 0x2fd, v8
	v_cmp_eq_u32_e32 vcc, 1, v1
	v_min_u32_e32 v20, 0x300, v8
	v_add_u32_e32 v21, 3, v9
	v_min_u32_e32 v8, 0x2fa, v8
	v_cndmask_b32_e64 v1, 0, 3, vcc
	v_add_u32_e32 v22, 6, v8
	v_sub_u32_e32 v8, v21, v20
	v_sub_u32_e32 v10, v22, v21
	v_min_i32_e32 v24, v1, v8
	v_and_b32_e32 v8, 0xfc, v0
	v_sub_u32_e32 v11, v1, v10
	v_cmp_ge_i32_e32 vcc, v1, v10
	v_mul_u32_u24_e32 v8, 3, v8
	v_and_b32_e32 v10, 3, v0
	v_cndmask_b32_e32 v23, 0, v11, vcc
	v_min_u32_e32 v11, 0x2fa, v8
	v_min_u32_e32 v26, 0x300, v8
	v_add_u32_e32 v27, 6, v11
	v_min_u32_e32 v8, 0x2f4, v8
	v_mul_u32_u24_e32 v25, 3, v10
	v_add_u32_e32 v28, 12, v8
	v_sub_u32_e32 v8, v27, v26
	v_min_i32_e32 v30, v25, v8
	v_and_b32_e32 v8, 0xf8, v0
	v_sub_u32_e32 v12, v28, v27
	v_mul_u32_u24_e32 v8, 3, v8
	v_sub_u32_e32 v13, v25, v12
	v_cmp_ge_i32_e64 s[0:1], v25, v12
	v_min_u32_e32 v33, 0x300, v8
	v_min_u32_e32 v12, 0x2f4, v8
	;; [unrolled: 1-line block ×3, first 2 shown]
	v_mad_u32_u24 v31, v10, 3, v27
	v_and_b32_e32 v10, 7, v0
	v_add_u32_e32 v34, 12, v12
	v_add_u32_e32 v35, 24, v8
	v_cndmask_b32_e64 v29, 0, v13, s[0:1]
	v_mul_u32_u24_e32 v32, 3, v10
	v_sub_u32_e32 v8, v34, v33
	v_sub_u32_e32 v13, v35, v34
	;; [unrolled: 1-line block ×3, first 2 shown]
	v_cmp_ge_i32_e64 s[2:3], v32, v13
	v_min_i32_e32 v37, v32, v8
	v_and_b32_e32 v8, 0xf0, v0
	v_cndmask_b32_e64 v36, 0, v14, s[2:3]
	v_mul_u32_u24_e32 v8, 3, v8
	v_and_b32_e32 v14, 0xe0, v0
	v_and_b32_e32 v19, 0xc0, v0
	v_mov_b32_e32 v52, 0x60
	v_min_u32_e32 v40, 0x300, v8
	v_min_u32_e32 v13, 0x2e8, v8
	;; [unrolled: 1-line block ×3, first 2 shown]
	v_mul_u32_u24_e32 v14, 3, v14
	v_mul_u32_u24_e32 v19, 3, v19
	v_and_b32_e32 v49, 0x80, v0
	v_lshl_add_u32 v52, v12, 3, v52
	v_mov_b32_e32 v12, 0xc0
	v_mad_u32_u24 v38, v10, 3, v34
	v_and_b32_e32 v10, 15, v0
	v_add_u32_e32 v41, 24, v13
	v_add_u32_e32 v42, 48, v8
	v_min_u32_e32 v16, 0x2d0, v14
	v_min_u32_e32 v54, 0x2a0, v19
	;; [unrolled: 1-line block ×3, first 2 shown]
	v_mul_u32_u24_e32 v67, 3, v49
	v_lshl_add_u32 v53, v13, 3, v12
	v_mov_b32_e32 v12, 0x300
	v_mul_u32_u24_e32 v39, 3, v10
	v_sub_u32_e32 v8, v42, v41
	v_and_b32_e32 v15, 31, v0
	v_add_u32_e32 v44, 48, v16
	v_min_u32_e32 v17, 0x2a0, v14
	v_and_b32_e32 v66, 63, v0
	v_add_u32_e32 v47, 0x60, v54
	v_add_u32_e32 v48, 0xc0, v48
	v_min_u32_e32 v55, 0x240, v67
	v_min_u32_e32 v51, 0x180, v67
	v_lshl_add_u32 v54, v54, 3, v12
	v_mov_b32_e32 v12, 0x600
	v_min_u32_e32 v59, 0x300, v14
	v_mul_u32_u24_e32 v43, 3, v15
	v_add_u32_e32 v45, 0x60, v17
	v_mul_u32_u24_e32 v46, 3, v66
	v_sub_u32_e32 v64, v48, v47
	v_and_b32_e32 v70, 0x7f, v0
	v_add_u32_e32 v50, 0xc0, v55
	v_add_u32_e32 v51, 0x180, v51
	v_lshl_add_u32 v55, v55, 3, v12
	v_sub_u32_e32 v12, v39, v8
	v_cmp_ge_i32_e64 s[4:5], v39, v8
	v_sub_u32_e32 v8, v44, v59
	v_min_u32_e32 v63, 0x300, v19
	v_sub_u32_e32 v17, v45, v44
	v_sub_u32_e32 v65, v46, v64
	v_mul_u32_u24_e32 v49, 3, v70
	v_sub_u32_e32 v68, v51, v50
	v_min_i32_e32 v61, v43, v8
	v_cmp_ge_i32_e64 s[8:9], v46, v64
	v_sub_u32_e32 v8, v47, v63
	v_min_u32_e32 v67, 0x300, v67
	v_sub_u32_e32 v18, v43, v17
	v_sub_u32_e32 v69, v49, v68
	;; [unrolled: 1-line block ×3, first 2 shown]
	v_cmp_ge_i32_e64 s[6:7], v43, v17
	v_cndmask_b32_e64 v64, 0, v65, s[8:9]
	v_min_i32_e32 v65, v46, v8
	v_cmp_ge_i32_e64 s[10:11], v49, v68
	v_sub_u32_e32 v8, v50, v67
	v_mul_u32_u24_e32 v71, 3, v0
	v_mov_b32_e32 v72, 0x180
	v_cndmask_b32_e64 v56, 0, v12, s[4:5]
	v_min_i32_e32 v57, v39, v13
	v_cndmask_b32_e64 v60, 0, v18, s[6:7]
	v_cndmask_b32_e64 v68, 0, v69, s[10:11]
	v_min_i32_e32 v69, v49, v8
	v_sub_u32_e64 v73, v71, v72 clamp
	v_min_i32_e32 v74, 0x180, v71
	s_movk_i32 s33, 0x300
	v_cmp_lt_i32_e32 vcc, v23, v24
	v_cmp_lt_i32_e64 s[0:1], v29, v30
	v_cmp_lt_i32_e64 s[2:3], v36, v37
	;; [unrolled: 1-line block ×3, first 2 shown]
	v_mad_u32_u24 v58, v10, 3, v41
	v_cmp_lt_i32_e64 s[6:7], v60, v61
	v_mad_u32_u24 v62, v15, 3, v44
	v_cmp_lt_i32_e64 s[8:9], v64, v65
	;; [unrolled: 2-line block ×4, first 2 shown]
	v_lshl_add_u32 v75, v9, 3, 24
	v_lshl_add_u32 v76, v11, 3, 48
	;; [unrolled: 1-line block ×3, first 2 shown]
	v_lshlrev_b32_e32 v78, 3, v71
	v_lshlrev_b32_e32 v79, 3, v20
	v_add_u32_e32 v80, v21, v1
	v_lshlrev_b32_e32 v81, 3, v26
	v_lshlrev_b32_e32 v82, 3, v33
	;; [unrolled: 1-line block ×6, first 2 shown]
	v_mad_u32_u24 v87, v0, 3, v72
	v_mov_b32_e32 v88, 0xc00
	s_waitcnt vmcnt(1)
	v_lshl_add_u64 v[10:11], v[2:3], 0, 1
	v_lshl_add_u64 v[12:13], v[4:5], 0, 1
	s_waitcnt vmcnt(0)
	v_lshl_add_u64 v[8:9], v[6:7], 0, 1
	s_branch .LBB145_2
.LBB145_1:                              ;   in Loop: Header=BB145_2 Depth=1
	s_or_b64 exec, exec, s[18:19]
	v_cmp_ge_i32_e64 s[18:19], v92, v72
	s_waitcnt lgkmcnt(0)
	v_cmp_lt_i64_e64 s[20:21], v[18:19], v[16:17]
	v_cndmask_b32_e64 v3, v3, v15, s[14:15]
	v_cndmask_b32_e64 v2, v2, v14, s[14:15]
	;; [unrolled: 1-line block ×3, first 2 shown]
	v_cmp_gt_i32_e64 s[14:15], s33, v91
	s_or_b64 s[18:19], s[18:19], s[20:21]
	s_and_b64 s[14:15], s[14:15], s[18:19]
	v_cndmask_b32_e64 v15, v92, v91, s[14:15]
	s_barrier
	ds_write2_b64 v78, v[8:9], v[12:13] offset1:1
	ds_write_b64 v78, v[10:11] offset:16
	v_lshlrev_b32_e32 v8, 3, v14
	v_lshlrev_b32_e32 v9, 3, v93
	s_waitcnt lgkmcnt(0)
	s_barrier
	v_lshlrev_b32_e32 v14, 3, v15
	ds_read_b64 v[10:11], v8
	ds_read_b64 v[12:13], v9
	;; [unrolled: 1-line block ×3, first 2 shown]
	s_add_i32 s37, s37, 1
	v_cndmask_b32_e64 v5, v5, v7, s[16:17]
	v_cndmask_b32_e64 v7, v17, v19, s[14:15]
	;; [unrolled: 1-line block ×3, first 2 shown]
	s_cmp_eq_u32 s37, 10
	v_cndmask_b32_e64 v6, v16, v18, s[14:15]
	s_cbranch_scc1 .LBB145_98
.LBB145_2:                              ; =>This Loop Header: Depth=1
                                        ;     Child Loop BB145_4 Depth 2
                                        ;     Child Loop BB145_16 Depth 2
	;; [unrolled: 1-line block ×8, first 2 shown]
	v_cmp_lt_i64_e64 s[14:15], v[4:5], v[2:3]
	v_cmp_gt_i64_e64 s[16:17], v[4:5], v[2:3]
	s_nop 0
	v_cndmask_b32_e64 v15, v3, v5, s[14:15]
	v_cndmask_b32_e64 v14, v2, v4, s[14:15]
	;; [unrolled: 1-line block ×6, first 2 shown]
	v_cmp_lt_i64_e64 s[16:17], v[6:7], v[2:3]
	s_barrier
	s_nop 0
	v_cndmask_b32_e64 v5, v7, v3, s[16:17]
	v_cndmask_b32_e64 v4, v6, v2, s[16:17]
	;; [unrolled: 1-line block ×6, first 2 shown]
	v_cmp_lt_i64_e64 s[18:19], v[2:3], v[14:15]
	s_nop 1
	v_cndmask_b32_e64 v7, v16, v15, s[18:19]
	v_cndmask_b32_e64 v6, v17, v14, s[18:19]
	;; [unrolled: 1-line block ×4, first 2 shown]
	ds_write2_b64 v78, v[2:3], v[6:7] offset1:1
	ds_write_b64 v78, v[4:5] offset:16
	v_mov_b32_e32 v6, v23
	s_waitcnt lgkmcnt(0)
	s_barrier
	s_and_saveexec_b64 s[22:23], vcc
	s_cbranch_execz .LBB145_6
; %bb.3:                                ;   in Loop: Header=BB145_2 Depth=1
	s_mov_b64 s[24:25], 0
	v_mov_b32_e32 v6, v23
	v_mov_b32_e32 v2, v24
.LBB145_4:                              ;   Parent Loop BB145_2 Depth=1
                                        ; =>  This Inner Loop Header: Depth=2
	v_sub_u32_e32 v3, v2, v6
	v_lshrrev_b32_e32 v4, 31, v3
	v_add_u32_e32 v3, v3, v4
	v_ashrrev_i32_e32 v3, 1, v3
	v_add_u32_e32 v3, v3, v6
	v_lshl_add_u32 v4, v3, 3, v79
	v_xad_u32 v5, v3, -1, v1
	v_lshl_add_u32 v7, v5, 3, v75
	ds_read_b64 v[4:5], v4
	ds_read_b64 v[14:15], v7
	v_add_u32_e32 v7, 1, v3
	s_waitcnt lgkmcnt(0)
	v_cmp_lt_i64_e64 s[20:21], v[14:15], v[4:5]
	s_nop 1
	v_cndmask_b32_e64 v2, v2, v3, s[20:21]
	v_cndmask_b32_e64 v6, v7, v6, s[20:21]
	v_cmp_ge_i32_e64 s[20:21], v6, v2
	s_or_b64 s[24:25], s[20:21], s[24:25]
	s_andn2_b64 exec, exec, s[24:25]
	s_cbranch_execnz .LBB145_4
; %bb.5:                                ;   in Loop: Header=BB145_2 Depth=1
	s_or_b64 exec, exec, s[24:25]
.LBB145_6:                              ;   in Loop: Header=BB145_2 Depth=1
	s_or_b64 exec, exec, s[22:23]
	v_sub_u32_e32 v89, v80, v6
	v_lshl_add_u32 v15, v6, 3, v79
	v_lshlrev_b32_e32 v14, 3, v89
	ds_read_b64 v[2:3], v15
	ds_read_b64 v[4:5], v14
	v_add_u32_e32 v90, v6, v20
	v_cmp_le_i32_e64 s[22:23], v21, v90
	v_cmp_gt_i32_e64 s[20:21], v22, v89
                                        ; implicit-def: $vgpr6_vgpr7
	s_waitcnt lgkmcnt(0)
	v_cmp_lt_i64_e64 s[24:25], v[4:5], v[2:3]
	s_or_b64 s[22:23], s[22:23], s[24:25]
	s_and_b64 s[20:21], s[20:21], s[22:23]
	s_xor_b64 s[22:23], s[20:21], -1
	s_and_saveexec_b64 s[24:25], s[22:23]
	s_xor_b64 s[22:23], exec, s[24:25]
	s_cbranch_execz .LBB145_8
; %bb.7:                                ;   in Loop: Header=BB145_2 Depth=1
	ds_read_b64 v[6:7], v15 offset:8
                                        ; implicit-def: $vgpr14
.LBB145_8:                              ;   in Loop: Header=BB145_2 Depth=1
	s_or_saveexec_b64 s[22:23], s[22:23]
	v_mov_b64_e32 v[16:17], v[4:5]
	s_xor_b64 exec, exec, s[22:23]
	s_cbranch_execz .LBB145_10
; %bb.9:                                ;   in Loop: Header=BB145_2 Depth=1
	ds_read_b64 v[16:17], v14 offset:8
	s_waitcnt lgkmcnt(1)
	v_mov_b64_e32 v[6:7], v[2:3]
.LBB145_10:                             ;   in Loop: Header=BB145_2 Depth=1
	s_or_b64 exec, exec, s[22:23]
	v_add_u32_e32 v15, 1, v90
	v_add_u32_e32 v14, 1, v89
	v_cndmask_b32_e64 v92, v15, v90, s[20:21]
	v_cndmask_b32_e64 v91, v89, v14, s[20:21]
	v_cmp_ge_i32_e64 s[24:25], v92, v21
	s_waitcnt lgkmcnt(0)
	v_cmp_lt_i64_e64 s[26:27], v[16:17], v[6:7]
	v_cmp_lt_i32_e64 s[22:23], v91, v22
	s_or_b64 s[24:25], s[24:25], s[26:27]
	s_and_b64 s[22:23], s[22:23], s[24:25]
	s_xor_b64 s[24:25], s[22:23], -1
                                        ; implicit-def: $vgpr14_vgpr15
	s_and_saveexec_b64 s[26:27], s[24:25]
	s_xor_b64 s[24:25], exec, s[26:27]
	s_cbranch_execz .LBB145_12
; %bb.11:                               ;   in Loop: Header=BB145_2 Depth=1
	v_lshlrev_b32_e32 v14, 3, v92
	ds_read_b64 v[14:15], v14 offset:8
.LBB145_12:                             ;   in Loop: Header=BB145_2 Depth=1
	s_or_saveexec_b64 s[24:25], s[24:25]
	v_mov_b64_e32 v[18:19], v[16:17]
	s_xor_b64 exec, exec, s[24:25]
	s_cbranch_execz .LBB145_14
; %bb.13:                               ;   in Loop: Header=BB145_2 Depth=1
	s_waitcnt lgkmcnt(0)
	v_lshlrev_b32_e32 v14, 3, v91
	ds_read_b64 v[18:19], v14 offset:8
	v_mov_b64_e32 v[14:15], v[6:7]
.LBB145_14:                             ;   in Loop: Header=BB145_2 Depth=1
	s_or_b64 exec, exec, s[24:25]
	v_cndmask_b32_e64 v17, v7, v17, s[22:23]
	v_cndmask_b32_e64 v16, v6, v16, s[22:23]
	v_add_u32_e32 v6, 1, v91
	v_add_u32_e32 v7, 1, v92
	v_cndmask_b32_e64 v94, v91, v6, s[22:23]
	v_cndmask_b32_e64 v95, v7, v92, s[22:23]
	;; [unrolled: 1-line block ×17, first 2 shown]
	v_cmp_ge_i32_e64 s[16:17], v95, v21
	s_waitcnt lgkmcnt(0)
	v_cmp_lt_i64_e64 s[18:19], v[18:19], v[14:15]
	v_cmp_lt_i32_e64 s[14:15], v94, v22
	s_or_b64 s[16:17], s[16:17], s[18:19]
	s_and_b64 s[14:15], s[14:15], s[16:17]
	v_cndmask_b32_e64 v89, v90, v89, s[20:21]
	v_cndmask_b32_e64 v10, v95, v94, s[14:15]
	s_barrier
	ds_write2_b64 v78, v[6:7], v[4:5] offset1:1
	ds_write_b64 v78, v[2:3] offset:16
	v_lshlrev_b32_e32 v2, 3, v89
	v_lshlrev_b32_e32 v4, 3, v91
	;; [unrolled: 1-line block ×3, first 2 shown]
	s_waitcnt lgkmcnt(0)
	s_barrier
	ds_read_b64 v[2:3], v2
	ds_read_b64 v[6:7], v4
	ds_read_b64 v[4:5], v5
	v_mov_b32_e32 v12, v29
	v_cndmask_b32_e64 v9, v15, v19, s[14:15]
	v_cndmask_b32_e64 v8, v14, v18, s[14:15]
	s_waitcnt lgkmcnt(0)
	s_barrier
	ds_write2_b64 v78, v[92:93], v[16:17] offset1:1
	ds_write_b64 v78, v[8:9] offset:16
	s_waitcnt lgkmcnt(0)
	s_barrier
	s_and_saveexec_b64 s[16:17], s[0:1]
	s_cbranch_execz .LBB145_18
; %bb.15:                               ;   in Loop: Header=BB145_2 Depth=1
	s_mov_b64 s[18:19], 0
	v_mov_b32_e32 v12, v29
	v_mov_b32_e32 v8, v30
.LBB145_16:                             ;   Parent Loop BB145_2 Depth=1
                                        ; =>  This Inner Loop Header: Depth=2
	v_sub_u32_e32 v9, v8, v12
	v_lshrrev_b32_e32 v10, 31, v9
	v_add_u32_e32 v9, v9, v10
	v_ashrrev_i32_e32 v9, 1, v9
	v_add_u32_e32 v9, v9, v12
	v_lshl_add_u32 v10, v9, 3, v81
	v_xad_u32 v11, v9, -1, v25
	v_lshl_add_u32 v13, v11, 3, v76
	ds_read_b64 v[10:11], v10
	ds_read_b64 v[14:15], v13
	v_add_u32_e32 v13, 1, v9
	s_waitcnt lgkmcnt(0)
	v_cmp_lt_i64_e64 s[14:15], v[14:15], v[10:11]
	s_nop 1
	v_cndmask_b32_e64 v8, v8, v9, s[14:15]
	v_cndmask_b32_e64 v12, v13, v12, s[14:15]
	v_cmp_ge_i32_e64 s[14:15], v12, v8
	s_or_b64 s[18:19], s[14:15], s[18:19]
	s_andn2_b64 exec, exec, s[18:19]
	s_cbranch_execnz .LBB145_16
; %bb.17:                               ;   in Loop: Header=BB145_2 Depth=1
	s_or_b64 exec, exec, s[18:19]
.LBB145_18:                             ;   in Loop: Header=BB145_2 Depth=1
	s_or_b64 exec, exec, s[16:17]
	v_sub_u32_e32 v89, v31, v12
	v_lshl_add_u32 v14, v12, 3, v81
	v_lshlrev_b32_e32 v16, 3, v89
	ds_read_b64 v[8:9], v14
	ds_read_b64 v[10:11], v16
	v_add_u32_e32 v90, v12, v26
	v_cmp_le_i32_e64 s[16:17], v27, v90
	v_cmp_gt_i32_e64 s[14:15], v28, v89
                                        ; implicit-def: $vgpr12_vgpr13
	s_waitcnt lgkmcnt(0)
	v_cmp_lt_i64_e64 s[18:19], v[10:11], v[8:9]
	s_or_b64 s[16:17], s[16:17], s[18:19]
	s_and_b64 s[14:15], s[14:15], s[16:17]
	s_xor_b64 s[16:17], s[14:15], -1
	s_and_saveexec_b64 s[18:19], s[16:17]
	s_xor_b64 s[16:17], exec, s[18:19]
	s_cbranch_execz .LBB145_20
; %bb.19:                               ;   in Loop: Header=BB145_2 Depth=1
	ds_read_b64 v[12:13], v14 offset:8
                                        ; implicit-def: $vgpr16
.LBB145_20:                             ;   in Loop: Header=BB145_2 Depth=1
	s_or_saveexec_b64 s[16:17], s[16:17]
	v_mov_b64_e32 v[14:15], v[10:11]
	s_xor_b64 exec, exec, s[16:17]
	s_cbranch_execz .LBB145_22
; %bb.21:                               ;   in Loop: Header=BB145_2 Depth=1
	ds_read_b64 v[14:15], v16 offset:8
	s_waitcnt lgkmcnt(1)
	v_mov_b64_e32 v[12:13], v[8:9]
.LBB145_22:                             ;   in Loop: Header=BB145_2 Depth=1
	s_or_b64 exec, exec, s[16:17]
	v_add_u32_e32 v17, 1, v90
	v_add_u32_e32 v16, 1, v89
	v_cndmask_b32_e64 v92, v17, v90, s[14:15]
	v_cndmask_b32_e64 v91, v89, v16, s[14:15]
	v_cmp_ge_i32_e64 s[18:19], v92, v27
	s_waitcnt lgkmcnt(0)
	v_cmp_lt_i64_e64 s[20:21], v[14:15], v[12:13]
	v_cmp_lt_i32_e64 s[16:17], v91, v28
	s_or_b64 s[18:19], s[18:19], s[20:21]
	s_and_b64 s[16:17], s[16:17], s[18:19]
	s_xor_b64 s[18:19], s[16:17], -1
                                        ; implicit-def: $vgpr16_vgpr17
	s_and_saveexec_b64 s[20:21], s[18:19]
	s_xor_b64 s[18:19], exec, s[20:21]
	s_cbranch_execz .LBB145_24
; %bb.23:                               ;   in Loop: Header=BB145_2 Depth=1
	v_lshlrev_b32_e32 v16, 3, v92
	ds_read_b64 v[16:17], v16 offset:8
.LBB145_24:                             ;   in Loop: Header=BB145_2 Depth=1
	s_or_saveexec_b64 s[18:19], s[18:19]
	v_mov_b64_e32 v[18:19], v[14:15]
	s_xor_b64 exec, exec, s[18:19]
	s_cbranch_execz .LBB145_26
; %bb.25:                               ;   in Loop: Header=BB145_2 Depth=1
	s_waitcnt lgkmcnt(0)
	v_lshlrev_b32_e32 v16, 3, v91
	ds_read_b64 v[18:19], v16 offset:8
	v_mov_b64_e32 v[16:17], v[12:13]
.LBB145_26:                             ;   in Loop: Header=BB145_2 Depth=1
	s_or_b64 exec, exec, s[18:19]
	v_cndmask_b32_e64 v13, v13, v15, s[16:17]
	v_add_u32_e32 v15, 1, v92
	v_cndmask_b32_e64 v12, v12, v14, s[16:17]
	v_add_u32_e32 v14, 1, v91
	v_cndmask_b32_e64 v15, v15, v92, s[16:17]
	v_cndmask_b32_e64 v14, v91, v14, s[16:17]
	;; [unrolled: 1-line block ×3, first 2 shown]
	v_cmp_ge_i32_e64 s[16:17], v15, v27
	s_waitcnt lgkmcnt(0)
	v_cmp_lt_i64_e64 s[18:19], v[18:19], v[16:17]
	v_cndmask_b32_e64 v9, v9, v11, s[14:15]
	v_cndmask_b32_e64 v8, v8, v10, s[14:15]
	;; [unrolled: 1-line block ×3, first 2 shown]
	v_cmp_lt_i32_e64 s[14:15], v14, v28
	s_or_b64 s[16:17], s[16:17], s[18:19]
	s_and_b64 s[14:15], s[14:15], s[16:17]
	v_cndmask_b32_e64 v14, v15, v14, s[14:15]
	s_barrier
	ds_write2_b64 v78, v[2:3], v[6:7] offset1:1
	ds_write_b64 v78, v[4:5] offset:16
	v_lshlrev_b32_e32 v2, 3, v89
	v_lshlrev_b32_e32 v4, 3, v91
	;; [unrolled: 1-line block ×3, first 2 shown]
	s_waitcnt lgkmcnt(0)
	s_barrier
	ds_read_b64 v[2:3], v2
	ds_read_b64 v[6:7], v4
	;; [unrolled: 1-line block ×3, first 2 shown]
	v_cndmask_b32_e64 v11, v17, v19, s[14:15]
	v_cndmask_b32_e64 v10, v16, v18, s[14:15]
	s_waitcnt lgkmcnt(0)
	s_barrier
	ds_write2_b64 v78, v[8:9], v[12:13] offset1:1
	ds_write_b64 v78, v[10:11] offset:16
	v_mov_b32_e32 v12, v36
	s_waitcnt lgkmcnt(0)
	s_barrier
	s_and_saveexec_b64 s[16:17], s[2:3]
	s_cbranch_execz .LBB145_30
; %bb.27:                               ;   in Loop: Header=BB145_2 Depth=1
	s_mov_b64 s[18:19], 0
	v_mov_b32_e32 v12, v36
	v_mov_b32_e32 v8, v37
.LBB145_28:                             ;   Parent Loop BB145_2 Depth=1
                                        ; =>  This Inner Loop Header: Depth=2
	v_sub_u32_e32 v9, v8, v12
	v_lshrrev_b32_e32 v10, 31, v9
	v_add_u32_e32 v9, v9, v10
	v_ashrrev_i32_e32 v9, 1, v9
	v_add_u32_e32 v9, v9, v12
	v_lshl_add_u32 v10, v9, 3, v82
	v_xad_u32 v11, v9, -1, v32
	v_lshl_add_u32 v13, v11, 3, v52
	ds_read_b64 v[10:11], v10
	ds_read_b64 v[14:15], v13
	v_add_u32_e32 v13, 1, v9
	s_waitcnt lgkmcnt(0)
	v_cmp_lt_i64_e64 s[14:15], v[14:15], v[10:11]
	s_nop 1
	v_cndmask_b32_e64 v8, v8, v9, s[14:15]
	v_cndmask_b32_e64 v12, v13, v12, s[14:15]
	v_cmp_ge_i32_e64 s[14:15], v12, v8
	s_or_b64 s[18:19], s[14:15], s[18:19]
	s_andn2_b64 exec, exec, s[18:19]
	s_cbranch_execnz .LBB145_28
; %bb.29:                               ;   in Loop: Header=BB145_2 Depth=1
	s_or_b64 exec, exec, s[18:19]
.LBB145_30:                             ;   in Loop: Header=BB145_2 Depth=1
	s_or_b64 exec, exec, s[16:17]
	v_sub_u32_e32 v89, v38, v12
	v_lshl_add_u32 v14, v12, 3, v82
	v_lshlrev_b32_e32 v16, 3, v89
	ds_read_b64 v[8:9], v14
	ds_read_b64 v[10:11], v16
	v_add_u32_e32 v90, v12, v33
	v_cmp_le_i32_e64 s[16:17], v34, v90
	v_cmp_gt_i32_e64 s[14:15], v35, v89
                                        ; implicit-def: $vgpr12_vgpr13
	s_waitcnt lgkmcnt(0)
	v_cmp_lt_i64_e64 s[18:19], v[10:11], v[8:9]
	s_or_b64 s[16:17], s[16:17], s[18:19]
	s_and_b64 s[14:15], s[14:15], s[16:17]
	s_xor_b64 s[16:17], s[14:15], -1
	s_and_saveexec_b64 s[18:19], s[16:17]
	s_xor_b64 s[16:17], exec, s[18:19]
	s_cbranch_execz .LBB145_32
; %bb.31:                               ;   in Loop: Header=BB145_2 Depth=1
	ds_read_b64 v[12:13], v14 offset:8
                                        ; implicit-def: $vgpr16
.LBB145_32:                             ;   in Loop: Header=BB145_2 Depth=1
	s_or_saveexec_b64 s[16:17], s[16:17]
	v_mov_b64_e32 v[14:15], v[10:11]
	s_xor_b64 exec, exec, s[16:17]
	s_cbranch_execz .LBB145_34
; %bb.33:                               ;   in Loop: Header=BB145_2 Depth=1
	ds_read_b64 v[14:15], v16 offset:8
	s_waitcnt lgkmcnt(1)
	v_mov_b64_e32 v[12:13], v[8:9]
.LBB145_34:                             ;   in Loop: Header=BB145_2 Depth=1
	s_or_b64 exec, exec, s[16:17]
	v_add_u32_e32 v17, 1, v90
	v_add_u32_e32 v16, 1, v89
	v_cndmask_b32_e64 v92, v17, v90, s[14:15]
	v_cndmask_b32_e64 v91, v89, v16, s[14:15]
	v_cmp_ge_i32_e64 s[18:19], v92, v34
	s_waitcnt lgkmcnt(0)
	v_cmp_lt_i64_e64 s[20:21], v[14:15], v[12:13]
	v_cmp_lt_i32_e64 s[16:17], v91, v35
	s_or_b64 s[18:19], s[18:19], s[20:21]
	s_and_b64 s[16:17], s[16:17], s[18:19]
	s_xor_b64 s[18:19], s[16:17], -1
                                        ; implicit-def: $vgpr16_vgpr17
	s_and_saveexec_b64 s[20:21], s[18:19]
	s_xor_b64 s[18:19], exec, s[20:21]
	s_cbranch_execz .LBB145_36
; %bb.35:                               ;   in Loop: Header=BB145_2 Depth=1
	v_lshlrev_b32_e32 v16, 3, v92
	ds_read_b64 v[16:17], v16 offset:8
.LBB145_36:                             ;   in Loop: Header=BB145_2 Depth=1
	s_or_saveexec_b64 s[18:19], s[18:19]
	v_mov_b64_e32 v[18:19], v[14:15]
	s_xor_b64 exec, exec, s[18:19]
	s_cbranch_execz .LBB145_38
; %bb.37:                               ;   in Loop: Header=BB145_2 Depth=1
	s_waitcnt lgkmcnt(0)
	v_lshlrev_b32_e32 v16, 3, v91
	ds_read_b64 v[18:19], v16 offset:8
	v_mov_b64_e32 v[16:17], v[12:13]
.LBB145_38:                             ;   in Loop: Header=BB145_2 Depth=1
	s_or_b64 exec, exec, s[18:19]
	v_cndmask_b32_e64 v13, v13, v15, s[16:17]
	v_add_u32_e32 v15, 1, v92
	v_cndmask_b32_e64 v12, v12, v14, s[16:17]
	v_add_u32_e32 v14, 1, v91
	v_cndmask_b32_e64 v15, v15, v92, s[16:17]
	v_cndmask_b32_e64 v14, v91, v14, s[16:17]
	;; [unrolled: 1-line block ×3, first 2 shown]
	v_cmp_ge_i32_e64 s[16:17], v15, v34
	s_waitcnt lgkmcnt(0)
	v_cmp_lt_i64_e64 s[18:19], v[18:19], v[16:17]
	v_cndmask_b32_e64 v9, v9, v11, s[14:15]
	v_cndmask_b32_e64 v8, v8, v10, s[14:15]
	;; [unrolled: 1-line block ×3, first 2 shown]
	v_cmp_lt_i32_e64 s[14:15], v14, v35
	s_or_b64 s[16:17], s[16:17], s[18:19]
	s_and_b64 s[14:15], s[14:15], s[16:17]
	v_cndmask_b32_e64 v14, v15, v14, s[14:15]
	s_barrier
	ds_write2_b64 v78, v[2:3], v[6:7] offset1:1
	ds_write_b64 v78, v[4:5] offset:16
	v_lshlrev_b32_e32 v2, 3, v89
	v_lshlrev_b32_e32 v4, 3, v91
	;; [unrolled: 1-line block ×3, first 2 shown]
	s_waitcnt lgkmcnt(0)
	s_barrier
	ds_read_b64 v[2:3], v2
	ds_read_b64 v[6:7], v4
	;; [unrolled: 1-line block ×3, first 2 shown]
	v_cndmask_b32_e64 v11, v17, v19, s[14:15]
	v_cndmask_b32_e64 v10, v16, v18, s[14:15]
	s_waitcnt lgkmcnt(0)
	s_barrier
	ds_write2_b64 v78, v[8:9], v[12:13] offset1:1
	ds_write_b64 v78, v[10:11] offset:16
	v_mov_b32_e32 v12, v56
	s_waitcnt lgkmcnt(0)
	s_barrier
	s_and_saveexec_b64 s[16:17], s[4:5]
	s_cbranch_execz .LBB145_42
; %bb.39:                               ;   in Loop: Header=BB145_2 Depth=1
	s_mov_b64 s[18:19], 0
	v_mov_b32_e32 v12, v56
	v_mov_b32_e32 v8, v57
.LBB145_40:                             ;   Parent Loop BB145_2 Depth=1
                                        ; =>  This Inner Loop Header: Depth=2
	v_sub_u32_e32 v9, v8, v12
	v_lshrrev_b32_e32 v10, 31, v9
	v_add_u32_e32 v9, v9, v10
	v_ashrrev_i32_e32 v9, 1, v9
	v_add_u32_e32 v9, v9, v12
	v_lshl_add_u32 v10, v9, 3, v83
	v_xad_u32 v11, v9, -1, v39
	v_lshl_add_u32 v13, v11, 3, v53
	ds_read_b64 v[10:11], v10
	ds_read_b64 v[14:15], v13
	v_add_u32_e32 v13, 1, v9
	s_waitcnt lgkmcnt(0)
	v_cmp_lt_i64_e64 s[14:15], v[14:15], v[10:11]
	s_nop 1
	v_cndmask_b32_e64 v8, v8, v9, s[14:15]
	v_cndmask_b32_e64 v12, v13, v12, s[14:15]
	v_cmp_ge_i32_e64 s[14:15], v12, v8
	s_or_b64 s[18:19], s[14:15], s[18:19]
	s_andn2_b64 exec, exec, s[18:19]
	s_cbranch_execnz .LBB145_40
; %bb.41:                               ;   in Loop: Header=BB145_2 Depth=1
	s_or_b64 exec, exec, s[18:19]
.LBB145_42:                             ;   in Loop: Header=BB145_2 Depth=1
	s_or_b64 exec, exec, s[16:17]
	v_sub_u32_e32 v89, v58, v12
	v_lshl_add_u32 v14, v12, 3, v83
	v_lshlrev_b32_e32 v16, 3, v89
	ds_read_b64 v[8:9], v14
	ds_read_b64 v[10:11], v16
	v_add_u32_e32 v90, v12, v40
	v_cmp_le_i32_e64 s[16:17], v41, v90
	v_cmp_gt_i32_e64 s[14:15], v42, v89
                                        ; implicit-def: $vgpr12_vgpr13
	s_waitcnt lgkmcnt(0)
	v_cmp_lt_i64_e64 s[18:19], v[10:11], v[8:9]
	s_or_b64 s[16:17], s[16:17], s[18:19]
	s_and_b64 s[14:15], s[14:15], s[16:17]
	s_xor_b64 s[16:17], s[14:15], -1
	s_and_saveexec_b64 s[18:19], s[16:17]
	s_xor_b64 s[16:17], exec, s[18:19]
	s_cbranch_execz .LBB145_44
; %bb.43:                               ;   in Loop: Header=BB145_2 Depth=1
	ds_read_b64 v[12:13], v14 offset:8
                                        ; implicit-def: $vgpr16
.LBB145_44:                             ;   in Loop: Header=BB145_2 Depth=1
	s_or_saveexec_b64 s[16:17], s[16:17]
	v_mov_b64_e32 v[14:15], v[10:11]
	s_xor_b64 exec, exec, s[16:17]
	s_cbranch_execz .LBB145_46
; %bb.45:                               ;   in Loop: Header=BB145_2 Depth=1
	ds_read_b64 v[14:15], v16 offset:8
	s_waitcnt lgkmcnt(1)
	v_mov_b64_e32 v[12:13], v[8:9]
.LBB145_46:                             ;   in Loop: Header=BB145_2 Depth=1
	s_or_b64 exec, exec, s[16:17]
	v_add_u32_e32 v17, 1, v90
	v_add_u32_e32 v16, 1, v89
	v_cndmask_b32_e64 v92, v17, v90, s[14:15]
	v_cndmask_b32_e64 v91, v89, v16, s[14:15]
	v_cmp_ge_i32_e64 s[18:19], v92, v41
	s_waitcnt lgkmcnt(0)
	v_cmp_lt_i64_e64 s[20:21], v[14:15], v[12:13]
	v_cmp_lt_i32_e64 s[16:17], v91, v42
	s_or_b64 s[18:19], s[18:19], s[20:21]
	s_and_b64 s[16:17], s[16:17], s[18:19]
	s_xor_b64 s[18:19], s[16:17], -1
                                        ; implicit-def: $vgpr16_vgpr17
	s_and_saveexec_b64 s[20:21], s[18:19]
	s_xor_b64 s[18:19], exec, s[20:21]
	s_cbranch_execz .LBB145_48
; %bb.47:                               ;   in Loop: Header=BB145_2 Depth=1
	v_lshlrev_b32_e32 v16, 3, v92
	ds_read_b64 v[16:17], v16 offset:8
.LBB145_48:                             ;   in Loop: Header=BB145_2 Depth=1
	s_or_saveexec_b64 s[18:19], s[18:19]
	v_mov_b64_e32 v[18:19], v[14:15]
	s_xor_b64 exec, exec, s[18:19]
	s_cbranch_execz .LBB145_50
; %bb.49:                               ;   in Loop: Header=BB145_2 Depth=1
	s_waitcnt lgkmcnt(0)
	v_lshlrev_b32_e32 v16, 3, v91
	ds_read_b64 v[18:19], v16 offset:8
	v_mov_b64_e32 v[16:17], v[12:13]
.LBB145_50:                             ;   in Loop: Header=BB145_2 Depth=1
	s_or_b64 exec, exec, s[18:19]
	v_cndmask_b32_e64 v13, v13, v15, s[16:17]
	v_add_u32_e32 v15, 1, v92
	v_cndmask_b32_e64 v12, v12, v14, s[16:17]
	v_add_u32_e32 v14, 1, v91
	v_cndmask_b32_e64 v15, v15, v92, s[16:17]
	v_cndmask_b32_e64 v14, v91, v14, s[16:17]
	;; [unrolled: 1-line block ×3, first 2 shown]
	v_cmp_ge_i32_e64 s[16:17], v15, v41
	s_waitcnt lgkmcnt(0)
	v_cmp_lt_i64_e64 s[18:19], v[18:19], v[16:17]
	v_cndmask_b32_e64 v9, v9, v11, s[14:15]
	v_cndmask_b32_e64 v8, v8, v10, s[14:15]
	;; [unrolled: 1-line block ×3, first 2 shown]
	v_cmp_lt_i32_e64 s[14:15], v14, v42
	s_or_b64 s[16:17], s[16:17], s[18:19]
	s_and_b64 s[14:15], s[14:15], s[16:17]
	v_cndmask_b32_e64 v14, v15, v14, s[14:15]
	s_barrier
	ds_write2_b64 v78, v[2:3], v[6:7] offset1:1
	ds_write_b64 v78, v[4:5] offset:16
	v_lshlrev_b32_e32 v2, 3, v89
	v_lshlrev_b32_e32 v4, 3, v91
	;; [unrolled: 1-line block ×3, first 2 shown]
	s_waitcnt lgkmcnt(0)
	s_barrier
	ds_read_b64 v[2:3], v2
	ds_read_b64 v[6:7], v4
	;; [unrolled: 1-line block ×3, first 2 shown]
	v_cndmask_b32_e64 v11, v17, v19, s[14:15]
	v_cndmask_b32_e64 v10, v16, v18, s[14:15]
	s_waitcnt lgkmcnt(0)
	s_barrier
	ds_write2_b64 v78, v[8:9], v[12:13] offset1:1
	ds_write_b64 v78, v[10:11] offset:16
	v_mov_b32_e32 v12, v60
	s_waitcnt lgkmcnt(0)
	s_barrier
	s_and_saveexec_b64 s[16:17], s[6:7]
	s_cbranch_execz .LBB145_54
; %bb.51:                               ;   in Loop: Header=BB145_2 Depth=1
	s_mov_b64 s[18:19], 0
	v_mov_b32_e32 v12, v60
	v_mov_b32_e32 v8, v61
.LBB145_52:                             ;   Parent Loop BB145_2 Depth=1
                                        ; =>  This Inner Loop Header: Depth=2
	v_sub_u32_e32 v9, v8, v12
	v_lshrrev_b32_e32 v10, 31, v9
	v_add_u32_e32 v9, v9, v10
	v_ashrrev_i32_e32 v9, 1, v9
	v_add_u32_e32 v9, v9, v12
	v_lshl_add_u32 v10, v9, 3, v84
	v_xad_u32 v11, v9, -1, v43
	v_lshl_add_u32 v13, v11, 3, v77
	ds_read_b64 v[10:11], v10
	ds_read_b64 v[14:15], v13
	v_add_u32_e32 v13, 1, v9
	s_waitcnt lgkmcnt(0)
	v_cmp_lt_i64_e64 s[14:15], v[14:15], v[10:11]
	s_nop 1
	v_cndmask_b32_e64 v8, v8, v9, s[14:15]
	v_cndmask_b32_e64 v12, v13, v12, s[14:15]
	v_cmp_ge_i32_e64 s[14:15], v12, v8
	s_or_b64 s[18:19], s[14:15], s[18:19]
	s_andn2_b64 exec, exec, s[18:19]
	s_cbranch_execnz .LBB145_52
; %bb.53:                               ;   in Loop: Header=BB145_2 Depth=1
	s_or_b64 exec, exec, s[18:19]
.LBB145_54:                             ;   in Loop: Header=BB145_2 Depth=1
	s_or_b64 exec, exec, s[16:17]
	v_sub_u32_e32 v89, v62, v12
	v_lshl_add_u32 v14, v12, 3, v84
	v_lshlrev_b32_e32 v16, 3, v89
	ds_read_b64 v[8:9], v14
	ds_read_b64 v[10:11], v16
	v_add_u32_e32 v90, v12, v59
	v_cmp_le_i32_e64 s[16:17], v44, v90
	v_cmp_gt_i32_e64 s[14:15], v45, v89
                                        ; implicit-def: $vgpr12_vgpr13
	s_waitcnt lgkmcnt(0)
	v_cmp_lt_i64_e64 s[18:19], v[10:11], v[8:9]
	s_or_b64 s[16:17], s[16:17], s[18:19]
	s_and_b64 s[14:15], s[14:15], s[16:17]
	s_xor_b64 s[16:17], s[14:15], -1
	s_and_saveexec_b64 s[18:19], s[16:17]
	s_xor_b64 s[16:17], exec, s[18:19]
	s_cbranch_execz .LBB145_56
; %bb.55:                               ;   in Loop: Header=BB145_2 Depth=1
	ds_read_b64 v[12:13], v14 offset:8
                                        ; implicit-def: $vgpr16
.LBB145_56:                             ;   in Loop: Header=BB145_2 Depth=1
	s_or_saveexec_b64 s[16:17], s[16:17]
	v_mov_b64_e32 v[14:15], v[10:11]
	s_xor_b64 exec, exec, s[16:17]
	s_cbranch_execz .LBB145_58
; %bb.57:                               ;   in Loop: Header=BB145_2 Depth=1
	ds_read_b64 v[14:15], v16 offset:8
	s_waitcnt lgkmcnt(1)
	v_mov_b64_e32 v[12:13], v[8:9]
.LBB145_58:                             ;   in Loop: Header=BB145_2 Depth=1
	s_or_b64 exec, exec, s[16:17]
	v_add_u32_e32 v17, 1, v90
	v_add_u32_e32 v16, 1, v89
	v_cndmask_b32_e64 v92, v17, v90, s[14:15]
	v_cndmask_b32_e64 v91, v89, v16, s[14:15]
	v_cmp_ge_i32_e64 s[18:19], v92, v44
	s_waitcnt lgkmcnt(0)
	v_cmp_lt_i64_e64 s[20:21], v[14:15], v[12:13]
	v_cmp_lt_i32_e64 s[16:17], v91, v45
	s_or_b64 s[18:19], s[18:19], s[20:21]
	s_and_b64 s[16:17], s[16:17], s[18:19]
	s_xor_b64 s[18:19], s[16:17], -1
                                        ; implicit-def: $vgpr16_vgpr17
	s_and_saveexec_b64 s[20:21], s[18:19]
	s_xor_b64 s[18:19], exec, s[20:21]
	s_cbranch_execz .LBB145_60
; %bb.59:                               ;   in Loop: Header=BB145_2 Depth=1
	v_lshlrev_b32_e32 v16, 3, v92
	ds_read_b64 v[16:17], v16 offset:8
.LBB145_60:                             ;   in Loop: Header=BB145_2 Depth=1
	s_or_saveexec_b64 s[18:19], s[18:19]
	v_mov_b64_e32 v[18:19], v[14:15]
	s_xor_b64 exec, exec, s[18:19]
	s_cbranch_execz .LBB145_62
; %bb.61:                               ;   in Loop: Header=BB145_2 Depth=1
	s_waitcnt lgkmcnt(0)
	v_lshlrev_b32_e32 v16, 3, v91
	ds_read_b64 v[18:19], v16 offset:8
	v_mov_b64_e32 v[16:17], v[12:13]
.LBB145_62:                             ;   in Loop: Header=BB145_2 Depth=1
	s_or_b64 exec, exec, s[18:19]
	v_cndmask_b32_e64 v13, v13, v15, s[16:17]
	v_add_u32_e32 v15, 1, v92
	v_cndmask_b32_e64 v12, v12, v14, s[16:17]
	v_add_u32_e32 v14, 1, v91
	v_cndmask_b32_e64 v15, v15, v92, s[16:17]
	v_cndmask_b32_e64 v14, v91, v14, s[16:17]
	;; [unrolled: 1-line block ×3, first 2 shown]
	v_cmp_ge_i32_e64 s[16:17], v15, v44
	s_waitcnt lgkmcnt(0)
	v_cmp_lt_i64_e64 s[18:19], v[18:19], v[16:17]
	v_cndmask_b32_e64 v9, v9, v11, s[14:15]
	v_cndmask_b32_e64 v8, v8, v10, s[14:15]
	;; [unrolled: 1-line block ×3, first 2 shown]
	v_cmp_lt_i32_e64 s[14:15], v14, v45
	s_or_b64 s[16:17], s[16:17], s[18:19]
	s_and_b64 s[14:15], s[14:15], s[16:17]
	v_cndmask_b32_e64 v14, v15, v14, s[14:15]
	s_barrier
	ds_write2_b64 v78, v[2:3], v[6:7] offset1:1
	ds_write_b64 v78, v[4:5] offset:16
	v_lshlrev_b32_e32 v2, 3, v89
	v_lshlrev_b32_e32 v4, 3, v91
	;; [unrolled: 1-line block ×3, first 2 shown]
	s_waitcnt lgkmcnt(0)
	s_barrier
	ds_read_b64 v[2:3], v2
	ds_read_b64 v[6:7], v4
	;; [unrolled: 1-line block ×3, first 2 shown]
	v_cndmask_b32_e64 v11, v17, v19, s[14:15]
	v_cndmask_b32_e64 v10, v16, v18, s[14:15]
	s_waitcnt lgkmcnt(0)
	s_barrier
	ds_write2_b64 v78, v[8:9], v[12:13] offset1:1
	ds_write_b64 v78, v[10:11] offset:16
	v_mov_b32_e32 v12, v64
	s_waitcnt lgkmcnt(0)
	s_barrier
	s_and_saveexec_b64 s[16:17], s[8:9]
	s_cbranch_execz .LBB145_66
; %bb.63:                               ;   in Loop: Header=BB145_2 Depth=1
	s_mov_b64 s[18:19], 0
	v_mov_b32_e32 v12, v64
	v_mov_b32_e32 v8, v65
.LBB145_64:                             ;   Parent Loop BB145_2 Depth=1
                                        ; =>  This Inner Loop Header: Depth=2
	v_sub_u32_e32 v9, v8, v12
	v_lshrrev_b32_e32 v10, 31, v9
	v_add_u32_e32 v9, v9, v10
	v_ashrrev_i32_e32 v9, 1, v9
	v_add_u32_e32 v9, v9, v12
	v_lshl_add_u32 v10, v9, 3, v85
	v_xad_u32 v11, v9, -1, v46
	v_lshl_add_u32 v13, v11, 3, v54
	ds_read_b64 v[10:11], v10
	ds_read_b64 v[14:15], v13
	v_add_u32_e32 v13, 1, v9
	s_waitcnt lgkmcnt(0)
	v_cmp_lt_i64_e64 s[14:15], v[14:15], v[10:11]
	s_nop 1
	v_cndmask_b32_e64 v8, v8, v9, s[14:15]
	v_cndmask_b32_e64 v12, v13, v12, s[14:15]
	v_cmp_ge_i32_e64 s[14:15], v12, v8
	s_or_b64 s[18:19], s[14:15], s[18:19]
	s_andn2_b64 exec, exec, s[18:19]
	s_cbranch_execnz .LBB145_64
; %bb.65:                               ;   in Loop: Header=BB145_2 Depth=1
	s_or_b64 exec, exec, s[18:19]
.LBB145_66:                             ;   in Loop: Header=BB145_2 Depth=1
	s_or_b64 exec, exec, s[16:17]
	v_sub_u32_e32 v89, v66, v12
	v_lshl_add_u32 v14, v12, 3, v85
	v_lshlrev_b32_e32 v16, 3, v89
	ds_read_b64 v[8:9], v14
	ds_read_b64 v[10:11], v16
	v_add_u32_e32 v90, v12, v63
	v_cmp_le_i32_e64 s[16:17], v47, v90
	v_cmp_gt_i32_e64 s[14:15], v48, v89
                                        ; implicit-def: $vgpr12_vgpr13
	s_waitcnt lgkmcnt(0)
	v_cmp_lt_i64_e64 s[18:19], v[10:11], v[8:9]
	s_or_b64 s[16:17], s[16:17], s[18:19]
	s_and_b64 s[14:15], s[14:15], s[16:17]
	s_xor_b64 s[16:17], s[14:15], -1
	s_and_saveexec_b64 s[18:19], s[16:17]
	s_xor_b64 s[16:17], exec, s[18:19]
	s_cbranch_execz .LBB145_68
; %bb.67:                               ;   in Loop: Header=BB145_2 Depth=1
	ds_read_b64 v[12:13], v14 offset:8
                                        ; implicit-def: $vgpr16
.LBB145_68:                             ;   in Loop: Header=BB145_2 Depth=1
	s_or_saveexec_b64 s[16:17], s[16:17]
	v_mov_b64_e32 v[14:15], v[10:11]
	s_xor_b64 exec, exec, s[16:17]
	s_cbranch_execz .LBB145_70
; %bb.69:                               ;   in Loop: Header=BB145_2 Depth=1
	ds_read_b64 v[14:15], v16 offset:8
	s_waitcnt lgkmcnt(1)
	v_mov_b64_e32 v[12:13], v[8:9]
.LBB145_70:                             ;   in Loop: Header=BB145_2 Depth=1
	s_or_b64 exec, exec, s[16:17]
	v_add_u32_e32 v17, 1, v90
	v_add_u32_e32 v16, 1, v89
	v_cndmask_b32_e64 v92, v17, v90, s[14:15]
	v_cndmask_b32_e64 v91, v89, v16, s[14:15]
	v_cmp_ge_i32_e64 s[18:19], v92, v47
	s_waitcnt lgkmcnt(0)
	v_cmp_lt_i64_e64 s[20:21], v[14:15], v[12:13]
	v_cmp_lt_i32_e64 s[16:17], v91, v48
	s_or_b64 s[18:19], s[18:19], s[20:21]
	s_and_b64 s[16:17], s[16:17], s[18:19]
	s_xor_b64 s[18:19], s[16:17], -1
                                        ; implicit-def: $vgpr16_vgpr17
	s_and_saveexec_b64 s[20:21], s[18:19]
	s_xor_b64 s[18:19], exec, s[20:21]
	s_cbranch_execz .LBB145_72
; %bb.71:                               ;   in Loop: Header=BB145_2 Depth=1
	v_lshlrev_b32_e32 v16, 3, v92
	ds_read_b64 v[16:17], v16 offset:8
.LBB145_72:                             ;   in Loop: Header=BB145_2 Depth=1
	s_or_saveexec_b64 s[18:19], s[18:19]
	v_mov_b64_e32 v[18:19], v[14:15]
	s_xor_b64 exec, exec, s[18:19]
	s_cbranch_execz .LBB145_74
; %bb.73:                               ;   in Loop: Header=BB145_2 Depth=1
	s_waitcnt lgkmcnt(0)
	v_lshlrev_b32_e32 v16, 3, v91
	ds_read_b64 v[18:19], v16 offset:8
	v_mov_b64_e32 v[16:17], v[12:13]
.LBB145_74:                             ;   in Loop: Header=BB145_2 Depth=1
	s_or_b64 exec, exec, s[18:19]
	v_cndmask_b32_e64 v13, v13, v15, s[16:17]
	v_add_u32_e32 v15, 1, v92
	v_cndmask_b32_e64 v12, v12, v14, s[16:17]
	v_add_u32_e32 v14, 1, v91
	v_cndmask_b32_e64 v15, v15, v92, s[16:17]
	v_cndmask_b32_e64 v14, v91, v14, s[16:17]
	;; [unrolled: 1-line block ×3, first 2 shown]
	v_cmp_ge_i32_e64 s[16:17], v15, v47
	s_waitcnt lgkmcnt(0)
	v_cmp_lt_i64_e64 s[18:19], v[18:19], v[16:17]
	v_cndmask_b32_e64 v9, v9, v11, s[14:15]
	v_cndmask_b32_e64 v8, v8, v10, s[14:15]
	;; [unrolled: 1-line block ×3, first 2 shown]
	v_cmp_lt_i32_e64 s[14:15], v14, v48
	s_or_b64 s[16:17], s[16:17], s[18:19]
	s_and_b64 s[14:15], s[14:15], s[16:17]
	v_cndmask_b32_e64 v14, v15, v14, s[14:15]
	s_barrier
	ds_write2_b64 v78, v[2:3], v[6:7] offset1:1
	ds_write_b64 v78, v[4:5] offset:16
	v_lshlrev_b32_e32 v2, 3, v89
	v_lshlrev_b32_e32 v4, 3, v91
	;; [unrolled: 1-line block ×3, first 2 shown]
	s_waitcnt lgkmcnt(0)
	s_barrier
	ds_read_b64 v[2:3], v2
	ds_read_b64 v[6:7], v4
	;; [unrolled: 1-line block ×3, first 2 shown]
	v_cndmask_b32_e64 v11, v17, v19, s[14:15]
	v_cndmask_b32_e64 v10, v16, v18, s[14:15]
	s_waitcnt lgkmcnt(0)
	s_barrier
	ds_write2_b64 v78, v[8:9], v[12:13] offset1:1
	ds_write_b64 v78, v[10:11] offset:16
	v_mov_b32_e32 v12, v68
	s_waitcnt lgkmcnt(0)
	s_barrier
	s_and_saveexec_b64 s[16:17], s[10:11]
	s_cbranch_execz .LBB145_78
; %bb.75:                               ;   in Loop: Header=BB145_2 Depth=1
	s_mov_b64 s[18:19], 0
	v_mov_b32_e32 v12, v68
	v_mov_b32_e32 v8, v69
.LBB145_76:                             ;   Parent Loop BB145_2 Depth=1
                                        ; =>  This Inner Loop Header: Depth=2
	v_sub_u32_e32 v9, v8, v12
	v_lshrrev_b32_e32 v10, 31, v9
	v_add_u32_e32 v9, v9, v10
	v_ashrrev_i32_e32 v9, 1, v9
	v_add_u32_e32 v9, v9, v12
	v_lshl_add_u32 v10, v9, 3, v86
	v_xad_u32 v11, v9, -1, v49
	v_lshl_add_u32 v13, v11, 3, v55
	ds_read_b64 v[10:11], v10
	ds_read_b64 v[14:15], v13
	v_add_u32_e32 v13, 1, v9
	s_waitcnt lgkmcnt(0)
	v_cmp_lt_i64_e64 s[14:15], v[14:15], v[10:11]
	s_nop 1
	v_cndmask_b32_e64 v8, v8, v9, s[14:15]
	v_cndmask_b32_e64 v12, v13, v12, s[14:15]
	v_cmp_ge_i32_e64 s[14:15], v12, v8
	s_or_b64 s[18:19], s[14:15], s[18:19]
	s_andn2_b64 exec, exec, s[18:19]
	s_cbranch_execnz .LBB145_76
; %bb.77:                               ;   in Loop: Header=BB145_2 Depth=1
	s_or_b64 exec, exec, s[18:19]
.LBB145_78:                             ;   in Loop: Header=BB145_2 Depth=1
	s_or_b64 exec, exec, s[16:17]
	v_sub_u32_e32 v89, v70, v12
	v_lshl_add_u32 v14, v12, 3, v86
	v_lshlrev_b32_e32 v16, 3, v89
	ds_read_b64 v[8:9], v14
	ds_read_b64 v[10:11], v16
	v_add_u32_e32 v90, v12, v67
	v_cmp_le_i32_e64 s[16:17], v50, v90
	v_cmp_gt_i32_e64 s[14:15], v51, v89
                                        ; implicit-def: $vgpr12_vgpr13
	s_waitcnt lgkmcnt(0)
	v_cmp_lt_i64_e64 s[18:19], v[10:11], v[8:9]
	s_or_b64 s[16:17], s[16:17], s[18:19]
	s_and_b64 s[14:15], s[14:15], s[16:17]
	s_xor_b64 s[16:17], s[14:15], -1
	s_and_saveexec_b64 s[18:19], s[16:17]
	s_xor_b64 s[16:17], exec, s[18:19]
	s_cbranch_execz .LBB145_80
; %bb.79:                               ;   in Loop: Header=BB145_2 Depth=1
	ds_read_b64 v[12:13], v14 offset:8
                                        ; implicit-def: $vgpr16
.LBB145_80:                             ;   in Loop: Header=BB145_2 Depth=1
	s_or_saveexec_b64 s[16:17], s[16:17]
	v_mov_b64_e32 v[14:15], v[10:11]
	s_xor_b64 exec, exec, s[16:17]
	s_cbranch_execz .LBB145_82
; %bb.81:                               ;   in Loop: Header=BB145_2 Depth=1
	ds_read_b64 v[14:15], v16 offset:8
	s_waitcnt lgkmcnt(1)
	v_mov_b64_e32 v[12:13], v[8:9]
.LBB145_82:                             ;   in Loop: Header=BB145_2 Depth=1
	s_or_b64 exec, exec, s[16:17]
	v_add_u32_e32 v17, 1, v90
	v_add_u32_e32 v16, 1, v89
	v_cndmask_b32_e64 v92, v17, v90, s[14:15]
	v_cndmask_b32_e64 v91, v89, v16, s[14:15]
	v_cmp_ge_i32_e64 s[18:19], v92, v50
	s_waitcnt lgkmcnt(0)
	v_cmp_lt_i64_e64 s[20:21], v[14:15], v[12:13]
	v_cmp_lt_i32_e64 s[16:17], v91, v51
	s_or_b64 s[18:19], s[18:19], s[20:21]
	s_and_b64 s[16:17], s[16:17], s[18:19]
	s_xor_b64 s[18:19], s[16:17], -1
                                        ; implicit-def: $vgpr16_vgpr17
	s_and_saveexec_b64 s[20:21], s[18:19]
	s_xor_b64 s[18:19], exec, s[20:21]
	s_cbranch_execz .LBB145_84
; %bb.83:                               ;   in Loop: Header=BB145_2 Depth=1
	v_lshlrev_b32_e32 v16, 3, v92
	ds_read_b64 v[16:17], v16 offset:8
.LBB145_84:                             ;   in Loop: Header=BB145_2 Depth=1
	s_or_saveexec_b64 s[18:19], s[18:19]
	v_mov_b64_e32 v[18:19], v[14:15]
	s_xor_b64 exec, exec, s[18:19]
	s_cbranch_execz .LBB145_86
; %bb.85:                               ;   in Loop: Header=BB145_2 Depth=1
	s_waitcnt lgkmcnt(0)
	v_lshlrev_b32_e32 v16, 3, v91
	ds_read_b64 v[18:19], v16 offset:8
	v_mov_b64_e32 v[16:17], v[12:13]
.LBB145_86:                             ;   in Loop: Header=BB145_2 Depth=1
	s_or_b64 exec, exec, s[18:19]
	v_cndmask_b32_e64 v15, v13, v15, s[16:17]
	v_add_u32_e32 v13, 1, v92
	v_cndmask_b32_e64 v14, v12, v14, s[16:17]
	v_add_u32_e32 v12, 1, v91
	v_cndmask_b32_e64 v13, v13, v92, s[16:17]
	v_cndmask_b32_e64 v12, v91, v12, s[16:17]
	;; [unrolled: 1-line block ×3, first 2 shown]
	v_cmp_ge_i32_e64 s[16:17], v13, v50
	s_waitcnt lgkmcnt(0)
	v_cmp_lt_i64_e64 s[18:19], v[18:19], v[16:17]
	v_cndmask_b32_e64 v93, v9, v11, s[14:15]
	v_cndmask_b32_e64 v92, v8, v10, s[14:15]
	;; [unrolled: 1-line block ×3, first 2 shown]
	v_cmp_lt_i32_e64 s[14:15], v12, v51
	s_or_b64 s[16:17], s[16:17], s[18:19]
	s_and_b64 s[14:15], s[14:15], s[16:17]
	v_cndmask_b32_e64 v9, v13, v12, s[14:15]
	s_barrier
	ds_write2_b64 v78, v[2:3], v[6:7] offset1:1
	ds_write_b64 v78, v[4:5] offset:16
	v_lshlrev_b32_e32 v2, 3, v8
	s_waitcnt lgkmcnt(0)
	s_barrier
	v_lshlrev_b32_e32 v3, 3, v91
	v_lshlrev_b32_e32 v4, 3, v9
	ds_read_b64 v[8:9], v2
	ds_read_b64 v[12:13], v3
	;; [unrolled: 1-line block ×3, first 2 shown]
	v_mov_b32_e32 v89, v73
	v_cndmask_b32_e64 v17, v17, v19, s[14:15]
	v_cndmask_b32_e64 v16, v16, v18, s[14:15]
	s_waitcnt lgkmcnt(0)
	s_barrier
	ds_write2_b64 v78, v[92:93], v[14:15] offset1:1
	ds_write_b64 v78, v[16:17] offset:16
	s_waitcnt lgkmcnt(0)
	s_barrier
	s_and_saveexec_b64 s[16:17], s[12:13]
	s_cbranch_execz .LBB145_90
; %bb.87:                               ;   in Loop: Header=BB145_2 Depth=1
	s_mov_b64 s[18:19], 0
	v_mov_b32_e32 v89, v73
	v_mov_b32_e32 v2, v74
.LBB145_88:                             ;   Parent Loop BB145_2 Depth=1
                                        ; =>  This Inner Loop Header: Depth=2
	v_sub_u32_e32 v3, v2, v89
	v_lshrrev_b32_e32 v4, 31, v3
	v_add_u32_e32 v3, v3, v4
	v_ashrrev_i32_e32 v3, 1, v3
	v_add_u32_e32 v3, v3, v89
	v_xad_u32 v5, v3, -1, v71
	v_lshlrev_b32_e32 v4, 3, v3
	v_lshl_add_u32 v6, v5, 3, v88
	ds_read_b64 v[4:5], v4
	ds_read_b64 v[6:7], v6
	v_add_u32_e32 v14, 1, v3
	s_waitcnt lgkmcnt(0)
	v_cmp_lt_i64_e64 s[14:15], v[6:7], v[4:5]
	s_nop 1
	v_cndmask_b32_e64 v2, v2, v3, s[14:15]
	v_cndmask_b32_e64 v89, v14, v89, s[14:15]
	v_cmp_ge_i32_e64 s[14:15], v89, v2
	s_or_b64 s[18:19], s[14:15], s[18:19]
	s_andn2_b64 exec, exec, s[18:19]
	s_cbranch_execnz .LBB145_88
; %bb.89:                               ;   in Loop: Header=BB145_2 Depth=1
	s_or_b64 exec, exec, s[18:19]
.LBB145_90:                             ;   in Loop: Header=BB145_2 Depth=1
	s_or_b64 exec, exec, s[16:17]
	v_sub_u32_e32 v90, v87, v89
	v_lshlrev_b32_e32 v6, 3, v89
	v_lshlrev_b32_e32 v16, 3, v90
	ds_read_b64 v[2:3], v6
	ds_read_b64 v[14:15], v16
	v_cmp_le_i32_e64 s[16:17], v72, v89
	v_cmp_gt_i32_e64 s[14:15], s33, v90
                                        ; implicit-def: $vgpr4_vgpr5
	s_waitcnt lgkmcnt(0)
	v_cmp_lt_i64_e64 s[18:19], v[14:15], v[2:3]
	s_or_b64 s[16:17], s[16:17], s[18:19]
	s_and_b64 s[14:15], s[14:15], s[16:17]
	s_xor_b64 s[16:17], s[14:15], -1
	s_and_saveexec_b64 s[18:19], s[16:17]
	s_xor_b64 s[16:17], exec, s[18:19]
	s_cbranch_execz .LBB145_92
; %bb.91:                               ;   in Loop: Header=BB145_2 Depth=1
	ds_read_b64 v[4:5], v6 offset:8
                                        ; implicit-def: $vgpr16
.LBB145_92:                             ;   in Loop: Header=BB145_2 Depth=1
	s_or_saveexec_b64 s[16:17], s[16:17]
	v_mov_b64_e32 v[6:7], v[14:15]
	s_xor_b64 exec, exec, s[16:17]
	s_cbranch_execz .LBB145_94
; %bb.93:                               ;   in Loop: Header=BB145_2 Depth=1
	ds_read_b64 v[6:7], v16 offset:8
	s_waitcnt lgkmcnt(1)
	v_mov_b64_e32 v[4:5], v[2:3]
.LBB145_94:                             ;   in Loop: Header=BB145_2 Depth=1
	s_or_b64 exec, exec, s[16:17]
	v_add_u32_e32 v17, 1, v89
	v_add_u32_e32 v16, 1, v90
	v_cndmask_b32_e64 v94, v17, v89, s[14:15]
	v_cndmask_b32_e64 v91, v90, v16, s[14:15]
	v_cmp_ge_i32_e64 s[18:19], v94, v72
	s_waitcnt lgkmcnt(0)
	v_cmp_lt_i64_e64 s[20:21], v[6:7], v[4:5]
	v_cmp_gt_i32_e64 s[16:17], s33, v91
	s_or_b64 s[18:19], s[18:19], s[20:21]
	s_and_b64 s[16:17], s[16:17], s[18:19]
	s_xor_b64 s[18:19], s[16:17], -1
                                        ; implicit-def: $vgpr16_vgpr17
                                        ; implicit-def: $vgpr92
	s_and_saveexec_b64 s[20:21], s[18:19]
	s_xor_b64 s[18:19], exec, s[20:21]
	s_cbranch_execz .LBB145_96
; %bb.95:                               ;   in Loop: Header=BB145_2 Depth=1
	v_lshlrev_b32_e32 v16, 3, v94
	ds_read_b64 v[16:17], v16 offset:8
	v_add_u32_e32 v92, 1, v94
.LBB145_96:                             ;   in Loop: Header=BB145_2 Depth=1
	s_or_saveexec_b64 s[18:19], s[18:19]
	v_mov_b32_e32 v93, v94
	v_mov_b64_e32 v[18:19], v[6:7]
	s_xor_b64 exec, exec, s[18:19]
	s_cbranch_execz .LBB145_1
; %bb.97:                               ;   in Loop: Header=BB145_2 Depth=1
	s_waitcnt lgkmcnt(0)
	v_lshlrev_b32_e32 v17, 3, v91
	ds_read_b64 v[18:19], v17 offset:8
	v_add_u32_e32 v16, 1, v91
	v_mov_b32_e32 v93, v91
	v_mov_b32_e32 v92, v94
	;; [unrolled: 1-line block ×3, first 2 shown]
	v_mov_b64_e32 v[16:17], v[4:5]
	s_branch .LBB145_1
.LBB145_98:
	s_add_u32 s0, s30, s34
	s_addc_u32 s1, s31, s35
	v_lshlrev_b32_e32 v0, 3, v0
	v_mov_b32_e32 v1, 0
	s_waitcnt lgkmcnt(2)
	v_lshl_add_u64 v[2:3], v[2:3], 0, v[10:11]
	s_waitcnt lgkmcnt(0)
	v_lshl_add_u64 v[6:7], v[6:7], 0, v[8:9]
	v_lshl_add_u64 v[8:9], s[0:1], 0, v[0:1]
	;; [unrolled: 1-line block ×3, first 2 shown]
	global_store_dwordx2 v0, v[2:3], s[0:1]
	global_store_dwordx2 v0, v[4:5], s[0:1] offset:2048
	v_add_co_u32_e32 v0, vcc, 0x1000, v8
	s_nop 1
	v_addc_co_u32_e32 v1, vcc, 0, v9, vcc
	global_store_dwordx2 v[0:1], v[6:7], off
	s_endpgm
	.section	.rodata,"a",@progbits
	.p2align	6, 0x0
	.amdhsa_kernel _Z17sort_pairs_kernelIxLj256ELj3EN10test_utils4lessELj10EEvPKT_PS2_T2_
		.amdhsa_group_segment_fixed_size 6152
		.amdhsa_private_segment_fixed_size 0
		.amdhsa_kernarg_size 20
		.amdhsa_user_sgpr_count 2
		.amdhsa_user_sgpr_dispatch_ptr 0
		.amdhsa_user_sgpr_queue_ptr 0
		.amdhsa_user_sgpr_kernarg_segment_ptr 1
		.amdhsa_user_sgpr_dispatch_id 0
		.amdhsa_user_sgpr_kernarg_preload_length 0
		.amdhsa_user_sgpr_kernarg_preload_offset 0
		.amdhsa_user_sgpr_private_segment_size 0
		.amdhsa_uses_dynamic_stack 0
		.amdhsa_enable_private_segment 0
		.amdhsa_system_sgpr_workgroup_id_x 1
		.amdhsa_system_sgpr_workgroup_id_y 0
		.amdhsa_system_sgpr_workgroup_id_z 0
		.amdhsa_system_sgpr_workgroup_info 0
		.amdhsa_system_vgpr_workitem_id 0
		.amdhsa_next_free_vgpr 96
		.amdhsa_next_free_sgpr 38
		.amdhsa_accum_offset 96
		.amdhsa_reserve_vcc 1
		.amdhsa_float_round_mode_32 0
		.amdhsa_float_round_mode_16_64 0
		.amdhsa_float_denorm_mode_32 3
		.amdhsa_float_denorm_mode_16_64 3
		.amdhsa_dx10_clamp 1
		.amdhsa_ieee_mode 1
		.amdhsa_fp16_overflow 0
		.amdhsa_tg_split 0
		.amdhsa_exception_fp_ieee_invalid_op 0
		.amdhsa_exception_fp_denorm_src 0
		.amdhsa_exception_fp_ieee_div_zero 0
		.amdhsa_exception_fp_ieee_overflow 0
		.amdhsa_exception_fp_ieee_underflow 0
		.amdhsa_exception_fp_ieee_inexact 0
		.amdhsa_exception_int_div_zero 0
	.end_amdhsa_kernel
	.section	.text._Z17sort_pairs_kernelIxLj256ELj3EN10test_utils4lessELj10EEvPKT_PS2_T2_,"axG",@progbits,_Z17sort_pairs_kernelIxLj256ELj3EN10test_utils4lessELj10EEvPKT_PS2_T2_,comdat
.Lfunc_end145:
	.size	_Z17sort_pairs_kernelIxLj256ELj3EN10test_utils4lessELj10EEvPKT_PS2_T2_, .Lfunc_end145-_Z17sort_pairs_kernelIxLj256ELj3EN10test_utils4lessELj10EEvPKT_PS2_T2_
                                        ; -- End function
	.section	.AMDGPU.csdata,"",@progbits
; Kernel info:
; codeLenInByte = 6468
; NumSgprs: 44
; NumVgprs: 96
; NumAgprs: 0
; TotalNumVgprs: 96
; ScratchSize: 0
; MemoryBound: 0
; FloatMode: 240
; IeeeMode: 1
; LDSByteSize: 6152 bytes/workgroup (compile time only)
; SGPRBlocks: 5
; VGPRBlocks: 11
; NumSGPRsForWavesPerEU: 44
; NumVGPRsForWavesPerEU: 96
; AccumOffset: 96
; Occupancy: 5
; WaveLimiterHint : 1
; COMPUTE_PGM_RSRC2:SCRATCH_EN: 0
; COMPUTE_PGM_RSRC2:USER_SGPR: 2
; COMPUTE_PGM_RSRC2:TRAP_HANDLER: 0
; COMPUTE_PGM_RSRC2:TGID_X_EN: 1
; COMPUTE_PGM_RSRC2:TGID_Y_EN: 0
; COMPUTE_PGM_RSRC2:TGID_Z_EN: 0
; COMPUTE_PGM_RSRC2:TIDIG_COMP_CNT: 0
; COMPUTE_PGM_RSRC3_GFX90A:ACCUM_OFFSET: 23
; COMPUTE_PGM_RSRC3_GFX90A:TG_SPLIT: 0
	.section	.text._Z16sort_keys_kernelIxLj256ELj4EN10test_utils4lessELj10EEvPKT_PS2_T2_,"axG",@progbits,_Z16sort_keys_kernelIxLj256ELj4EN10test_utils4lessELj10EEvPKT_PS2_T2_,comdat
	.protected	_Z16sort_keys_kernelIxLj256ELj4EN10test_utils4lessELj10EEvPKT_PS2_T2_ ; -- Begin function _Z16sort_keys_kernelIxLj256ELj4EN10test_utils4lessELj10EEvPKT_PS2_T2_
	.globl	_Z16sort_keys_kernelIxLj256ELj4EN10test_utils4lessELj10EEvPKT_PS2_T2_
	.p2align	8
	.type	_Z16sort_keys_kernelIxLj256ELj4EN10test_utils4lessELj10EEvPKT_PS2_T2_,@function
_Z16sort_keys_kernelIxLj256ELj4EN10test_utils4lessELj10EEvPKT_PS2_T2_: ; @_Z16sort_keys_kernelIxLj256ELj4EN10test_utils4lessELj10EEvPKT_PS2_T2_
; %bb.0:
	s_load_dwordx4 s[24:27], s[0:1], 0x0
	s_lshl_b32 s28, s2, 10
	s_mov_b32 s29, 0
	s_lshl_b64 s[30:31], s[28:29], 3
	v_mov_b32_e32 v11, 0
	s_waitcnt lgkmcnt(0)
	s_add_u32 s0, s24, s30
	s_addc_u32 s1, s25, s31
	v_lshlrev_b32_e32 v10, 3, v0
	v_lshl_add_u64 v[2:3], s[0:1], 0, v[10:11]
	s_movk_i32 s2, 0x1000
	v_add_co_u32_e32 v12, vcc, s2, v2
	v_lshlrev_b32_e32 v1, 2, v0
	s_nop 0
	v_addc_co_u32_e32 v13, vcc, 0, v3, vcc
	global_load_dwordx2 v[2:3], v[12:13], off
	global_load_dwordx2 v[8:9], v10, s[0:1] offset:2048
	global_load_dwordx2 v[4:5], v10, s[0:1]
	global_load_dwordx2 v[6:7], v[12:13], off offset:2048
	v_and_b32_e32 v19, 0x3f8, v1
	v_or_b32_e32 v21, 4, v19
	v_add_u32_e32 v22, 8, v19
	v_and_b32_e32 v28, 0x3f0, v1
	v_and_b32_e32 v20, 4, v1
	v_sub_u32_e32 v11, v22, v21
	v_or_b32_e32 v30, 8, v28
	v_add_u32_e32 v31, 16, v28
	v_and_b32_e32 v37, 0x3e0, v1
	v_sub_u32_e32 v10, v21, v19
	v_sub_u32_e32 v12, v20, v11
	v_cmp_ge_i32_e32 vcc, v20, v11
	v_and_b32_e32 v29, 12, v1
	v_sub_u32_e32 v11, v31, v30
	v_or_b32_e32 v39, 16, v37
	v_add_u32_e32 v40, 32, v37
	v_and_b32_e32 v46, 0x3c0, v1
	v_cndmask_b32_e32 v25, 0, v12, vcc
	v_min_i32_e32 v26, v20, v10
	v_sub_u32_e32 v10, v30, v28
	v_sub_u32_e32 v12, v29, v11
	v_cmp_ge_i32_e64 s[0:1], v29, v11
	v_and_b32_e32 v38, 28, v1
	v_sub_u32_e32 v11, v40, v39
	v_or_b32_e32 v48, 32, v46
	v_add_u32_e32 v49, 64, v46
	v_and_b32_e32 v54, 0x380, v1
	v_cndmask_b32_e64 v34, 0, v12, s[0:1]
	v_min_i32_e32 v35, v29, v10
	v_sub_u32_e32 v10, v39, v37
	v_sub_u32_e32 v12, v38, v11
	v_cmp_ge_i32_e64 s[2:3], v38, v11
	v_and_b32_e32 v47, 60, v1
	v_sub_u32_e32 v11, v49, v48
	v_or_b32_e32 v56, 64, v54
	v_add_u32_e32 v57, 0x80, v54
	v_and_b32_e32 v60, 0x300, v1
	v_cndmask_b32_e64 v43, 0, v12, s[2:3]
	;; [unrolled: 10-line block ×3, first 2 shown]
	v_min_i32_e32 v53, v47, v10
	v_sub_u32_e32 v10, v56, v54
	v_sub_u32_e32 v12, v55, v11
	v_cmp_ge_i32_e64 s[6:7], v55, v11
	v_and_b32_e32 v61, 0xfc, v1
	v_sub_u32_e32 v11, v63, v62
	v_or_b32_e32 v69, 0x100, v67
	v_add_u32_e32 v70, 0x200, v67
	v_cndmask_b32_e64 v58, 0, v12, s[6:7]
	v_min_i32_e32 v59, v55, v10
	v_sub_u32_e32 v10, v62, v60
	v_sub_u32_e32 v12, v61, v11
	v_cmp_ge_i32_e64 s[8:9], v61, v11
	v_and_b32_e32 v68, 0x1fc, v1
	v_sub_u32_e32 v11, v70, v69
	v_cndmask_b32_e64 v64, 0, v12, s[8:9]
	v_min_i32_e32 v65, v61, v10
	v_mov_b32_e32 v66, 0x200
	v_sub_u32_e32 v10, v69, v67
	v_sub_u32_e32 v12, v68, v11
	v_cmp_ge_i32_e64 s[10:11], v68, v11
	v_min_i32_e32 v72, v68, v10
	v_sub_u32_e64 v73, v1, v66 clamp
	v_cndmask_b32_e64 v71, 0, v12, s[10:11]
	v_min_i32_e32 v74, 0x200, v1
	v_lshlrev_b32_e32 v18, 5, v0
	v_lshlrev_b32_e32 v23, 3, v19
	;; [unrolled: 1-line block ×3, first 2 shown]
	v_cmp_lt_i32_e32 vcc, v25, v26
	v_add_u32_e32 v27, v21, v20
	v_lshlrev_b32_e32 v32, 3, v28
	v_lshlrev_b32_e32 v33, 3, v30
	v_cmp_lt_i32_e64 s[0:1], v34, v35
	v_add_u32_e32 v36, v30, v29
	v_lshlrev_b32_e32 v41, 3, v37
	v_lshlrev_b32_e32 v42, 3, v39
	v_cmp_lt_i32_e64 s[2:3], v43, v44
	v_add_u32_e32 v45, v39, v38
	v_lshlrev_b32_e32 v50, 3, v46
	v_lshlrev_b32_e32 v51, 3, v48
	v_cmp_lt_i32_e64 s[4:5], v52, v53
	v_cmp_lt_i32_e64 s[6:7], v58, v59
	v_cmp_lt_i32_e64 s[8:9], v64, v65
	;; [unrolled: 1-line block ×4, first 2 shown]
	s_movk_i32 s24, 0x400
	v_add_u32_e32 v75, v48, v47
	v_lshlrev_b32_e32 v76, 3, v54
	v_lshlrev_b32_e32 v77, 3, v56
	v_add_u32_e32 v78, v56, v55
	v_lshlrev_b32_e32 v79, 3, v60
	v_lshlrev_b32_e32 v80, 3, v62
	;; [unrolled: 3-line block ×3, first 2 shown]
	v_add_u32_e32 v84, v69, v68
	v_mov_b32_e32 v85, 0x1000
	v_add_u32_e32 v86, 0x200, v1
	s_branch .LBB146_2
.LBB146_1:                              ;   in Loop: Header=BB146_2 Depth=1
	s_or_b64 exec, exec, s[20:21]
	v_cndmask_b32_e64 v5, v3, v5, s[14:15]
	v_cndmask_b32_e64 v4, v2, v4, s[14:15]
	;; [unrolled: 1-line block ×6, first 2 shown]
	v_cmp_ge_i32_e64 s[16:17], v88, v66
	s_waitcnt lgkmcnt(0)
	v_cmp_lt_i64_e64 s[18:19], v[16:17], v[14:15]
	v_cmp_gt_i32_e64 s[14:15], s24, v87
	s_or_b64 s[16:17], s[16:17], s[18:19]
	s_and_b64 s[14:15], s[14:15], s[16:17]
	s_add_i32 s29, s29, 1
	v_cndmask_b32_e64 v7, v15, v17, s[14:15]
	s_cmp_eq_u32 s29, 10
	v_cndmask_b32_e64 v6, v14, v16, s[14:15]
	s_cbranch_scc1 .LBB146_130
.LBB146_2:                              ; =>This Loop Header: Depth=1
                                        ;     Child Loop BB146_4 Depth 2
                                        ;     Child Loop BB146_20 Depth 2
	;; [unrolled: 1-line block ×8, first 2 shown]
	s_waitcnt vmcnt(1)
	v_cmp_lt_i64_e64 s[14:15], v[8:9], v[4:5]
	s_barrier
	s_nop 0
	v_cndmask_b32_e64 v11, v5, v9, s[14:15]
	v_cndmask_b32_e64 v10, v4, v8, s[14:15]
	;; [unrolled: 1-line block ×4, first 2 shown]
	v_cmp_gt_i64_e64 s[14:15], v[8:9], v[4:5]
	s_nop 1
	v_cndmask_b32_e64 v5, v5, v9, s[14:15]
	v_cndmask_b32_e64 v4, v4, v8, s[14:15]
	s_waitcnt vmcnt(0)
	v_cmp_lt_i64_e64 s[14:15], v[6:7], v[2:3]
	s_nop 1
	v_cndmask_b32_e64 v9, v3, v7, s[14:15]
	v_cndmask_b32_e64 v8, v2, v6, s[14:15]
	;; [unrolled: 1-line block ×4, first 2 shown]
	v_cmp_gt_i64_e64 s[14:15], v[6:7], v[2:3]
	v_cmp_gt_i64_e64 s[16:17], v[8:9], v[4:5]
	s_nop 0
	v_cndmask_b32_e64 v3, v3, v7, s[14:15]
	v_cndmask_b32_e64 v2, v2, v6, s[14:15]
	v_cmp_lt_i64_e64 s[14:15], v[8:9], v[4:5]
	v_cndmask_b32_e64 v87, v4, v8, s[16:17]
	v_cndmask_b32_e64 v88, v5, v9, s[16:17]
	;; [unrolled: 1-line block ×8, first 2 shown]
	v_cmp_lt_i64_e64 s[14:15], v[8:9], v[10:11]
	s_nop 1
	v_cndmask_b32_e64 v7, v11, v90, s[14:15]
	v_cndmask_b32_e64 v6, v10, v89, s[14:15]
	;; [unrolled: 1-line block ×6, first 2 shown]
	v_cmp_gt_i64_e64 s[14:15], v[4:5], v[2:3]
	s_nop 1
	v_cndmask_b32_e64 v10, v17, v2, s[14:15]
	v_cndmask_b32_e64 v11, v16, v3, s[14:15]
	;; [unrolled: 1-line block ×6, first 2 shown]
	v_cmp_lt_i64_e64 s[14:15], v[2:3], v[8:9]
	s_nop 1
	v_cndmask_b32_e64 v3, v13, v3, s[14:15]
	v_cndmask_b32_e64 v2, v12, v2, s[14:15]
	;; [unrolled: 1-line block ×4, first 2 shown]
	ds_write2_b64 v18, v[6:7], v[2:3] offset1:1
	ds_write2_b64 v18, v[8:9], v[4:5] offset0:2 offset1:3
	v_mov_b32_e32 v6, v25
	s_waitcnt lgkmcnt(0)
	s_barrier
	s_and_saveexec_b64 s[16:17], vcc
	s_cbranch_execz .LBB146_6
; %bb.3:                                ;   in Loop: Header=BB146_2 Depth=1
	s_mov_b64 s[18:19], 0
	v_mov_b32_e32 v6, v25
	v_mov_b32_e32 v2, v26
.LBB146_4:                              ;   Parent Loop BB146_2 Depth=1
                                        ; =>  This Inner Loop Header: Depth=2
	v_sub_u32_e32 v3, v2, v6
	v_lshrrev_b32_e32 v4, 31, v3
	v_add_u32_e32 v3, v3, v4
	v_ashrrev_i32_e32 v3, 1, v3
	v_add_u32_e32 v3, v3, v6
	v_lshl_add_u32 v4, v3, 3, v23
	v_xad_u32 v5, v3, -1, v20
	v_lshl_add_u32 v7, v5, 3, v24
	ds_read_b64 v[4:5], v4
	ds_read_b64 v[8:9], v7
	v_add_u32_e32 v7, 1, v3
	s_waitcnt lgkmcnt(0)
	v_cmp_lt_i64_e64 s[14:15], v[8:9], v[4:5]
	s_nop 1
	v_cndmask_b32_e64 v2, v2, v3, s[14:15]
	v_cndmask_b32_e64 v6, v7, v6, s[14:15]
	v_cmp_ge_i32_e64 s[14:15], v6, v2
	s_or_b64 s[18:19], s[14:15], s[18:19]
	s_andn2_b64 exec, exec, s[18:19]
	s_cbranch_execnz .LBB146_4
; %bb.5:                                ;   in Loop: Header=BB146_2 Depth=1
	s_or_b64 exec, exec, s[18:19]
.LBB146_6:                              ;   in Loop: Header=BB146_2 Depth=1
	s_or_b64 exec, exec, s[16:17]
	v_sub_u32_e32 v10, v27, v6
	v_lshl_add_u32 v8, v6, 3, v23
	v_lshlrev_b32_e32 v12, 3, v10
	ds_read_b64 v[2:3], v8
	ds_read_b64 v[4:5], v12
	v_add_u32_e32 v11, v6, v19
	v_cmp_le_i32_e64 s[16:17], v21, v11
	v_cmp_gt_i32_e64 s[14:15], v22, v10
                                        ; implicit-def: $vgpr6_vgpr7
	s_waitcnt lgkmcnt(0)
	v_cmp_lt_i64_e64 s[18:19], v[4:5], v[2:3]
	s_or_b64 s[16:17], s[16:17], s[18:19]
	s_and_b64 s[14:15], s[14:15], s[16:17]
	s_xor_b64 s[16:17], s[14:15], -1
	s_and_saveexec_b64 s[18:19], s[16:17]
	s_xor_b64 s[16:17], exec, s[18:19]
	s_cbranch_execz .LBB146_8
; %bb.7:                                ;   in Loop: Header=BB146_2 Depth=1
	ds_read_b64 v[6:7], v8 offset:8
                                        ; implicit-def: $vgpr12
.LBB146_8:                              ;   in Loop: Header=BB146_2 Depth=1
	s_or_saveexec_b64 s[16:17], s[16:17]
	v_mov_b64_e32 v[8:9], v[4:5]
	s_xor_b64 exec, exec, s[16:17]
	s_cbranch_execz .LBB146_10
; %bb.9:                                ;   in Loop: Header=BB146_2 Depth=1
	ds_read_b64 v[8:9], v12 offset:8
	s_waitcnt lgkmcnt(1)
	v_mov_b64_e32 v[6:7], v[2:3]
.LBB146_10:                             ;   in Loop: Header=BB146_2 Depth=1
	s_or_b64 exec, exec, s[16:17]
	v_add_u32_e32 v13, 1, v11
	v_add_u32_e32 v12, 1, v10
	v_cndmask_b32_e64 v15, v13, v11, s[14:15]
	v_cndmask_b32_e64 v14, v10, v12, s[14:15]
	v_cmp_ge_i32_e64 s[18:19], v15, v21
	s_waitcnt lgkmcnt(0)
	v_cmp_lt_i64_e64 s[20:21], v[8:9], v[6:7]
	v_cmp_lt_i32_e64 s[16:17], v14, v22
	s_or_b64 s[18:19], s[18:19], s[20:21]
	s_and_b64 s[16:17], s[16:17], s[18:19]
	s_xor_b64 s[18:19], s[16:17], -1
                                        ; implicit-def: $vgpr10_vgpr11
	s_and_saveexec_b64 s[20:21], s[18:19]
	s_xor_b64 s[18:19], exec, s[20:21]
	s_cbranch_execz .LBB146_12
; %bb.11:                               ;   in Loop: Header=BB146_2 Depth=1
	v_lshlrev_b32_e32 v10, 3, v15
	ds_read_b64 v[10:11], v10 offset:8
.LBB146_12:                             ;   in Loop: Header=BB146_2 Depth=1
	s_or_saveexec_b64 s[18:19], s[18:19]
	v_mov_b64_e32 v[12:13], v[8:9]
	s_xor_b64 exec, exec, s[18:19]
	s_cbranch_execz .LBB146_14
; %bb.13:                               ;   in Loop: Header=BB146_2 Depth=1
	s_waitcnt lgkmcnt(0)
	v_lshlrev_b32_e32 v10, 3, v14
	ds_read_b64 v[12:13], v10 offset:8
	v_mov_b64_e32 v[10:11], v[6:7]
.LBB146_14:                             ;   in Loop: Header=BB146_2 Depth=1
	s_or_b64 exec, exec, s[18:19]
	v_add_u32_e32 v17, 1, v15
	v_add_u32_e32 v16, 1, v14
	v_cndmask_b32_e64 v88, v17, v15, s[16:17]
	v_cndmask_b32_e64 v87, v14, v16, s[16:17]
	v_cmp_ge_i32_e64 s[20:21], v88, v21
	s_waitcnt lgkmcnt(0)
	v_cmp_lt_i64_e64 s[22:23], v[12:13], v[10:11]
	v_cmp_lt_i32_e64 s[18:19], v87, v22
	s_or_b64 s[20:21], s[20:21], s[22:23]
	s_and_b64 s[18:19], s[18:19], s[20:21]
	s_xor_b64 s[20:21], s[18:19], -1
                                        ; implicit-def: $vgpr14_vgpr15
	s_and_saveexec_b64 s[22:23], s[20:21]
	s_xor_b64 s[20:21], exec, s[22:23]
	s_cbranch_execz .LBB146_16
; %bb.15:                               ;   in Loop: Header=BB146_2 Depth=1
	v_lshlrev_b32_e32 v14, 3, v88
	ds_read_b64 v[14:15], v14 offset:8
.LBB146_16:                             ;   in Loop: Header=BB146_2 Depth=1
	s_or_saveexec_b64 s[20:21], s[20:21]
	v_mov_b64_e32 v[16:17], v[12:13]
	s_xor_b64 exec, exec, s[20:21]
	s_cbranch_execz .LBB146_18
; %bb.17:                               ;   in Loop: Header=BB146_2 Depth=1
	s_waitcnt lgkmcnt(0)
	v_lshlrev_b32_e32 v14, 3, v87
	ds_read_b64 v[16:17], v14 offset:8
	v_mov_b64_e32 v[14:15], v[10:11]
.LBB146_18:                             ;   in Loop: Header=BB146_2 Depth=1
	s_or_b64 exec, exec, s[20:21]
	v_cndmask_b32_e64 v11, v11, v13, s[18:19]
	v_add_u32_e32 v13, 1, v88
	v_cndmask_b32_e64 v10, v10, v12, s[18:19]
	v_add_u32_e32 v12, 1, v87
	v_cndmask_b32_e64 v13, v13, v88, s[18:19]
	v_cndmask_b32_e64 v12, v87, v12, s[18:19]
	;; [unrolled: 1-line block ×4, first 2 shown]
	v_cmp_ge_i32_e64 s[16:17], v13, v21
	s_waitcnt lgkmcnt(0)
	v_cmp_lt_i64_e64 s[18:19], v[16:17], v[14:15]
	v_cndmask_b32_e64 v3, v3, v5, s[14:15]
	v_cndmask_b32_e64 v2, v2, v4, s[14:15]
	v_cmp_lt_i32_e64 s[14:15], v12, v22
	s_or_b64 s[16:17], s[16:17], s[18:19]
	s_and_b64 s[14:15], s[14:15], s[16:17]
	v_cndmask_b32_e64 v5, v15, v17, s[14:15]
	v_cndmask_b32_e64 v4, v14, v16, s[14:15]
	s_barrier
	ds_write2_b64 v18, v[2:3], v[6:7] offset1:1
	ds_write2_b64 v18, v[10:11], v[4:5] offset0:2 offset1:3
	v_mov_b32_e32 v6, v34
	s_waitcnt lgkmcnt(0)
	s_barrier
	s_and_saveexec_b64 s[16:17], s[0:1]
	s_cbranch_execz .LBB146_22
; %bb.19:                               ;   in Loop: Header=BB146_2 Depth=1
	s_mov_b64 s[18:19], 0
	v_mov_b32_e32 v6, v34
	v_mov_b32_e32 v2, v35
.LBB146_20:                             ;   Parent Loop BB146_2 Depth=1
                                        ; =>  This Inner Loop Header: Depth=2
	v_sub_u32_e32 v3, v2, v6
	v_lshrrev_b32_e32 v4, 31, v3
	v_add_u32_e32 v3, v3, v4
	v_ashrrev_i32_e32 v3, 1, v3
	v_add_u32_e32 v3, v3, v6
	v_lshl_add_u32 v4, v3, 3, v32
	v_xad_u32 v5, v3, -1, v29
	v_lshl_add_u32 v7, v5, 3, v33
	ds_read_b64 v[4:5], v4
	ds_read_b64 v[8:9], v7
	v_add_u32_e32 v7, 1, v3
	s_waitcnt lgkmcnt(0)
	v_cmp_lt_i64_e64 s[14:15], v[8:9], v[4:5]
	s_nop 1
	v_cndmask_b32_e64 v2, v2, v3, s[14:15]
	v_cndmask_b32_e64 v6, v7, v6, s[14:15]
	v_cmp_ge_i32_e64 s[14:15], v6, v2
	s_or_b64 s[18:19], s[14:15], s[18:19]
	s_andn2_b64 exec, exec, s[18:19]
	s_cbranch_execnz .LBB146_20
; %bb.21:                               ;   in Loop: Header=BB146_2 Depth=1
	s_or_b64 exec, exec, s[18:19]
.LBB146_22:                             ;   in Loop: Header=BB146_2 Depth=1
	s_or_b64 exec, exec, s[16:17]
	v_sub_u32_e32 v10, v36, v6
	v_lshl_add_u32 v8, v6, 3, v32
	v_lshlrev_b32_e32 v12, 3, v10
	ds_read_b64 v[2:3], v8
	ds_read_b64 v[4:5], v12
	v_add_u32_e32 v11, v6, v28
	v_cmp_le_i32_e64 s[16:17], v30, v11
	v_cmp_gt_i32_e64 s[14:15], v31, v10
                                        ; implicit-def: $vgpr6_vgpr7
	s_waitcnt lgkmcnt(0)
	v_cmp_lt_i64_e64 s[18:19], v[4:5], v[2:3]
	s_or_b64 s[16:17], s[16:17], s[18:19]
	s_and_b64 s[14:15], s[14:15], s[16:17]
	s_xor_b64 s[16:17], s[14:15], -1
	s_and_saveexec_b64 s[18:19], s[16:17]
	s_xor_b64 s[16:17], exec, s[18:19]
	s_cbranch_execz .LBB146_24
; %bb.23:                               ;   in Loop: Header=BB146_2 Depth=1
	ds_read_b64 v[6:7], v8 offset:8
                                        ; implicit-def: $vgpr12
.LBB146_24:                             ;   in Loop: Header=BB146_2 Depth=1
	s_or_saveexec_b64 s[16:17], s[16:17]
	v_mov_b64_e32 v[8:9], v[4:5]
	s_xor_b64 exec, exec, s[16:17]
	s_cbranch_execz .LBB146_26
; %bb.25:                               ;   in Loop: Header=BB146_2 Depth=1
	ds_read_b64 v[8:9], v12 offset:8
	s_waitcnt lgkmcnt(1)
	v_mov_b64_e32 v[6:7], v[2:3]
.LBB146_26:                             ;   in Loop: Header=BB146_2 Depth=1
	s_or_b64 exec, exec, s[16:17]
	v_add_u32_e32 v13, 1, v11
	v_add_u32_e32 v12, 1, v10
	v_cndmask_b32_e64 v15, v13, v11, s[14:15]
	v_cndmask_b32_e64 v14, v10, v12, s[14:15]
	v_cmp_ge_i32_e64 s[18:19], v15, v30
	s_waitcnt lgkmcnt(0)
	v_cmp_lt_i64_e64 s[20:21], v[8:9], v[6:7]
	v_cmp_lt_i32_e64 s[16:17], v14, v31
	s_or_b64 s[18:19], s[18:19], s[20:21]
	s_and_b64 s[16:17], s[16:17], s[18:19]
	s_xor_b64 s[18:19], s[16:17], -1
                                        ; implicit-def: $vgpr10_vgpr11
	s_and_saveexec_b64 s[20:21], s[18:19]
	s_xor_b64 s[18:19], exec, s[20:21]
	s_cbranch_execz .LBB146_28
; %bb.27:                               ;   in Loop: Header=BB146_2 Depth=1
	v_lshlrev_b32_e32 v10, 3, v15
	ds_read_b64 v[10:11], v10 offset:8
.LBB146_28:                             ;   in Loop: Header=BB146_2 Depth=1
	s_or_saveexec_b64 s[18:19], s[18:19]
	v_mov_b64_e32 v[12:13], v[8:9]
	s_xor_b64 exec, exec, s[18:19]
	s_cbranch_execz .LBB146_30
; %bb.29:                               ;   in Loop: Header=BB146_2 Depth=1
	s_waitcnt lgkmcnt(0)
	v_lshlrev_b32_e32 v10, 3, v14
	ds_read_b64 v[12:13], v10 offset:8
	v_mov_b64_e32 v[10:11], v[6:7]
.LBB146_30:                             ;   in Loop: Header=BB146_2 Depth=1
	s_or_b64 exec, exec, s[18:19]
	v_add_u32_e32 v17, 1, v15
	v_add_u32_e32 v16, 1, v14
	v_cndmask_b32_e64 v88, v17, v15, s[16:17]
	v_cndmask_b32_e64 v87, v14, v16, s[16:17]
	v_cmp_ge_i32_e64 s[20:21], v88, v30
	s_waitcnt lgkmcnt(0)
	v_cmp_lt_i64_e64 s[22:23], v[12:13], v[10:11]
	v_cmp_lt_i32_e64 s[18:19], v87, v31
	s_or_b64 s[20:21], s[20:21], s[22:23]
	s_and_b64 s[18:19], s[18:19], s[20:21]
	s_xor_b64 s[20:21], s[18:19], -1
                                        ; implicit-def: $vgpr14_vgpr15
	s_and_saveexec_b64 s[22:23], s[20:21]
	s_xor_b64 s[20:21], exec, s[22:23]
	s_cbranch_execz .LBB146_32
; %bb.31:                               ;   in Loop: Header=BB146_2 Depth=1
	v_lshlrev_b32_e32 v14, 3, v88
	ds_read_b64 v[14:15], v14 offset:8
.LBB146_32:                             ;   in Loop: Header=BB146_2 Depth=1
	s_or_saveexec_b64 s[20:21], s[20:21]
	v_mov_b64_e32 v[16:17], v[12:13]
	s_xor_b64 exec, exec, s[20:21]
	s_cbranch_execz .LBB146_34
; %bb.33:                               ;   in Loop: Header=BB146_2 Depth=1
	s_waitcnt lgkmcnt(0)
	v_lshlrev_b32_e32 v14, 3, v87
	ds_read_b64 v[16:17], v14 offset:8
	v_mov_b64_e32 v[14:15], v[10:11]
.LBB146_34:                             ;   in Loop: Header=BB146_2 Depth=1
	s_or_b64 exec, exec, s[20:21]
	v_cndmask_b32_e64 v11, v11, v13, s[18:19]
	v_add_u32_e32 v13, 1, v88
	v_cndmask_b32_e64 v10, v10, v12, s[18:19]
	v_add_u32_e32 v12, 1, v87
	v_cndmask_b32_e64 v13, v13, v88, s[18:19]
	v_cndmask_b32_e64 v12, v87, v12, s[18:19]
	;; [unrolled: 1-line block ×4, first 2 shown]
	v_cmp_ge_i32_e64 s[16:17], v13, v30
	s_waitcnt lgkmcnt(0)
	v_cmp_lt_i64_e64 s[18:19], v[16:17], v[14:15]
	v_cndmask_b32_e64 v3, v3, v5, s[14:15]
	v_cndmask_b32_e64 v2, v2, v4, s[14:15]
	v_cmp_lt_i32_e64 s[14:15], v12, v31
	s_or_b64 s[16:17], s[16:17], s[18:19]
	s_and_b64 s[14:15], s[14:15], s[16:17]
	v_cndmask_b32_e64 v5, v15, v17, s[14:15]
	v_cndmask_b32_e64 v4, v14, v16, s[14:15]
	s_barrier
	ds_write2_b64 v18, v[2:3], v[6:7] offset1:1
	ds_write2_b64 v18, v[10:11], v[4:5] offset0:2 offset1:3
	v_mov_b32_e32 v6, v43
	s_waitcnt lgkmcnt(0)
	s_barrier
	s_and_saveexec_b64 s[16:17], s[2:3]
	s_cbranch_execz .LBB146_38
; %bb.35:                               ;   in Loop: Header=BB146_2 Depth=1
	s_mov_b64 s[18:19], 0
	v_mov_b32_e32 v6, v43
	v_mov_b32_e32 v2, v44
.LBB146_36:                             ;   Parent Loop BB146_2 Depth=1
                                        ; =>  This Inner Loop Header: Depth=2
	v_sub_u32_e32 v3, v2, v6
	v_lshrrev_b32_e32 v4, 31, v3
	v_add_u32_e32 v3, v3, v4
	v_ashrrev_i32_e32 v3, 1, v3
	v_add_u32_e32 v3, v3, v6
	v_lshl_add_u32 v4, v3, 3, v41
	v_xad_u32 v5, v3, -1, v38
	v_lshl_add_u32 v7, v5, 3, v42
	ds_read_b64 v[4:5], v4
	ds_read_b64 v[8:9], v7
	v_add_u32_e32 v7, 1, v3
	s_waitcnt lgkmcnt(0)
	v_cmp_lt_i64_e64 s[14:15], v[8:9], v[4:5]
	s_nop 1
	v_cndmask_b32_e64 v2, v2, v3, s[14:15]
	v_cndmask_b32_e64 v6, v7, v6, s[14:15]
	v_cmp_ge_i32_e64 s[14:15], v6, v2
	s_or_b64 s[18:19], s[14:15], s[18:19]
	s_andn2_b64 exec, exec, s[18:19]
	s_cbranch_execnz .LBB146_36
; %bb.37:                               ;   in Loop: Header=BB146_2 Depth=1
	s_or_b64 exec, exec, s[18:19]
.LBB146_38:                             ;   in Loop: Header=BB146_2 Depth=1
	s_or_b64 exec, exec, s[16:17]
	v_sub_u32_e32 v10, v45, v6
	v_lshl_add_u32 v8, v6, 3, v41
	v_lshlrev_b32_e32 v12, 3, v10
	ds_read_b64 v[2:3], v8
	ds_read_b64 v[4:5], v12
	v_add_u32_e32 v11, v6, v37
	v_cmp_le_i32_e64 s[16:17], v39, v11
	v_cmp_gt_i32_e64 s[14:15], v40, v10
                                        ; implicit-def: $vgpr6_vgpr7
	s_waitcnt lgkmcnt(0)
	v_cmp_lt_i64_e64 s[18:19], v[4:5], v[2:3]
	s_or_b64 s[16:17], s[16:17], s[18:19]
	s_and_b64 s[14:15], s[14:15], s[16:17]
	s_xor_b64 s[16:17], s[14:15], -1
	s_and_saveexec_b64 s[18:19], s[16:17]
	s_xor_b64 s[16:17], exec, s[18:19]
	s_cbranch_execz .LBB146_40
; %bb.39:                               ;   in Loop: Header=BB146_2 Depth=1
	ds_read_b64 v[6:7], v8 offset:8
                                        ; implicit-def: $vgpr12
.LBB146_40:                             ;   in Loop: Header=BB146_2 Depth=1
	s_or_saveexec_b64 s[16:17], s[16:17]
	v_mov_b64_e32 v[8:9], v[4:5]
	s_xor_b64 exec, exec, s[16:17]
	s_cbranch_execz .LBB146_42
; %bb.41:                               ;   in Loop: Header=BB146_2 Depth=1
	ds_read_b64 v[8:9], v12 offset:8
	s_waitcnt lgkmcnt(1)
	v_mov_b64_e32 v[6:7], v[2:3]
.LBB146_42:                             ;   in Loop: Header=BB146_2 Depth=1
	s_or_b64 exec, exec, s[16:17]
	v_add_u32_e32 v13, 1, v11
	v_add_u32_e32 v12, 1, v10
	v_cndmask_b32_e64 v15, v13, v11, s[14:15]
	v_cndmask_b32_e64 v14, v10, v12, s[14:15]
	v_cmp_ge_i32_e64 s[18:19], v15, v39
	s_waitcnt lgkmcnt(0)
	v_cmp_lt_i64_e64 s[20:21], v[8:9], v[6:7]
	v_cmp_lt_i32_e64 s[16:17], v14, v40
	s_or_b64 s[18:19], s[18:19], s[20:21]
	s_and_b64 s[16:17], s[16:17], s[18:19]
	s_xor_b64 s[18:19], s[16:17], -1
                                        ; implicit-def: $vgpr10_vgpr11
	s_and_saveexec_b64 s[20:21], s[18:19]
	s_xor_b64 s[18:19], exec, s[20:21]
	s_cbranch_execz .LBB146_44
; %bb.43:                               ;   in Loop: Header=BB146_2 Depth=1
	v_lshlrev_b32_e32 v10, 3, v15
	ds_read_b64 v[10:11], v10 offset:8
.LBB146_44:                             ;   in Loop: Header=BB146_2 Depth=1
	s_or_saveexec_b64 s[18:19], s[18:19]
	v_mov_b64_e32 v[12:13], v[8:9]
	s_xor_b64 exec, exec, s[18:19]
	s_cbranch_execz .LBB146_46
; %bb.45:                               ;   in Loop: Header=BB146_2 Depth=1
	s_waitcnt lgkmcnt(0)
	v_lshlrev_b32_e32 v10, 3, v14
	ds_read_b64 v[12:13], v10 offset:8
	v_mov_b64_e32 v[10:11], v[6:7]
.LBB146_46:                             ;   in Loop: Header=BB146_2 Depth=1
	s_or_b64 exec, exec, s[18:19]
	v_add_u32_e32 v17, 1, v15
	v_add_u32_e32 v16, 1, v14
	v_cndmask_b32_e64 v88, v17, v15, s[16:17]
	v_cndmask_b32_e64 v87, v14, v16, s[16:17]
	v_cmp_ge_i32_e64 s[20:21], v88, v39
	s_waitcnt lgkmcnt(0)
	v_cmp_lt_i64_e64 s[22:23], v[12:13], v[10:11]
	v_cmp_lt_i32_e64 s[18:19], v87, v40
	s_or_b64 s[20:21], s[20:21], s[22:23]
	s_and_b64 s[18:19], s[18:19], s[20:21]
	s_xor_b64 s[20:21], s[18:19], -1
                                        ; implicit-def: $vgpr14_vgpr15
	s_and_saveexec_b64 s[22:23], s[20:21]
	s_xor_b64 s[20:21], exec, s[22:23]
	s_cbranch_execz .LBB146_48
; %bb.47:                               ;   in Loop: Header=BB146_2 Depth=1
	v_lshlrev_b32_e32 v14, 3, v88
	ds_read_b64 v[14:15], v14 offset:8
.LBB146_48:                             ;   in Loop: Header=BB146_2 Depth=1
	s_or_saveexec_b64 s[20:21], s[20:21]
	v_mov_b64_e32 v[16:17], v[12:13]
	s_xor_b64 exec, exec, s[20:21]
	s_cbranch_execz .LBB146_50
; %bb.49:                               ;   in Loop: Header=BB146_2 Depth=1
	s_waitcnt lgkmcnt(0)
	v_lshlrev_b32_e32 v14, 3, v87
	ds_read_b64 v[16:17], v14 offset:8
	v_mov_b64_e32 v[14:15], v[10:11]
.LBB146_50:                             ;   in Loop: Header=BB146_2 Depth=1
	s_or_b64 exec, exec, s[20:21]
	v_cndmask_b32_e64 v11, v11, v13, s[18:19]
	v_add_u32_e32 v13, 1, v88
	v_cndmask_b32_e64 v10, v10, v12, s[18:19]
	v_add_u32_e32 v12, 1, v87
	v_cndmask_b32_e64 v13, v13, v88, s[18:19]
	v_cndmask_b32_e64 v12, v87, v12, s[18:19]
	;; [unrolled: 1-line block ×4, first 2 shown]
	v_cmp_ge_i32_e64 s[16:17], v13, v39
	s_waitcnt lgkmcnt(0)
	v_cmp_lt_i64_e64 s[18:19], v[16:17], v[14:15]
	v_cndmask_b32_e64 v3, v3, v5, s[14:15]
	v_cndmask_b32_e64 v2, v2, v4, s[14:15]
	v_cmp_lt_i32_e64 s[14:15], v12, v40
	s_or_b64 s[16:17], s[16:17], s[18:19]
	s_and_b64 s[14:15], s[14:15], s[16:17]
	v_cndmask_b32_e64 v5, v15, v17, s[14:15]
	v_cndmask_b32_e64 v4, v14, v16, s[14:15]
	s_barrier
	ds_write2_b64 v18, v[2:3], v[6:7] offset1:1
	ds_write2_b64 v18, v[10:11], v[4:5] offset0:2 offset1:3
	v_mov_b32_e32 v6, v52
	s_waitcnt lgkmcnt(0)
	s_barrier
	s_and_saveexec_b64 s[16:17], s[4:5]
	s_cbranch_execz .LBB146_54
; %bb.51:                               ;   in Loop: Header=BB146_2 Depth=1
	s_mov_b64 s[18:19], 0
	v_mov_b32_e32 v6, v52
	v_mov_b32_e32 v2, v53
.LBB146_52:                             ;   Parent Loop BB146_2 Depth=1
                                        ; =>  This Inner Loop Header: Depth=2
	v_sub_u32_e32 v3, v2, v6
	v_lshrrev_b32_e32 v4, 31, v3
	v_add_u32_e32 v3, v3, v4
	v_ashrrev_i32_e32 v3, 1, v3
	v_add_u32_e32 v3, v3, v6
	v_lshl_add_u32 v4, v3, 3, v50
	v_xad_u32 v5, v3, -1, v47
	v_lshl_add_u32 v7, v5, 3, v51
	ds_read_b64 v[4:5], v4
	ds_read_b64 v[8:9], v7
	v_add_u32_e32 v7, 1, v3
	s_waitcnt lgkmcnt(0)
	v_cmp_lt_i64_e64 s[14:15], v[8:9], v[4:5]
	s_nop 1
	v_cndmask_b32_e64 v2, v2, v3, s[14:15]
	v_cndmask_b32_e64 v6, v7, v6, s[14:15]
	v_cmp_ge_i32_e64 s[14:15], v6, v2
	s_or_b64 s[18:19], s[14:15], s[18:19]
	s_andn2_b64 exec, exec, s[18:19]
	s_cbranch_execnz .LBB146_52
; %bb.53:                               ;   in Loop: Header=BB146_2 Depth=1
	s_or_b64 exec, exec, s[18:19]
.LBB146_54:                             ;   in Loop: Header=BB146_2 Depth=1
	s_or_b64 exec, exec, s[16:17]
	v_sub_u32_e32 v10, v75, v6
	v_lshl_add_u32 v8, v6, 3, v50
	v_lshlrev_b32_e32 v12, 3, v10
	ds_read_b64 v[2:3], v8
	ds_read_b64 v[4:5], v12
	v_add_u32_e32 v11, v6, v46
	v_cmp_le_i32_e64 s[16:17], v48, v11
	v_cmp_gt_i32_e64 s[14:15], v49, v10
                                        ; implicit-def: $vgpr6_vgpr7
	s_waitcnt lgkmcnt(0)
	v_cmp_lt_i64_e64 s[18:19], v[4:5], v[2:3]
	s_or_b64 s[16:17], s[16:17], s[18:19]
	s_and_b64 s[14:15], s[14:15], s[16:17]
	s_xor_b64 s[16:17], s[14:15], -1
	s_and_saveexec_b64 s[18:19], s[16:17]
	s_xor_b64 s[16:17], exec, s[18:19]
	s_cbranch_execz .LBB146_56
; %bb.55:                               ;   in Loop: Header=BB146_2 Depth=1
	ds_read_b64 v[6:7], v8 offset:8
                                        ; implicit-def: $vgpr12
.LBB146_56:                             ;   in Loop: Header=BB146_2 Depth=1
	s_or_saveexec_b64 s[16:17], s[16:17]
	v_mov_b64_e32 v[8:9], v[4:5]
	s_xor_b64 exec, exec, s[16:17]
	s_cbranch_execz .LBB146_58
; %bb.57:                               ;   in Loop: Header=BB146_2 Depth=1
	ds_read_b64 v[8:9], v12 offset:8
	s_waitcnt lgkmcnt(1)
	v_mov_b64_e32 v[6:7], v[2:3]
.LBB146_58:                             ;   in Loop: Header=BB146_2 Depth=1
	s_or_b64 exec, exec, s[16:17]
	v_add_u32_e32 v13, 1, v11
	v_add_u32_e32 v12, 1, v10
	v_cndmask_b32_e64 v15, v13, v11, s[14:15]
	v_cndmask_b32_e64 v14, v10, v12, s[14:15]
	v_cmp_ge_i32_e64 s[18:19], v15, v48
	s_waitcnt lgkmcnt(0)
	v_cmp_lt_i64_e64 s[20:21], v[8:9], v[6:7]
	v_cmp_lt_i32_e64 s[16:17], v14, v49
	s_or_b64 s[18:19], s[18:19], s[20:21]
	s_and_b64 s[16:17], s[16:17], s[18:19]
	s_xor_b64 s[18:19], s[16:17], -1
                                        ; implicit-def: $vgpr10_vgpr11
	s_and_saveexec_b64 s[20:21], s[18:19]
	s_xor_b64 s[18:19], exec, s[20:21]
	s_cbranch_execz .LBB146_60
; %bb.59:                               ;   in Loop: Header=BB146_2 Depth=1
	v_lshlrev_b32_e32 v10, 3, v15
	ds_read_b64 v[10:11], v10 offset:8
.LBB146_60:                             ;   in Loop: Header=BB146_2 Depth=1
	s_or_saveexec_b64 s[18:19], s[18:19]
	v_mov_b64_e32 v[12:13], v[8:9]
	s_xor_b64 exec, exec, s[18:19]
	s_cbranch_execz .LBB146_62
; %bb.61:                               ;   in Loop: Header=BB146_2 Depth=1
	s_waitcnt lgkmcnt(0)
	v_lshlrev_b32_e32 v10, 3, v14
	ds_read_b64 v[12:13], v10 offset:8
	v_mov_b64_e32 v[10:11], v[6:7]
.LBB146_62:                             ;   in Loop: Header=BB146_2 Depth=1
	s_or_b64 exec, exec, s[18:19]
	v_add_u32_e32 v17, 1, v15
	v_add_u32_e32 v16, 1, v14
	v_cndmask_b32_e64 v88, v17, v15, s[16:17]
	v_cndmask_b32_e64 v87, v14, v16, s[16:17]
	v_cmp_ge_i32_e64 s[20:21], v88, v48
	s_waitcnt lgkmcnt(0)
	v_cmp_lt_i64_e64 s[22:23], v[12:13], v[10:11]
	v_cmp_lt_i32_e64 s[18:19], v87, v49
	s_or_b64 s[20:21], s[20:21], s[22:23]
	s_and_b64 s[18:19], s[18:19], s[20:21]
	s_xor_b64 s[20:21], s[18:19], -1
                                        ; implicit-def: $vgpr14_vgpr15
	s_and_saveexec_b64 s[22:23], s[20:21]
	s_xor_b64 s[20:21], exec, s[22:23]
	s_cbranch_execz .LBB146_64
; %bb.63:                               ;   in Loop: Header=BB146_2 Depth=1
	v_lshlrev_b32_e32 v14, 3, v88
	ds_read_b64 v[14:15], v14 offset:8
.LBB146_64:                             ;   in Loop: Header=BB146_2 Depth=1
	s_or_saveexec_b64 s[20:21], s[20:21]
	v_mov_b64_e32 v[16:17], v[12:13]
	s_xor_b64 exec, exec, s[20:21]
	s_cbranch_execz .LBB146_66
; %bb.65:                               ;   in Loop: Header=BB146_2 Depth=1
	s_waitcnt lgkmcnt(0)
	v_lshlrev_b32_e32 v14, 3, v87
	ds_read_b64 v[16:17], v14 offset:8
	v_mov_b64_e32 v[14:15], v[10:11]
.LBB146_66:                             ;   in Loop: Header=BB146_2 Depth=1
	s_or_b64 exec, exec, s[20:21]
	v_cndmask_b32_e64 v11, v11, v13, s[18:19]
	v_add_u32_e32 v13, 1, v88
	v_cndmask_b32_e64 v10, v10, v12, s[18:19]
	v_add_u32_e32 v12, 1, v87
	v_cndmask_b32_e64 v13, v13, v88, s[18:19]
	v_cndmask_b32_e64 v12, v87, v12, s[18:19]
	;; [unrolled: 1-line block ×4, first 2 shown]
	v_cmp_ge_i32_e64 s[16:17], v13, v48
	s_waitcnt lgkmcnt(0)
	v_cmp_lt_i64_e64 s[18:19], v[16:17], v[14:15]
	v_cndmask_b32_e64 v3, v3, v5, s[14:15]
	v_cndmask_b32_e64 v2, v2, v4, s[14:15]
	v_cmp_lt_i32_e64 s[14:15], v12, v49
	s_or_b64 s[16:17], s[16:17], s[18:19]
	s_and_b64 s[14:15], s[14:15], s[16:17]
	v_cndmask_b32_e64 v5, v15, v17, s[14:15]
	v_cndmask_b32_e64 v4, v14, v16, s[14:15]
	s_barrier
	ds_write2_b64 v18, v[2:3], v[6:7] offset1:1
	ds_write2_b64 v18, v[10:11], v[4:5] offset0:2 offset1:3
	v_mov_b32_e32 v6, v58
	s_waitcnt lgkmcnt(0)
	s_barrier
	s_and_saveexec_b64 s[16:17], s[6:7]
	s_cbranch_execz .LBB146_70
; %bb.67:                               ;   in Loop: Header=BB146_2 Depth=1
	s_mov_b64 s[18:19], 0
	v_mov_b32_e32 v6, v58
	v_mov_b32_e32 v2, v59
.LBB146_68:                             ;   Parent Loop BB146_2 Depth=1
                                        ; =>  This Inner Loop Header: Depth=2
	v_sub_u32_e32 v3, v2, v6
	v_lshrrev_b32_e32 v4, 31, v3
	v_add_u32_e32 v3, v3, v4
	v_ashrrev_i32_e32 v3, 1, v3
	v_add_u32_e32 v3, v3, v6
	v_lshl_add_u32 v4, v3, 3, v76
	v_xad_u32 v5, v3, -1, v55
	v_lshl_add_u32 v7, v5, 3, v77
	ds_read_b64 v[4:5], v4
	ds_read_b64 v[8:9], v7
	v_add_u32_e32 v7, 1, v3
	s_waitcnt lgkmcnt(0)
	v_cmp_lt_i64_e64 s[14:15], v[8:9], v[4:5]
	s_nop 1
	v_cndmask_b32_e64 v2, v2, v3, s[14:15]
	v_cndmask_b32_e64 v6, v7, v6, s[14:15]
	v_cmp_ge_i32_e64 s[14:15], v6, v2
	s_or_b64 s[18:19], s[14:15], s[18:19]
	s_andn2_b64 exec, exec, s[18:19]
	s_cbranch_execnz .LBB146_68
; %bb.69:                               ;   in Loop: Header=BB146_2 Depth=1
	s_or_b64 exec, exec, s[18:19]
.LBB146_70:                             ;   in Loop: Header=BB146_2 Depth=1
	s_or_b64 exec, exec, s[16:17]
	v_sub_u32_e32 v10, v78, v6
	v_lshl_add_u32 v8, v6, 3, v76
	v_lshlrev_b32_e32 v12, 3, v10
	ds_read_b64 v[2:3], v8
	ds_read_b64 v[4:5], v12
	v_add_u32_e32 v11, v6, v54
	v_cmp_le_i32_e64 s[16:17], v56, v11
	v_cmp_gt_i32_e64 s[14:15], v57, v10
                                        ; implicit-def: $vgpr6_vgpr7
	s_waitcnt lgkmcnt(0)
	v_cmp_lt_i64_e64 s[18:19], v[4:5], v[2:3]
	s_or_b64 s[16:17], s[16:17], s[18:19]
	s_and_b64 s[14:15], s[14:15], s[16:17]
	s_xor_b64 s[16:17], s[14:15], -1
	s_and_saveexec_b64 s[18:19], s[16:17]
	s_xor_b64 s[16:17], exec, s[18:19]
	s_cbranch_execz .LBB146_72
; %bb.71:                               ;   in Loop: Header=BB146_2 Depth=1
	ds_read_b64 v[6:7], v8 offset:8
                                        ; implicit-def: $vgpr12
.LBB146_72:                             ;   in Loop: Header=BB146_2 Depth=1
	s_or_saveexec_b64 s[16:17], s[16:17]
	v_mov_b64_e32 v[8:9], v[4:5]
	s_xor_b64 exec, exec, s[16:17]
	s_cbranch_execz .LBB146_74
; %bb.73:                               ;   in Loop: Header=BB146_2 Depth=1
	ds_read_b64 v[8:9], v12 offset:8
	s_waitcnt lgkmcnt(1)
	v_mov_b64_e32 v[6:7], v[2:3]
.LBB146_74:                             ;   in Loop: Header=BB146_2 Depth=1
	s_or_b64 exec, exec, s[16:17]
	v_add_u32_e32 v13, 1, v11
	v_add_u32_e32 v12, 1, v10
	v_cndmask_b32_e64 v15, v13, v11, s[14:15]
	v_cndmask_b32_e64 v14, v10, v12, s[14:15]
	v_cmp_ge_i32_e64 s[18:19], v15, v56
	s_waitcnt lgkmcnt(0)
	v_cmp_lt_i64_e64 s[20:21], v[8:9], v[6:7]
	v_cmp_lt_i32_e64 s[16:17], v14, v57
	s_or_b64 s[18:19], s[18:19], s[20:21]
	s_and_b64 s[16:17], s[16:17], s[18:19]
	s_xor_b64 s[18:19], s[16:17], -1
                                        ; implicit-def: $vgpr10_vgpr11
	s_and_saveexec_b64 s[20:21], s[18:19]
	s_xor_b64 s[18:19], exec, s[20:21]
	s_cbranch_execz .LBB146_76
; %bb.75:                               ;   in Loop: Header=BB146_2 Depth=1
	v_lshlrev_b32_e32 v10, 3, v15
	ds_read_b64 v[10:11], v10 offset:8
.LBB146_76:                             ;   in Loop: Header=BB146_2 Depth=1
	s_or_saveexec_b64 s[18:19], s[18:19]
	v_mov_b64_e32 v[12:13], v[8:9]
	s_xor_b64 exec, exec, s[18:19]
	s_cbranch_execz .LBB146_78
; %bb.77:                               ;   in Loop: Header=BB146_2 Depth=1
	s_waitcnt lgkmcnt(0)
	v_lshlrev_b32_e32 v10, 3, v14
	ds_read_b64 v[12:13], v10 offset:8
	v_mov_b64_e32 v[10:11], v[6:7]
.LBB146_78:                             ;   in Loop: Header=BB146_2 Depth=1
	s_or_b64 exec, exec, s[18:19]
	v_add_u32_e32 v17, 1, v15
	v_add_u32_e32 v16, 1, v14
	v_cndmask_b32_e64 v88, v17, v15, s[16:17]
	v_cndmask_b32_e64 v87, v14, v16, s[16:17]
	v_cmp_ge_i32_e64 s[20:21], v88, v56
	s_waitcnt lgkmcnt(0)
	v_cmp_lt_i64_e64 s[22:23], v[12:13], v[10:11]
	v_cmp_lt_i32_e64 s[18:19], v87, v57
	s_or_b64 s[20:21], s[20:21], s[22:23]
	s_and_b64 s[18:19], s[18:19], s[20:21]
	s_xor_b64 s[20:21], s[18:19], -1
                                        ; implicit-def: $vgpr14_vgpr15
	s_and_saveexec_b64 s[22:23], s[20:21]
	s_xor_b64 s[20:21], exec, s[22:23]
	s_cbranch_execz .LBB146_80
; %bb.79:                               ;   in Loop: Header=BB146_2 Depth=1
	v_lshlrev_b32_e32 v14, 3, v88
	ds_read_b64 v[14:15], v14 offset:8
.LBB146_80:                             ;   in Loop: Header=BB146_2 Depth=1
	s_or_saveexec_b64 s[20:21], s[20:21]
	v_mov_b64_e32 v[16:17], v[12:13]
	s_xor_b64 exec, exec, s[20:21]
	s_cbranch_execz .LBB146_82
; %bb.81:                               ;   in Loop: Header=BB146_2 Depth=1
	s_waitcnt lgkmcnt(0)
	v_lshlrev_b32_e32 v14, 3, v87
	ds_read_b64 v[16:17], v14 offset:8
	v_mov_b64_e32 v[14:15], v[10:11]
.LBB146_82:                             ;   in Loop: Header=BB146_2 Depth=1
	s_or_b64 exec, exec, s[20:21]
	v_cndmask_b32_e64 v11, v11, v13, s[18:19]
	v_add_u32_e32 v13, 1, v88
	v_cndmask_b32_e64 v10, v10, v12, s[18:19]
	v_add_u32_e32 v12, 1, v87
	v_cndmask_b32_e64 v13, v13, v88, s[18:19]
	v_cndmask_b32_e64 v12, v87, v12, s[18:19]
	;; [unrolled: 1-line block ×4, first 2 shown]
	v_cmp_ge_i32_e64 s[16:17], v13, v56
	s_waitcnt lgkmcnt(0)
	v_cmp_lt_i64_e64 s[18:19], v[16:17], v[14:15]
	v_cndmask_b32_e64 v3, v3, v5, s[14:15]
	v_cndmask_b32_e64 v2, v2, v4, s[14:15]
	v_cmp_lt_i32_e64 s[14:15], v12, v57
	s_or_b64 s[16:17], s[16:17], s[18:19]
	s_and_b64 s[14:15], s[14:15], s[16:17]
	v_cndmask_b32_e64 v5, v15, v17, s[14:15]
	v_cndmask_b32_e64 v4, v14, v16, s[14:15]
	s_barrier
	ds_write2_b64 v18, v[2:3], v[6:7] offset1:1
	ds_write2_b64 v18, v[10:11], v[4:5] offset0:2 offset1:3
	v_mov_b32_e32 v6, v64
	s_waitcnt lgkmcnt(0)
	s_barrier
	s_and_saveexec_b64 s[16:17], s[8:9]
	s_cbranch_execz .LBB146_86
; %bb.83:                               ;   in Loop: Header=BB146_2 Depth=1
	s_mov_b64 s[18:19], 0
	v_mov_b32_e32 v6, v64
	v_mov_b32_e32 v2, v65
.LBB146_84:                             ;   Parent Loop BB146_2 Depth=1
                                        ; =>  This Inner Loop Header: Depth=2
	v_sub_u32_e32 v3, v2, v6
	v_lshrrev_b32_e32 v4, 31, v3
	v_add_u32_e32 v3, v3, v4
	v_ashrrev_i32_e32 v3, 1, v3
	v_add_u32_e32 v3, v3, v6
	v_lshl_add_u32 v4, v3, 3, v79
	v_xad_u32 v5, v3, -1, v61
	v_lshl_add_u32 v7, v5, 3, v80
	ds_read_b64 v[4:5], v4
	ds_read_b64 v[8:9], v7
	v_add_u32_e32 v7, 1, v3
	s_waitcnt lgkmcnt(0)
	v_cmp_lt_i64_e64 s[14:15], v[8:9], v[4:5]
	s_nop 1
	v_cndmask_b32_e64 v2, v2, v3, s[14:15]
	v_cndmask_b32_e64 v6, v7, v6, s[14:15]
	v_cmp_ge_i32_e64 s[14:15], v6, v2
	s_or_b64 s[18:19], s[14:15], s[18:19]
	s_andn2_b64 exec, exec, s[18:19]
	s_cbranch_execnz .LBB146_84
; %bb.85:                               ;   in Loop: Header=BB146_2 Depth=1
	s_or_b64 exec, exec, s[18:19]
.LBB146_86:                             ;   in Loop: Header=BB146_2 Depth=1
	s_or_b64 exec, exec, s[16:17]
	v_sub_u32_e32 v10, v81, v6
	v_lshl_add_u32 v8, v6, 3, v79
	v_lshlrev_b32_e32 v12, 3, v10
	ds_read_b64 v[2:3], v8
	ds_read_b64 v[4:5], v12
	v_add_u32_e32 v11, v6, v60
	v_cmp_le_i32_e64 s[16:17], v62, v11
	v_cmp_gt_i32_e64 s[14:15], v63, v10
                                        ; implicit-def: $vgpr6_vgpr7
	s_waitcnt lgkmcnt(0)
	v_cmp_lt_i64_e64 s[18:19], v[4:5], v[2:3]
	s_or_b64 s[16:17], s[16:17], s[18:19]
	s_and_b64 s[14:15], s[14:15], s[16:17]
	s_xor_b64 s[16:17], s[14:15], -1
	s_and_saveexec_b64 s[18:19], s[16:17]
	s_xor_b64 s[16:17], exec, s[18:19]
	s_cbranch_execz .LBB146_88
; %bb.87:                               ;   in Loop: Header=BB146_2 Depth=1
	ds_read_b64 v[6:7], v8 offset:8
                                        ; implicit-def: $vgpr12
.LBB146_88:                             ;   in Loop: Header=BB146_2 Depth=1
	s_or_saveexec_b64 s[16:17], s[16:17]
	v_mov_b64_e32 v[8:9], v[4:5]
	s_xor_b64 exec, exec, s[16:17]
	s_cbranch_execz .LBB146_90
; %bb.89:                               ;   in Loop: Header=BB146_2 Depth=1
	ds_read_b64 v[8:9], v12 offset:8
	s_waitcnt lgkmcnt(1)
	v_mov_b64_e32 v[6:7], v[2:3]
.LBB146_90:                             ;   in Loop: Header=BB146_2 Depth=1
	s_or_b64 exec, exec, s[16:17]
	v_add_u32_e32 v13, 1, v11
	v_add_u32_e32 v12, 1, v10
	v_cndmask_b32_e64 v15, v13, v11, s[14:15]
	v_cndmask_b32_e64 v14, v10, v12, s[14:15]
	v_cmp_ge_i32_e64 s[18:19], v15, v62
	s_waitcnt lgkmcnt(0)
	v_cmp_lt_i64_e64 s[20:21], v[8:9], v[6:7]
	v_cmp_lt_i32_e64 s[16:17], v14, v63
	s_or_b64 s[18:19], s[18:19], s[20:21]
	s_and_b64 s[16:17], s[16:17], s[18:19]
	s_xor_b64 s[18:19], s[16:17], -1
                                        ; implicit-def: $vgpr10_vgpr11
	s_and_saveexec_b64 s[20:21], s[18:19]
	s_xor_b64 s[18:19], exec, s[20:21]
	s_cbranch_execz .LBB146_92
; %bb.91:                               ;   in Loop: Header=BB146_2 Depth=1
	v_lshlrev_b32_e32 v10, 3, v15
	ds_read_b64 v[10:11], v10 offset:8
.LBB146_92:                             ;   in Loop: Header=BB146_2 Depth=1
	s_or_saveexec_b64 s[18:19], s[18:19]
	v_mov_b64_e32 v[12:13], v[8:9]
	s_xor_b64 exec, exec, s[18:19]
	s_cbranch_execz .LBB146_94
; %bb.93:                               ;   in Loop: Header=BB146_2 Depth=1
	s_waitcnt lgkmcnt(0)
	v_lshlrev_b32_e32 v10, 3, v14
	ds_read_b64 v[12:13], v10 offset:8
	v_mov_b64_e32 v[10:11], v[6:7]
.LBB146_94:                             ;   in Loop: Header=BB146_2 Depth=1
	s_or_b64 exec, exec, s[18:19]
	v_add_u32_e32 v17, 1, v15
	v_add_u32_e32 v16, 1, v14
	v_cndmask_b32_e64 v88, v17, v15, s[16:17]
	v_cndmask_b32_e64 v87, v14, v16, s[16:17]
	v_cmp_ge_i32_e64 s[20:21], v88, v62
	s_waitcnt lgkmcnt(0)
	v_cmp_lt_i64_e64 s[22:23], v[12:13], v[10:11]
	v_cmp_lt_i32_e64 s[18:19], v87, v63
	s_or_b64 s[20:21], s[20:21], s[22:23]
	s_and_b64 s[18:19], s[18:19], s[20:21]
	s_xor_b64 s[20:21], s[18:19], -1
                                        ; implicit-def: $vgpr14_vgpr15
	s_and_saveexec_b64 s[22:23], s[20:21]
	s_xor_b64 s[20:21], exec, s[22:23]
	s_cbranch_execz .LBB146_96
; %bb.95:                               ;   in Loop: Header=BB146_2 Depth=1
	v_lshlrev_b32_e32 v14, 3, v88
	ds_read_b64 v[14:15], v14 offset:8
.LBB146_96:                             ;   in Loop: Header=BB146_2 Depth=1
	s_or_saveexec_b64 s[20:21], s[20:21]
	v_mov_b64_e32 v[16:17], v[12:13]
	s_xor_b64 exec, exec, s[20:21]
	s_cbranch_execz .LBB146_98
; %bb.97:                               ;   in Loop: Header=BB146_2 Depth=1
	s_waitcnt lgkmcnt(0)
	v_lshlrev_b32_e32 v14, 3, v87
	ds_read_b64 v[16:17], v14 offset:8
	v_mov_b64_e32 v[14:15], v[10:11]
.LBB146_98:                             ;   in Loop: Header=BB146_2 Depth=1
	s_or_b64 exec, exec, s[20:21]
	v_cndmask_b32_e64 v11, v11, v13, s[18:19]
	v_add_u32_e32 v13, 1, v88
	v_cndmask_b32_e64 v10, v10, v12, s[18:19]
	v_add_u32_e32 v12, 1, v87
	v_cndmask_b32_e64 v13, v13, v88, s[18:19]
	v_cndmask_b32_e64 v12, v87, v12, s[18:19]
	;; [unrolled: 1-line block ×4, first 2 shown]
	v_cmp_ge_i32_e64 s[16:17], v13, v62
	s_waitcnt lgkmcnt(0)
	v_cmp_lt_i64_e64 s[18:19], v[16:17], v[14:15]
	v_cndmask_b32_e64 v3, v3, v5, s[14:15]
	v_cndmask_b32_e64 v2, v2, v4, s[14:15]
	v_cmp_lt_i32_e64 s[14:15], v12, v63
	s_or_b64 s[16:17], s[16:17], s[18:19]
	s_and_b64 s[14:15], s[14:15], s[16:17]
	v_cndmask_b32_e64 v5, v15, v17, s[14:15]
	v_cndmask_b32_e64 v4, v14, v16, s[14:15]
	s_barrier
	ds_write2_b64 v18, v[2:3], v[6:7] offset1:1
	ds_write2_b64 v18, v[10:11], v[4:5] offset0:2 offset1:3
	v_mov_b32_e32 v6, v71
	s_waitcnt lgkmcnt(0)
	s_barrier
	s_and_saveexec_b64 s[16:17], s[10:11]
	s_cbranch_execz .LBB146_102
; %bb.99:                               ;   in Loop: Header=BB146_2 Depth=1
	s_mov_b64 s[18:19], 0
	v_mov_b32_e32 v6, v71
	v_mov_b32_e32 v2, v72
.LBB146_100:                            ;   Parent Loop BB146_2 Depth=1
                                        ; =>  This Inner Loop Header: Depth=2
	v_sub_u32_e32 v3, v2, v6
	v_lshrrev_b32_e32 v4, 31, v3
	v_add_u32_e32 v3, v3, v4
	v_ashrrev_i32_e32 v3, 1, v3
	v_add_u32_e32 v3, v3, v6
	v_lshl_add_u32 v4, v3, 3, v82
	v_xad_u32 v5, v3, -1, v68
	v_lshl_add_u32 v7, v5, 3, v83
	ds_read_b64 v[4:5], v4
	ds_read_b64 v[8:9], v7
	v_add_u32_e32 v7, 1, v3
	s_waitcnt lgkmcnt(0)
	v_cmp_lt_i64_e64 s[14:15], v[8:9], v[4:5]
	s_nop 1
	v_cndmask_b32_e64 v2, v2, v3, s[14:15]
	v_cndmask_b32_e64 v6, v7, v6, s[14:15]
	v_cmp_ge_i32_e64 s[14:15], v6, v2
	s_or_b64 s[18:19], s[14:15], s[18:19]
	s_andn2_b64 exec, exec, s[18:19]
	s_cbranch_execnz .LBB146_100
; %bb.101:                              ;   in Loop: Header=BB146_2 Depth=1
	s_or_b64 exec, exec, s[18:19]
.LBB146_102:                            ;   in Loop: Header=BB146_2 Depth=1
	s_or_b64 exec, exec, s[16:17]
	v_sub_u32_e32 v10, v84, v6
	v_lshl_add_u32 v8, v6, 3, v82
	v_lshlrev_b32_e32 v12, 3, v10
	ds_read_b64 v[2:3], v8
	ds_read_b64 v[4:5], v12
	v_add_u32_e32 v11, v6, v67
	v_cmp_le_i32_e64 s[16:17], v69, v11
	v_cmp_gt_i32_e64 s[14:15], v70, v10
                                        ; implicit-def: $vgpr6_vgpr7
	s_waitcnt lgkmcnt(0)
	v_cmp_lt_i64_e64 s[18:19], v[4:5], v[2:3]
	s_or_b64 s[16:17], s[16:17], s[18:19]
	s_and_b64 s[14:15], s[14:15], s[16:17]
	s_xor_b64 s[16:17], s[14:15], -1
	s_and_saveexec_b64 s[18:19], s[16:17]
	s_xor_b64 s[16:17], exec, s[18:19]
	s_cbranch_execz .LBB146_104
; %bb.103:                              ;   in Loop: Header=BB146_2 Depth=1
	ds_read_b64 v[6:7], v8 offset:8
                                        ; implicit-def: $vgpr12
.LBB146_104:                            ;   in Loop: Header=BB146_2 Depth=1
	s_or_saveexec_b64 s[16:17], s[16:17]
	v_mov_b64_e32 v[8:9], v[4:5]
	s_xor_b64 exec, exec, s[16:17]
	s_cbranch_execz .LBB146_106
; %bb.105:                              ;   in Loop: Header=BB146_2 Depth=1
	ds_read_b64 v[8:9], v12 offset:8
	s_waitcnt lgkmcnt(1)
	v_mov_b64_e32 v[6:7], v[2:3]
.LBB146_106:                            ;   in Loop: Header=BB146_2 Depth=1
	s_or_b64 exec, exec, s[16:17]
	v_add_u32_e32 v13, 1, v11
	v_add_u32_e32 v12, 1, v10
	v_cndmask_b32_e64 v15, v13, v11, s[14:15]
	v_cndmask_b32_e64 v14, v10, v12, s[14:15]
	v_cmp_ge_i32_e64 s[18:19], v15, v69
	s_waitcnt lgkmcnt(0)
	v_cmp_lt_i64_e64 s[20:21], v[8:9], v[6:7]
	v_cmp_lt_i32_e64 s[16:17], v14, v70
	s_or_b64 s[18:19], s[18:19], s[20:21]
	s_and_b64 s[16:17], s[16:17], s[18:19]
	s_xor_b64 s[18:19], s[16:17], -1
                                        ; implicit-def: $vgpr10_vgpr11
	s_and_saveexec_b64 s[20:21], s[18:19]
	s_xor_b64 s[18:19], exec, s[20:21]
	s_cbranch_execz .LBB146_108
; %bb.107:                              ;   in Loop: Header=BB146_2 Depth=1
	v_lshlrev_b32_e32 v10, 3, v15
	ds_read_b64 v[10:11], v10 offset:8
.LBB146_108:                            ;   in Loop: Header=BB146_2 Depth=1
	s_or_saveexec_b64 s[18:19], s[18:19]
	v_mov_b64_e32 v[12:13], v[8:9]
	s_xor_b64 exec, exec, s[18:19]
	s_cbranch_execz .LBB146_110
; %bb.109:                              ;   in Loop: Header=BB146_2 Depth=1
	s_waitcnt lgkmcnt(0)
	v_lshlrev_b32_e32 v10, 3, v14
	ds_read_b64 v[12:13], v10 offset:8
	v_mov_b64_e32 v[10:11], v[6:7]
.LBB146_110:                            ;   in Loop: Header=BB146_2 Depth=1
	s_or_b64 exec, exec, s[18:19]
	v_add_u32_e32 v17, 1, v15
	v_add_u32_e32 v16, 1, v14
	v_cndmask_b32_e64 v88, v17, v15, s[16:17]
	v_cndmask_b32_e64 v87, v14, v16, s[16:17]
	v_cmp_ge_i32_e64 s[20:21], v88, v69
	s_waitcnt lgkmcnt(0)
	v_cmp_lt_i64_e64 s[22:23], v[12:13], v[10:11]
	v_cmp_lt_i32_e64 s[18:19], v87, v70
	s_or_b64 s[20:21], s[20:21], s[22:23]
	s_and_b64 s[18:19], s[18:19], s[20:21]
	s_xor_b64 s[20:21], s[18:19], -1
                                        ; implicit-def: $vgpr14_vgpr15
	s_and_saveexec_b64 s[22:23], s[20:21]
	s_xor_b64 s[20:21], exec, s[22:23]
	s_cbranch_execz .LBB146_112
; %bb.111:                              ;   in Loop: Header=BB146_2 Depth=1
	v_lshlrev_b32_e32 v14, 3, v88
	ds_read_b64 v[14:15], v14 offset:8
.LBB146_112:                            ;   in Loop: Header=BB146_2 Depth=1
	s_or_saveexec_b64 s[20:21], s[20:21]
	v_mov_b64_e32 v[16:17], v[12:13]
	s_xor_b64 exec, exec, s[20:21]
	s_cbranch_execz .LBB146_114
; %bb.113:                              ;   in Loop: Header=BB146_2 Depth=1
	s_waitcnt lgkmcnt(0)
	v_lshlrev_b32_e32 v14, 3, v87
	ds_read_b64 v[16:17], v14 offset:8
	v_mov_b64_e32 v[14:15], v[10:11]
.LBB146_114:                            ;   in Loop: Header=BB146_2 Depth=1
	s_or_b64 exec, exec, s[20:21]
	v_cndmask_b32_e64 v11, v11, v13, s[18:19]
	v_add_u32_e32 v13, 1, v88
	v_cndmask_b32_e64 v10, v10, v12, s[18:19]
	v_add_u32_e32 v12, 1, v87
	v_cndmask_b32_e64 v13, v13, v88, s[18:19]
	v_cndmask_b32_e64 v12, v87, v12, s[18:19]
	;; [unrolled: 1-line block ×4, first 2 shown]
	v_cmp_ge_i32_e64 s[16:17], v13, v69
	s_waitcnt lgkmcnt(0)
	v_cmp_lt_i64_e64 s[18:19], v[16:17], v[14:15]
	v_cndmask_b32_e64 v3, v3, v5, s[14:15]
	v_cndmask_b32_e64 v2, v2, v4, s[14:15]
	v_cmp_lt_i32_e64 s[14:15], v12, v70
	s_or_b64 s[16:17], s[16:17], s[18:19]
	s_and_b64 s[14:15], s[14:15], s[16:17]
	v_cndmask_b32_e64 v5, v15, v17, s[14:15]
	v_cndmask_b32_e64 v4, v14, v16, s[14:15]
	s_barrier
	ds_write2_b64 v18, v[2:3], v[6:7] offset1:1
	ds_write2_b64 v18, v[10:11], v[4:5] offset0:2 offset1:3
	v_mov_b32_e32 v10, v73
	s_waitcnt lgkmcnt(0)
	s_barrier
	s_and_saveexec_b64 s[16:17], s[12:13]
	s_cbranch_execz .LBB146_118
; %bb.115:                              ;   in Loop: Header=BB146_2 Depth=1
	s_mov_b64 s[18:19], 0
	v_mov_b32_e32 v10, v73
	v_mov_b32_e32 v2, v74
.LBB146_116:                            ;   Parent Loop BB146_2 Depth=1
                                        ; =>  This Inner Loop Header: Depth=2
	v_sub_u32_e32 v3, v2, v10
	v_lshrrev_b32_e32 v4, 31, v3
	v_add_u32_e32 v3, v3, v4
	v_ashrrev_i32_e32 v3, 1, v3
	v_add_u32_e32 v3, v3, v10
	v_xad_u32 v5, v3, -1, v1
	v_lshlrev_b32_e32 v4, 3, v3
	v_lshl_add_u32 v6, v5, 3, v85
	ds_read_b64 v[4:5], v4
	ds_read_b64 v[6:7], v6
	v_add_u32_e32 v8, 1, v3
	s_waitcnt lgkmcnt(0)
	v_cmp_lt_i64_e64 s[14:15], v[6:7], v[4:5]
	s_nop 1
	v_cndmask_b32_e64 v2, v2, v3, s[14:15]
	v_cndmask_b32_e64 v10, v8, v10, s[14:15]
	v_cmp_ge_i32_e64 s[14:15], v10, v2
	s_or_b64 s[18:19], s[14:15], s[18:19]
	s_andn2_b64 exec, exec, s[18:19]
	s_cbranch_execnz .LBB146_116
; %bb.117:                              ;   in Loop: Header=BB146_2 Depth=1
	s_or_b64 exec, exec, s[18:19]
.LBB146_118:                            ;   in Loop: Header=BB146_2 Depth=1
	s_or_b64 exec, exec, s[16:17]
	v_sub_u32_e32 v11, v86, v10
	v_lshlrev_b32_e32 v8, 3, v10
	v_lshlrev_b32_e32 v12, 3, v11
	ds_read_b64 v[2:3], v8
	ds_read_b64 v[4:5], v12
	v_cmp_le_i32_e64 s[16:17], v66, v10
	v_cmp_gt_i32_e64 s[14:15], s24, v11
                                        ; implicit-def: $vgpr6_vgpr7
	s_waitcnt lgkmcnt(0)
	v_cmp_lt_i64_e64 s[18:19], v[4:5], v[2:3]
	s_or_b64 s[16:17], s[16:17], s[18:19]
	s_and_b64 s[14:15], s[14:15], s[16:17]
	s_xor_b64 s[16:17], s[14:15], -1
	s_and_saveexec_b64 s[18:19], s[16:17]
	s_xor_b64 s[16:17], exec, s[18:19]
	s_cbranch_execz .LBB146_120
; %bb.119:                              ;   in Loop: Header=BB146_2 Depth=1
	ds_read_b64 v[6:7], v8 offset:8
                                        ; implicit-def: $vgpr12
.LBB146_120:                            ;   in Loop: Header=BB146_2 Depth=1
	s_or_saveexec_b64 s[16:17], s[16:17]
	v_mov_b64_e32 v[8:9], v[4:5]
	s_xor_b64 exec, exec, s[16:17]
	s_cbranch_execz .LBB146_122
; %bb.121:                              ;   in Loop: Header=BB146_2 Depth=1
	ds_read_b64 v[8:9], v12 offset:8
	s_waitcnt lgkmcnt(1)
	v_mov_b64_e32 v[6:7], v[2:3]
.LBB146_122:                            ;   in Loop: Header=BB146_2 Depth=1
	s_or_b64 exec, exec, s[16:17]
	v_add_u32_e32 v13, 1, v10
	v_add_u32_e32 v12, 1, v11
	v_cndmask_b32_e64 v15, v13, v10, s[14:15]
	v_cndmask_b32_e64 v14, v11, v12, s[14:15]
	v_cmp_ge_i32_e64 s[18:19], v15, v66
	s_waitcnt lgkmcnt(0)
	v_cmp_lt_i64_e64 s[20:21], v[8:9], v[6:7]
	v_cmp_gt_i32_e64 s[16:17], s24, v14
	s_or_b64 s[18:19], s[18:19], s[20:21]
	s_and_b64 s[16:17], s[16:17], s[18:19]
	s_xor_b64 s[18:19], s[16:17], -1
                                        ; implicit-def: $vgpr10_vgpr11
	s_and_saveexec_b64 s[20:21], s[18:19]
	s_xor_b64 s[18:19], exec, s[20:21]
	s_cbranch_execz .LBB146_124
; %bb.123:                              ;   in Loop: Header=BB146_2 Depth=1
	v_lshlrev_b32_e32 v10, 3, v15
	ds_read_b64 v[10:11], v10 offset:8
.LBB146_124:                            ;   in Loop: Header=BB146_2 Depth=1
	s_or_saveexec_b64 s[18:19], s[18:19]
	v_mov_b64_e32 v[12:13], v[8:9]
	s_xor_b64 exec, exec, s[18:19]
	s_cbranch_execz .LBB146_126
; %bb.125:                              ;   in Loop: Header=BB146_2 Depth=1
	s_waitcnt lgkmcnt(0)
	v_lshlrev_b32_e32 v10, 3, v14
	ds_read_b64 v[12:13], v10 offset:8
	v_mov_b64_e32 v[10:11], v[6:7]
.LBB146_126:                            ;   in Loop: Header=BB146_2 Depth=1
	s_or_b64 exec, exec, s[18:19]
	v_add_u32_e32 v17, 1, v15
	v_add_u32_e32 v16, 1, v14
	v_cndmask_b32_e64 v89, v17, v15, s[16:17]
	v_cndmask_b32_e64 v87, v14, v16, s[16:17]
	v_cmp_ge_i32_e64 s[20:21], v89, v66
	s_waitcnt lgkmcnt(0)
	v_cmp_lt_i64_e64 s[22:23], v[12:13], v[10:11]
	v_cmp_gt_i32_e64 s[18:19], s24, v87
	s_or_b64 s[20:21], s[20:21], s[22:23]
	s_and_b64 s[18:19], s[18:19], s[20:21]
	s_xor_b64 s[20:21], s[18:19], -1
                                        ; implicit-def: $vgpr14_vgpr15
                                        ; implicit-def: $vgpr88
	s_and_saveexec_b64 s[22:23], s[20:21]
	s_xor_b64 s[20:21], exec, s[22:23]
	s_cbranch_execz .LBB146_128
; %bb.127:                              ;   in Loop: Header=BB146_2 Depth=1
	v_lshlrev_b32_e32 v14, 3, v89
	ds_read_b64 v[14:15], v14 offset:8
	v_add_u32_e32 v88, 1, v89
                                        ; implicit-def: $vgpr89
.LBB146_128:                            ;   in Loop: Header=BB146_2 Depth=1
	s_or_saveexec_b64 s[20:21], s[20:21]
	v_mov_b64_e32 v[16:17], v[12:13]
	s_xor_b64 exec, exec, s[20:21]
	s_cbranch_execz .LBB146_1
; %bb.129:                              ;   in Loop: Header=BB146_2 Depth=1
	s_waitcnt lgkmcnt(0)
	v_lshlrev_b32_e32 v14, 3, v87
	ds_read_b64 v[16:17], v14 offset:8
	v_add_u32_e32 v87, 1, v87
	v_mov_b32_e32 v88, v89
	v_mov_b64_e32 v[14:15], v[10:11]
	s_branch .LBB146_1
.LBB146_130:
	s_add_u32 s0, s26, s30
	s_addc_u32 s1, s27, s31
	v_lshlrev_b32_e32 v0, 3, v0
	v_mov_b32_e32 v1, 0
	v_lshl_add_u64 v[10:11], s[0:1], 0, v[0:1]
	global_store_dwordx2 v0, v[4:5], s[0:1]
	global_store_dwordx2 v0, v[8:9], s[0:1] offset:2048
	v_add_co_u32_e32 v0, vcc, 0x1000, v10
	s_nop 1
	v_addc_co_u32_e32 v1, vcc, 0, v11, vcc
	global_store_dwordx2 v[0:1], v[2:3], off
	global_store_dwordx2 v[0:1], v[6:7], off offset:2048
	s_endpgm
	.section	.rodata,"a",@progbits
	.p2align	6, 0x0
	.amdhsa_kernel _Z16sort_keys_kernelIxLj256ELj4EN10test_utils4lessELj10EEvPKT_PS2_T2_
		.amdhsa_group_segment_fixed_size 8200
		.amdhsa_private_segment_fixed_size 0
		.amdhsa_kernarg_size 20
		.amdhsa_user_sgpr_count 2
		.amdhsa_user_sgpr_dispatch_ptr 0
		.amdhsa_user_sgpr_queue_ptr 0
		.amdhsa_user_sgpr_kernarg_segment_ptr 1
		.amdhsa_user_sgpr_dispatch_id 0
		.amdhsa_user_sgpr_kernarg_preload_length 0
		.amdhsa_user_sgpr_kernarg_preload_offset 0
		.amdhsa_user_sgpr_private_segment_size 0
		.amdhsa_uses_dynamic_stack 0
		.amdhsa_enable_private_segment 0
		.amdhsa_system_sgpr_workgroup_id_x 1
		.amdhsa_system_sgpr_workgroup_id_y 0
		.amdhsa_system_sgpr_workgroup_id_z 0
		.amdhsa_system_sgpr_workgroup_info 0
		.amdhsa_system_vgpr_workitem_id 0
		.amdhsa_next_free_vgpr 91
		.amdhsa_next_free_sgpr 32
		.amdhsa_accum_offset 92
		.amdhsa_reserve_vcc 1
		.amdhsa_float_round_mode_32 0
		.amdhsa_float_round_mode_16_64 0
		.amdhsa_float_denorm_mode_32 3
		.amdhsa_float_denorm_mode_16_64 3
		.amdhsa_dx10_clamp 1
		.amdhsa_ieee_mode 1
		.amdhsa_fp16_overflow 0
		.amdhsa_tg_split 0
		.amdhsa_exception_fp_ieee_invalid_op 0
		.amdhsa_exception_fp_denorm_src 0
		.amdhsa_exception_fp_ieee_div_zero 0
		.amdhsa_exception_fp_ieee_overflow 0
		.amdhsa_exception_fp_ieee_underflow 0
		.amdhsa_exception_fp_ieee_inexact 0
		.amdhsa_exception_int_div_zero 0
	.end_amdhsa_kernel
	.section	.text._Z16sort_keys_kernelIxLj256ELj4EN10test_utils4lessELj10EEvPKT_PS2_T2_,"axG",@progbits,_Z16sort_keys_kernelIxLj256ELj4EN10test_utils4lessELj10EEvPKT_PS2_T2_,comdat
.Lfunc_end146:
	.size	_Z16sort_keys_kernelIxLj256ELj4EN10test_utils4lessELj10EEvPKT_PS2_T2_, .Lfunc_end146-_Z16sort_keys_kernelIxLj256ELj4EN10test_utils4lessELj10EEvPKT_PS2_T2_
                                        ; -- End function
	.section	.AMDGPU.csdata,"",@progbits
; Kernel info:
; codeLenInByte = 6652
; NumSgprs: 38
; NumVgprs: 91
; NumAgprs: 0
; TotalNumVgprs: 91
; ScratchSize: 0
; MemoryBound: 0
; FloatMode: 240
; IeeeMode: 1
; LDSByteSize: 8200 bytes/workgroup (compile time only)
; SGPRBlocks: 4
; VGPRBlocks: 11
; NumSGPRsForWavesPerEU: 38
; NumVGPRsForWavesPerEU: 91
; AccumOffset: 92
; Occupancy: 5
; WaveLimiterHint : 1
; COMPUTE_PGM_RSRC2:SCRATCH_EN: 0
; COMPUTE_PGM_RSRC2:USER_SGPR: 2
; COMPUTE_PGM_RSRC2:TRAP_HANDLER: 0
; COMPUTE_PGM_RSRC2:TGID_X_EN: 1
; COMPUTE_PGM_RSRC2:TGID_Y_EN: 0
; COMPUTE_PGM_RSRC2:TGID_Z_EN: 0
; COMPUTE_PGM_RSRC2:TIDIG_COMP_CNT: 0
; COMPUTE_PGM_RSRC3_GFX90A:ACCUM_OFFSET: 22
; COMPUTE_PGM_RSRC3_GFX90A:TG_SPLIT: 0
	.section	.text._Z17sort_pairs_kernelIxLj256ELj4EN10test_utils4lessELj10EEvPKT_PS2_T2_,"axG",@progbits,_Z17sort_pairs_kernelIxLj256ELj4EN10test_utils4lessELj10EEvPKT_PS2_T2_,comdat
	.protected	_Z17sort_pairs_kernelIxLj256ELj4EN10test_utils4lessELj10EEvPKT_PS2_T2_ ; -- Begin function _Z17sort_pairs_kernelIxLj256ELj4EN10test_utils4lessELj10EEvPKT_PS2_T2_
	.globl	_Z17sort_pairs_kernelIxLj256ELj4EN10test_utils4lessELj10EEvPKT_PS2_T2_
	.p2align	8
	.type	_Z17sort_pairs_kernelIxLj256ELj4EN10test_utils4lessELj10EEvPKT_PS2_T2_,@function
_Z17sort_pairs_kernelIxLj256ELj4EN10test_utils4lessELj10EEvPKT_PS2_T2_: ; @_Z17sort_pairs_kernelIxLj256ELj4EN10test_utils4lessELj10EEvPKT_PS2_T2_
; %bb.0:
	s_load_dwordx4 s[36:39], s[0:1], 0x0
	s_lshl_b32 s42, s2, 10
	s_mov_b32 s43, 0
	s_lshl_b64 s[40:41], s[42:43], 3
	v_mov_b32_e32 v3, 0
	s_waitcnt lgkmcnt(0)
	s_add_u32 s0, s36, s40
	s_addc_u32 s1, s37, s41
	v_lshlrev_b32_e32 v2, 3, v0
	v_lshl_add_u64 v[4:5], s[0:1], 0, v[2:3]
	s_movk_i32 s2, 0x1000
	v_add_co_u32_e32 v4, vcc, s2, v4
	v_lshlrev_b32_e32 v1, 2, v0
	s_nop 0
	v_addc_co_u32_e32 v5, vcc, 0, v5, vcc
	global_load_dwordx2 v[10:11], v[4:5], off
	global_load_dwordx2 v[14:15], v2, s[0:1] offset:2048
	global_load_dwordx2 v[12:13], v2, s[0:1]
	global_load_dwordx2 v[16:17], v[4:5], off offset:2048
	v_and_b32_e32 v27, 0x3f8, v1
	v_or_b32_e32 v29, 4, v27
	v_add_u32_e32 v30, 8, v27
	v_and_b32_e32 v36, 0x3f0, v1
	v_and_b32_e32 v28, 4, v1
	v_sub_u32_e32 v3, v30, v29
	v_or_b32_e32 v38, 8, v36
	v_add_u32_e32 v39, 16, v36
	v_and_b32_e32 v45, 0x3e0, v1
	v_sub_u32_e32 v2, v29, v27
	v_sub_u32_e32 v4, v28, v3
	v_cmp_ge_i32_e32 vcc, v28, v3
	v_and_b32_e32 v37, 12, v1
	v_sub_u32_e32 v3, v39, v38
	v_or_b32_e32 v47, 16, v45
	v_add_u32_e32 v48, 32, v45
	v_and_b32_e32 v54, 0x3c0, v1
	v_cndmask_b32_e32 v33, 0, v4, vcc
	v_min_i32_e32 v34, v28, v2
	v_sub_u32_e32 v2, v38, v36
	v_sub_u32_e32 v4, v37, v3
	v_cmp_ge_i32_e64 s[0:1], v37, v3
	v_and_b32_e32 v46, 28, v1
	v_sub_u32_e32 v3, v48, v47
	v_or_b32_e32 v56, 32, v54
	v_add_u32_e32 v57, 64, v54
	v_and_b32_e32 v62, 0x380, v1
	v_cndmask_b32_e64 v42, 0, v4, s[0:1]
	v_min_i32_e32 v43, v37, v2
	v_sub_u32_e32 v2, v47, v45
	v_sub_u32_e32 v4, v46, v3
	v_cmp_ge_i32_e64 s[2:3], v46, v3
	v_and_b32_e32 v55, 60, v1
	v_sub_u32_e32 v3, v57, v56
	v_or_b32_e32 v64, 64, v62
	v_add_u32_e32 v65, 0x80, v62
	v_and_b32_e32 v68, 0x300, v1
	v_cndmask_b32_e64 v51, 0, v4, s[2:3]
	;; [unrolled: 10-line block ×3, first 2 shown]
	v_min_i32_e32 v61, v55, v2
	v_sub_u32_e32 v2, v64, v62
	v_sub_u32_e32 v4, v63, v3
	v_cmp_ge_i32_e64 s[6:7], v63, v3
	v_and_b32_e32 v69, 0xfc, v1
	v_sub_u32_e32 v3, v71, v70
	v_or_b32_e32 v77, 0x100, v75
	v_add_u32_e32 v78, 0x200, v75
	v_cndmask_b32_e64 v66, 0, v4, s[6:7]
	v_min_i32_e32 v67, v63, v2
	v_sub_u32_e32 v2, v70, v68
	v_sub_u32_e32 v4, v69, v3
	v_cmp_ge_i32_e64 s[8:9], v69, v3
	v_and_b32_e32 v76, 0x1fc, v1
	v_sub_u32_e32 v3, v78, v77
	v_cndmask_b32_e64 v72, 0, v4, s[8:9]
	v_min_i32_e32 v73, v69, v2
	v_mov_b32_e32 v74, 0x200
	v_sub_u32_e32 v2, v77, v75
	v_sub_u32_e32 v4, v76, v3
	v_cmp_ge_i32_e64 s[10:11], v76, v3
	v_min_i32_e32 v80, v76, v2
	v_sub_u32_e64 v81, v1, v74 clamp
	v_cndmask_b32_e64 v79, 0, v4, s[10:11]
	v_min_i32_e32 v82, 0x200, v1
	v_lshlrev_b32_e32 v26, 5, v0
	v_lshlrev_b32_e32 v31, 3, v27
	;; [unrolled: 1-line block ×3, first 2 shown]
	v_cmp_lt_i32_e32 vcc, v33, v34
	v_add_u32_e32 v35, v29, v28
	v_lshlrev_b32_e32 v40, 3, v36
	v_lshlrev_b32_e32 v41, 3, v38
	v_cmp_lt_i32_e64 s[0:1], v42, v43
	v_add_u32_e32 v44, v38, v37
	v_lshlrev_b32_e32 v49, 3, v45
	v_lshlrev_b32_e32 v50, 3, v47
	v_cmp_lt_i32_e64 s[2:3], v51, v52
	;; [unrolled: 4-line block ×3, first 2 shown]
	v_cmp_lt_i32_e64 s[6:7], v66, v67
	v_cmp_lt_i32_e64 s[8:9], v72, v73
	;; [unrolled: 1-line block ×4, first 2 shown]
	s_movk_i32 s33, 0x400
	v_add_u32_e32 v83, v56, v55
	v_lshlrev_b32_e32 v84, 3, v62
	v_lshlrev_b32_e32 v85, 3, v64
	v_add_u32_e32 v86, v64, v63
	v_lshlrev_b32_e32 v87, 3, v68
	v_lshlrev_b32_e32 v88, 3, v70
	;; [unrolled: 3-line block ×3, first 2 shown]
	v_add_u32_e32 v92, v77, v76
	v_mov_b32_e32 v93, 0x1000
	v_add_u32_e32 v94, 0x200, v1
	s_waitcnt vmcnt(1)
	v_lshl_add_u64 v[6:7], v[12:13], 0, 1
	v_lshl_add_u64 v[8:9], v[14:15], 0, 1
	;; [unrolled: 1-line block ×3, first 2 shown]
	s_waitcnt vmcnt(0)
	v_lshl_add_u64 v[4:5], v[16:17], 0, 1
	s_branch .LBB147_2
.LBB147_1:                              ;   in Loop: Header=BB147_2 Depth=1
	s_or_b64 exec, exec, s[20:21]
	v_cndmask_b32_e64 v13, v13, v15, s[14:15]
	v_cndmask_b32_e64 v12, v12, v14, s[14:15]
	;; [unrolled: 1-line block ×5, first 2 shown]
	v_cmp_ge_i32_e64 s[18:19], v101, v74
	s_waitcnt lgkmcnt(0)
	v_cmp_lt_i64_e64 s[20:21], v[24:25], v[22:23]
	v_cndmask_b32_e64 v11, v11, v19, s[16:17]
	v_cndmask_b32_e64 v19, v95, v96, s[14:15]
	v_cmp_gt_i32_e64 s[14:15], s33, v99
	s_or_b64 s[18:19], s[18:19], s[20:21]
	s_and_b64 s[14:15], s[14:15], s[18:19]
	v_cndmask_b32_e64 v20, v101, v99, s[14:15]
	s_barrier
	ds_write2_b64 v26, v[6:7], v[8:9] offset1:1
	ds_write2_b64 v26, v[2:3], v[4:5] offset0:2 offset1:3
	v_lshlrev_b32_e32 v2, 3, v19
	v_lshlrev_b32_e32 v3, 3, v16
	;; [unrolled: 1-line block ×4, first 2 shown]
	s_waitcnt lgkmcnt(0)
	s_barrier
	ds_read_b64 v[6:7], v2
	ds_read_b64 v[8:9], v3
	;; [unrolled: 1-line block ×4, first 2 shown]
	s_add_i32 s43, s43, 1
	v_cndmask_b32_e64 v17, v23, v25, s[14:15]
	v_cndmask_b32_e64 v10, v10, v18, s[16:17]
	s_cmp_eq_u32 s43, 10
	v_cndmask_b32_e64 v16, v22, v24, s[14:15]
	s_cbranch_scc1 .LBB147_130
.LBB147_2:                              ; =>This Loop Header: Depth=1
                                        ;     Child Loop BB147_4 Depth 2
                                        ;     Child Loop BB147_20 Depth 2
	;; [unrolled: 1-line block ×8, first 2 shown]
	v_cmp_lt_i64_e64 s[14:15], v[14:15], v[12:13]
	v_cmp_lt_i64_e64 s[16:17], v[16:17], v[10:11]
	s_nop 0
	v_cndmask_b32_e64 v19, v13, v15, s[14:15]
	v_cndmask_b32_e64 v18, v12, v14, s[14:15]
	;; [unrolled: 1-line block ×8, first 2 shown]
	v_cmp_lt_i64_e64 s[18:19], v[10:11], v[12:13]
	s_barrier
	s_nop 0
	v_cndmask_b32_e64 v17, v11, v13, s[18:19]
	v_cndmask_b32_e64 v16, v10, v12, s[18:19]
	;; [unrolled: 1-line block ×4, first 2 shown]
	v_cmp_lt_i64_e64 s[20:21], v[10:11], v[18:19]
	v_cmp_lt_i64_e64 s[22:23], v[14:15], v[16:17]
	s_nop 0
	v_cndmask_b32_e64 v13, v11, v19, s[20:21]
	v_cndmask_b32_e64 v12, v10, v18, s[20:21]
	;; [unrolled: 1-line block ×8, first 2 shown]
	v_cmp_lt_i64_e64 s[24:25], v[14:15], v[12:13]
	s_nop 1
	v_cndmask_b32_e64 v17, v15, v13, s[24:25]
	v_cndmask_b32_e64 v16, v14, v12, s[24:25]
	;; [unrolled: 1-line block ×4, first 2 shown]
	v_mov_b32_e32 v14, v33
	ds_write2_b64 v26, v[10:11], v[12:13] offset1:1
	ds_write2_b64 v26, v[16:17], v[18:19] offset0:2 offset1:3
	s_waitcnt lgkmcnt(0)
	s_barrier
	s_and_saveexec_b64 s[28:29], vcc
	s_cbranch_execz .LBB147_6
; %bb.3:                                ;   in Loop: Header=BB147_2 Depth=1
	s_mov_b64 s[30:31], 0
	v_mov_b32_e32 v14, v33
	v_mov_b32_e32 v10, v34
.LBB147_4:                              ;   Parent Loop BB147_2 Depth=1
                                        ; =>  This Inner Loop Header: Depth=2
	v_sub_u32_e32 v11, v10, v14
	v_lshrrev_b32_e32 v12, 31, v11
	v_add_u32_e32 v11, v11, v12
	v_ashrrev_i32_e32 v11, 1, v11
	v_add_u32_e32 v11, v11, v14
	v_lshl_add_u32 v12, v11, 3, v31
	v_xad_u32 v13, v11, -1, v28
	v_lshl_add_u32 v15, v13, 3, v32
	ds_read_b64 v[12:13], v12
	ds_read_b64 v[16:17], v15
	v_add_u32_e32 v15, 1, v11
	s_waitcnt lgkmcnt(0)
	v_cmp_lt_i64_e64 s[26:27], v[16:17], v[12:13]
	s_nop 1
	v_cndmask_b32_e64 v10, v10, v11, s[26:27]
	v_cndmask_b32_e64 v14, v15, v14, s[26:27]
	v_cmp_ge_i32_e64 s[26:27], v14, v10
	s_or_b64 s[30:31], s[26:27], s[30:31]
	s_andn2_b64 exec, exec, s[30:31]
	s_cbranch_execnz .LBB147_4
; %bb.5:                                ;   in Loop: Header=BB147_2 Depth=1
	s_or_b64 exec, exec, s[30:31]
.LBB147_6:                              ;   in Loop: Header=BB147_2 Depth=1
	s_or_b64 exec, exec, s[28:29]
	v_sub_u32_e32 v95, v35, v14
	v_lshl_add_u32 v16, v14, 3, v31
	v_lshlrev_b32_e32 v18, 3, v95
	ds_read_b64 v[10:11], v16
	ds_read_b64 v[12:13], v18
	v_add_u32_e32 v96, v14, v27
	v_cmp_le_i32_e64 s[28:29], v29, v96
	v_cmp_gt_i32_e64 s[26:27], v30, v95
                                        ; implicit-def: $vgpr14_vgpr15
	s_waitcnt lgkmcnt(0)
	v_cmp_lt_i64_e64 s[30:31], v[12:13], v[10:11]
	s_or_b64 s[28:29], s[28:29], s[30:31]
	s_and_b64 s[26:27], s[26:27], s[28:29]
	s_xor_b64 s[28:29], s[26:27], -1
	s_and_saveexec_b64 s[30:31], s[28:29]
	s_xor_b64 s[28:29], exec, s[30:31]
	s_cbranch_execz .LBB147_8
; %bb.7:                                ;   in Loop: Header=BB147_2 Depth=1
	ds_read_b64 v[14:15], v16 offset:8
                                        ; implicit-def: $vgpr18
.LBB147_8:                              ;   in Loop: Header=BB147_2 Depth=1
	s_or_saveexec_b64 s[28:29], s[28:29]
	v_mov_b64_e32 v[16:17], v[12:13]
	s_xor_b64 exec, exec, s[28:29]
	s_cbranch_execz .LBB147_10
; %bb.9:                                ;   in Loop: Header=BB147_2 Depth=1
	ds_read_b64 v[16:17], v18 offset:8
	s_waitcnt lgkmcnt(1)
	v_mov_b64_e32 v[14:15], v[10:11]
.LBB147_10:                             ;   in Loop: Header=BB147_2 Depth=1
	s_or_b64 exec, exec, s[28:29]
	v_add_u32_e32 v19, 1, v96
	v_add_u32_e32 v18, 1, v95
	v_cndmask_b32_e64 v98, v19, v96, s[26:27]
	v_cndmask_b32_e64 v97, v95, v18, s[26:27]
	v_cmp_ge_i32_e64 s[30:31], v98, v29
	s_waitcnt lgkmcnt(0)
	v_cmp_lt_i64_e64 s[34:35], v[16:17], v[14:15]
	v_cmp_lt_i32_e64 s[28:29], v97, v30
	s_or_b64 s[30:31], s[30:31], s[34:35]
	s_and_b64 s[28:29], s[28:29], s[30:31]
	s_xor_b64 s[30:31], s[28:29], -1
                                        ; implicit-def: $vgpr18_vgpr19
	s_and_saveexec_b64 s[34:35], s[30:31]
	s_xor_b64 s[30:31], exec, s[34:35]
	s_cbranch_execz .LBB147_12
; %bb.11:                               ;   in Loop: Header=BB147_2 Depth=1
	v_lshlrev_b32_e32 v18, 3, v98
	ds_read_b64 v[18:19], v18 offset:8
.LBB147_12:                             ;   in Loop: Header=BB147_2 Depth=1
	s_or_saveexec_b64 s[30:31], s[30:31]
	v_mov_b64_e32 v[22:23], v[16:17]
	s_xor_b64 exec, exec, s[30:31]
	s_cbranch_execz .LBB147_14
; %bb.13:                               ;   in Loop: Header=BB147_2 Depth=1
	s_waitcnt lgkmcnt(0)
	v_lshlrev_b32_e32 v18, 3, v97
	ds_read_b64 v[22:23], v18 offset:8
	v_mov_b64_e32 v[18:19], v[14:15]
.LBB147_14:                             ;   in Loop: Header=BB147_2 Depth=1
	s_or_b64 exec, exec, s[30:31]
	v_add_u32_e32 v21, 1, v98
	v_add_u32_e32 v20, 1, v97
	v_cndmask_b32_e64 v100, v21, v98, s[28:29]
	v_cndmask_b32_e64 v99, v97, v20, s[28:29]
	v_cmp_ge_i32_e64 s[34:35], v100, v29
	s_waitcnt lgkmcnt(0)
	v_cmp_lt_i64_e64 s[36:37], v[22:23], v[18:19]
	v_cmp_lt_i32_e64 s[30:31], v99, v30
	s_or_b64 s[34:35], s[34:35], s[36:37]
	s_and_b64 s[30:31], s[30:31], s[34:35]
	s_xor_b64 s[34:35], s[30:31], -1
                                        ; implicit-def: $vgpr20_vgpr21
	s_and_saveexec_b64 s[36:37], s[34:35]
	s_xor_b64 s[34:35], exec, s[36:37]
	s_cbranch_execz .LBB147_16
; %bb.15:                               ;   in Loop: Header=BB147_2 Depth=1
	v_lshlrev_b32_e32 v20, 3, v100
	ds_read_b64 v[20:21], v20 offset:8
.LBB147_16:                             ;   in Loop: Header=BB147_2 Depth=1
	s_or_saveexec_b64 s[34:35], s[34:35]
	v_mov_b64_e32 v[24:25], v[22:23]
	s_xor_b64 exec, exec, s[34:35]
	s_cbranch_execz .LBB147_18
; %bb.17:                               ;   in Loop: Header=BB147_2 Depth=1
	s_waitcnt lgkmcnt(0)
	v_lshlrev_b32_e32 v20, 3, v99
	ds_read_b64 v[24:25], v20 offset:8
	v_mov_b64_e32 v[20:21], v[18:19]
.LBB147_18:                             ;   in Loop: Header=BB147_2 Depth=1
	s_or_b64 exec, exec, s[34:35]
	v_cndmask_b32_e64 v19, v19, v23, s[30:31]
	v_add_u32_e32 v23, 1, v100
	v_cndmask_b32_e64 v18, v18, v22, s[30:31]
	v_add_u32_e32 v22, 1, v99
	v_cndmask_b32_e64 v23, v23, v100, s[30:31]
	v_cndmask_b32_e64 v11, v11, v13, s[26:27]
	v_cndmask_b32_e64 v10, v10, v12, s[26:27]
	v_cndmask_b32_e64 v12, v6, v8, s[14:15]
	v_cndmask_b32_e64 v13, v7, v9, s[14:15]
	v_cndmask_b32_e64 v7, v9, v7, s[14:15]
	v_cndmask_b32_e64 v6, v8, v6, s[14:15]
	v_cndmask_b32_e64 v8, v4, v2, s[16:17]
	v_cndmask_b32_e64 v9, v5, v3, s[16:17]
	v_cndmask_b32_e64 v3, v3, v5, s[16:17]
	v_cndmask_b32_e64 v2, v2, v4, s[16:17]
	v_cndmask_b32_e64 v22, v99, v22, s[30:31]
	v_cndmask_b32_e64 v15, v15, v17, s[28:29]
	v_cndmask_b32_e64 v17, v96, v95, s[26:27]
	v_cndmask_b32_e64 v95, v2, v6, s[18:19]
	v_cndmask_b32_e64 v96, v3, v7, s[18:19]
	v_cndmask_b32_e64 v4, v6, v2, s[18:19]
	v_cndmask_b32_e64 v5, v7, v3, s[18:19]
	v_cmp_ge_i32_e64 s[16:17], v23, v29
	s_waitcnt lgkmcnt(0)
	v_cmp_lt_i64_e64 s[18:19], v[24:25], v[20:21]
	v_cmp_lt_i32_e64 s[14:15], v22, v30
	s_or_b64 s[16:17], s[16:17], s[18:19]
	v_cndmask_b32_e64 v3, v13, v5, s[20:21]
	v_cndmask_b32_e64 v2, v12, v4, s[20:21]
	;; [unrolled: 1-line block ×8, first 2 shown]
	s_and_b64 s[14:15], s[14:15], s[16:17]
	v_cndmask_b32_e64 v99, v100, v99, s[30:31]
	v_cndmask_b32_e64 v14, v14, v16, s[28:29]
	;; [unrolled: 1-line block ×9, first 2 shown]
	s_barrier
	ds_write2_b64 v26, v[2:3], v[8:9] offset1:1
	ds_write2_b64 v26, v[6:7], v[4:5] offset0:2 offset1:3
	v_lshlrev_b32_e32 v2, 3, v17
	v_lshlrev_b32_e32 v3, 3, v16
	;; [unrolled: 1-line block ×4, first 2 shown]
	s_waitcnt lgkmcnt(0)
	s_barrier
	ds_read_b64 v[6:7], v2
	ds_read_b64 v[8:9], v3
	;; [unrolled: 1-line block ×4, first 2 shown]
	v_cndmask_b32_e64 v13, v21, v25, s[14:15]
	s_waitcnt lgkmcnt(0)
	s_barrier
	ds_write2_b64 v26, v[10:11], v[14:15] offset1:1
	ds_write2_b64 v26, v[18:19], v[12:13] offset0:2 offset1:3
	v_mov_b32_e32 v14, v42
	s_waitcnt lgkmcnt(0)
	s_barrier
	s_and_saveexec_b64 s[16:17], s[0:1]
	s_cbranch_execz .LBB147_22
; %bb.19:                               ;   in Loop: Header=BB147_2 Depth=1
	s_mov_b64 s[18:19], 0
	v_mov_b32_e32 v14, v42
	v_mov_b32_e32 v10, v43
.LBB147_20:                             ;   Parent Loop BB147_2 Depth=1
                                        ; =>  This Inner Loop Header: Depth=2
	v_sub_u32_e32 v11, v10, v14
	v_lshrrev_b32_e32 v12, 31, v11
	v_add_u32_e32 v11, v11, v12
	v_ashrrev_i32_e32 v11, 1, v11
	v_add_u32_e32 v11, v11, v14
	v_lshl_add_u32 v12, v11, 3, v40
	v_xad_u32 v13, v11, -1, v37
	v_lshl_add_u32 v15, v13, 3, v41
	ds_read_b64 v[12:13], v12
	ds_read_b64 v[16:17], v15
	v_add_u32_e32 v15, 1, v11
	s_waitcnt lgkmcnt(0)
	v_cmp_lt_i64_e64 s[14:15], v[16:17], v[12:13]
	s_nop 1
	v_cndmask_b32_e64 v10, v10, v11, s[14:15]
	v_cndmask_b32_e64 v14, v15, v14, s[14:15]
	v_cmp_ge_i32_e64 s[14:15], v14, v10
	s_or_b64 s[18:19], s[14:15], s[18:19]
	s_andn2_b64 exec, exec, s[18:19]
	s_cbranch_execnz .LBB147_20
; %bb.21:                               ;   in Loop: Header=BB147_2 Depth=1
	s_or_b64 exec, exec, s[18:19]
.LBB147_22:                             ;   in Loop: Header=BB147_2 Depth=1
	s_or_b64 exec, exec, s[16:17]
	v_sub_u32_e32 v95, v44, v14
	v_lshl_add_u32 v16, v14, 3, v40
	v_lshlrev_b32_e32 v18, 3, v95
	ds_read_b64 v[10:11], v16
	ds_read_b64 v[12:13], v18
	v_add_u32_e32 v96, v14, v36
	v_cmp_le_i32_e64 s[16:17], v38, v96
	v_cmp_gt_i32_e64 s[14:15], v39, v95
                                        ; implicit-def: $vgpr14_vgpr15
	s_waitcnt lgkmcnt(0)
	v_cmp_lt_i64_e64 s[18:19], v[12:13], v[10:11]
	s_or_b64 s[16:17], s[16:17], s[18:19]
	s_and_b64 s[14:15], s[14:15], s[16:17]
	s_xor_b64 s[16:17], s[14:15], -1
	s_and_saveexec_b64 s[18:19], s[16:17]
	s_xor_b64 s[16:17], exec, s[18:19]
	s_cbranch_execz .LBB147_24
; %bb.23:                               ;   in Loop: Header=BB147_2 Depth=1
	ds_read_b64 v[14:15], v16 offset:8
                                        ; implicit-def: $vgpr18
.LBB147_24:                             ;   in Loop: Header=BB147_2 Depth=1
	s_or_saveexec_b64 s[16:17], s[16:17]
	v_mov_b64_e32 v[16:17], v[12:13]
	s_xor_b64 exec, exec, s[16:17]
	s_cbranch_execz .LBB147_26
; %bb.25:                               ;   in Loop: Header=BB147_2 Depth=1
	ds_read_b64 v[16:17], v18 offset:8
	s_waitcnt lgkmcnt(1)
	v_mov_b64_e32 v[14:15], v[10:11]
.LBB147_26:                             ;   in Loop: Header=BB147_2 Depth=1
	s_or_b64 exec, exec, s[16:17]
	v_add_u32_e32 v19, 1, v96
	v_add_u32_e32 v18, 1, v95
	v_cndmask_b32_e64 v98, v19, v96, s[14:15]
	v_cndmask_b32_e64 v97, v95, v18, s[14:15]
	v_cmp_ge_i32_e64 s[18:19], v98, v38
	s_waitcnt lgkmcnt(0)
	v_cmp_lt_i64_e64 s[20:21], v[16:17], v[14:15]
	v_cmp_lt_i32_e64 s[16:17], v97, v39
	s_or_b64 s[18:19], s[18:19], s[20:21]
	s_and_b64 s[16:17], s[16:17], s[18:19]
	s_xor_b64 s[18:19], s[16:17], -1
                                        ; implicit-def: $vgpr18_vgpr19
	s_and_saveexec_b64 s[20:21], s[18:19]
	s_xor_b64 s[18:19], exec, s[20:21]
	s_cbranch_execz .LBB147_28
; %bb.27:                               ;   in Loop: Header=BB147_2 Depth=1
	v_lshlrev_b32_e32 v18, 3, v98
	ds_read_b64 v[18:19], v18 offset:8
.LBB147_28:                             ;   in Loop: Header=BB147_2 Depth=1
	s_or_saveexec_b64 s[18:19], s[18:19]
	v_mov_b64_e32 v[20:21], v[16:17]
	s_xor_b64 exec, exec, s[18:19]
	s_cbranch_execz .LBB147_30
; %bb.29:                               ;   in Loop: Header=BB147_2 Depth=1
	s_waitcnt lgkmcnt(0)
	v_lshlrev_b32_e32 v18, 3, v97
	ds_read_b64 v[20:21], v18 offset:8
	v_mov_b64_e32 v[18:19], v[14:15]
.LBB147_30:                             ;   in Loop: Header=BB147_2 Depth=1
	s_or_b64 exec, exec, s[18:19]
	v_add_u32_e32 v23, 1, v98
	v_add_u32_e32 v22, 1, v97
	v_cndmask_b32_e64 v100, v23, v98, s[16:17]
	v_cndmask_b32_e64 v99, v97, v22, s[16:17]
	v_cmp_ge_i32_e64 s[20:21], v100, v38
	s_waitcnt lgkmcnt(0)
	v_cmp_lt_i64_e64 s[22:23], v[20:21], v[18:19]
	v_cmp_lt_i32_e64 s[18:19], v99, v39
	s_or_b64 s[20:21], s[20:21], s[22:23]
	s_and_b64 s[18:19], s[18:19], s[20:21]
	s_xor_b64 s[20:21], s[18:19], -1
                                        ; implicit-def: $vgpr22_vgpr23
	s_and_saveexec_b64 s[22:23], s[20:21]
	s_xor_b64 s[20:21], exec, s[22:23]
	s_cbranch_execz .LBB147_32
; %bb.31:                               ;   in Loop: Header=BB147_2 Depth=1
	v_lshlrev_b32_e32 v22, 3, v100
	ds_read_b64 v[22:23], v22 offset:8
.LBB147_32:                             ;   in Loop: Header=BB147_2 Depth=1
	s_or_saveexec_b64 s[20:21], s[20:21]
	v_mov_b64_e32 v[24:25], v[20:21]
	s_xor_b64 exec, exec, s[20:21]
	s_cbranch_execz .LBB147_34
; %bb.33:                               ;   in Loop: Header=BB147_2 Depth=1
	s_waitcnt lgkmcnt(0)
	v_lshlrev_b32_e32 v22, 3, v99
	ds_read_b64 v[24:25], v22 offset:8
	v_mov_b64_e32 v[22:23], v[18:19]
.LBB147_34:                             ;   in Loop: Header=BB147_2 Depth=1
	s_or_b64 exec, exec, s[20:21]
	v_cndmask_b32_e64 v19, v19, v21, s[18:19]
	v_add_u32_e32 v21, 1, v100
	v_cndmask_b32_e64 v18, v18, v20, s[18:19]
	v_add_u32_e32 v20, 1, v99
	v_cndmask_b32_e64 v21, v21, v100, s[18:19]
	v_cndmask_b32_e64 v20, v99, v20, s[18:19]
	v_cndmask_b32_e64 v99, v100, v99, s[18:19]
	v_cndmask_b32_e64 v15, v15, v17, s[16:17]
	v_cndmask_b32_e64 v14, v14, v16, s[16:17]
	v_cndmask_b32_e64 v16, v98, v97, s[16:17]
	v_cmp_ge_i32_e64 s[16:17], v21, v38
	s_waitcnt lgkmcnt(0)
	v_cmp_lt_i64_e64 s[18:19], v[24:25], v[22:23]
	v_cndmask_b32_e64 v11, v11, v13, s[14:15]
	v_cndmask_b32_e64 v10, v10, v12, s[14:15]
	;; [unrolled: 1-line block ×3, first 2 shown]
	v_cmp_lt_i32_e64 s[14:15], v20, v39
	s_or_b64 s[16:17], s[16:17], s[18:19]
	s_and_b64 s[14:15], s[14:15], s[16:17]
	v_cndmask_b32_e64 v20, v21, v20, s[14:15]
	s_barrier
	ds_write2_b64 v26, v[6:7], v[8:9] offset1:1
	ds_write2_b64 v26, v[2:3], v[4:5] offset0:2 offset1:3
	v_lshlrev_b32_e32 v2, 3, v17
	v_lshlrev_b32_e32 v3, 3, v16
	;; [unrolled: 1-line block ×4, first 2 shown]
	s_waitcnt lgkmcnt(0)
	s_barrier
	ds_read_b64 v[6:7], v2
	ds_read_b64 v[8:9], v3
	;; [unrolled: 1-line block ×4, first 2 shown]
	v_cndmask_b32_e64 v13, v23, v25, s[14:15]
	v_cndmask_b32_e64 v12, v22, v24, s[14:15]
	s_waitcnt lgkmcnt(0)
	s_barrier
	ds_write2_b64 v26, v[10:11], v[14:15] offset1:1
	ds_write2_b64 v26, v[18:19], v[12:13] offset0:2 offset1:3
	v_mov_b32_e32 v14, v51
	s_waitcnt lgkmcnt(0)
	s_barrier
	s_and_saveexec_b64 s[16:17], s[2:3]
	s_cbranch_execz .LBB147_38
; %bb.35:                               ;   in Loop: Header=BB147_2 Depth=1
	s_mov_b64 s[18:19], 0
	v_mov_b32_e32 v14, v51
	v_mov_b32_e32 v10, v52
.LBB147_36:                             ;   Parent Loop BB147_2 Depth=1
                                        ; =>  This Inner Loop Header: Depth=2
	v_sub_u32_e32 v11, v10, v14
	v_lshrrev_b32_e32 v12, 31, v11
	v_add_u32_e32 v11, v11, v12
	v_ashrrev_i32_e32 v11, 1, v11
	v_add_u32_e32 v11, v11, v14
	v_lshl_add_u32 v12, v11, 3, v49
	v_xad_u32 v13, v11, -1, v46
	v_lshl_add_u32 v15, v13, 3, v50
	ds_read_b64 v[12:13], v12
	ds_read_b64 v[16:17], v15
	v_add_u32_e32 v15, 1, v11
	s_waitcnt lgkmcnt(0)
	v_cmp_lt_i64_e64 s[14:15], v[16:17], v[12:13]
	s_nop 1
	v_cndmask_b32_e64 v10, v10, v11, s[14:15]
	v_cndmask_b32_e64 v14, v15, v14, s[14:15]
	v_cmp_ge_i32_e64 s[14:15], v14, v10
	s_or_b64 s[18:19], s[14:15], s[18:19]
	s_andn2_b64 exec, exec, s[18:19]
	s_cbranch_execnz .LBB147_36
; %bb.37:                               ;   in Loop: Header=BB147_2 Depth=1
	s_or_b64 exec, exec, s[18:19]
.LBB147_38:                             ;   in Loop: Header=BB147_2 Depth=1
	s_or_b64 exec, exec, s[16:17]
	v_sub_u32_e32 v95, v53, v14
	v_lshl_add_u32 v16, v14, 3, v49
	v_lshlrev_b32_e32 v18, 3, v95
	ds_read_b64 v[10:11], v16
	ds_read_b64 v[12:13], v18
	v_add_u32_e32 v96, v14, v45
	v_cmp_le_i32_e64 s[16:17], v47, v96
	v_cmp_gt_i32_e64 s[14:15], v48, v95
                                        ; implicit-def: $vgpr14_vgpr15
	s_waitcnt lgkmcnt(0)
	v_cmp_lt_i64_e64 s[18:19], v[12:13], v[10:11]
	s_or_b64 s[16:17], s[16:17], s[18:19]
	s_and_b64 s[14:15], s[14:15], s[16:17]
	s_xor_b64 s[16:17], s[14:15], -1
	s_and_saveexec_b64 s[18:19], s[16:17]
	s_xor_b64 s[16:17], exec, s[18:19]
	s_cbranch_execz .LBB147_40
; %bb.39:                               ;   in Loop: Header=BB147_2 Depth=1
	ds_read_b64 v[14:15], v16 offset:8
                                        ; implicit-def: $vgpr18
.LBB147_40:                             ;   in Loop: Header=BB147_2 Depth=1
	s_or_saveexec_b64 s[16:17], s[16:17]
	v_mov_b64_e32 v[16:17], v[12:13]
	s_xor_b64 exec, exec, s[16:17]
	s_cbranch_execz .LBB147_42
; %bb.41:                               ;   in Loop: Header=BB147_2 Depth=1
	ds_read_b64 v[16:17], v18 offset:8
	s_waitcnt lgkmcnt(1)
	v_mov_b64_e32 v[14:15], v[10:11]
.LBB147_42:                             ;   in Loop: Header=BB147_2 Depth=1
	s_or_b64 exec, exec, s[16:17]
	v_add_u32_e32 v19, 1, v96
	v_add_u32_e32 v18, 1, v95
	v_cndmask_b32_e64 v98, v19, v96, s[14:15]
	v_cndmask_b32_e64 v97, v95, v18, s[14:15]
	v_cmp_ge_i32_e64 s[18:19], v98, v47
	s_waitcnt lgkmcnt(0)
	v_cmp_lt_i64_e64 s[20:21], v[16:17], v[14:15]
	v_cmp_lt_i32_e64 s[16:17], v97, v48
	s_or_b64 s[18:19], s[18:19], s[20:21]
	s_and_b64 s[16:17], s[16:17], s[18:19]
	s_xor_b64 s[18:19], s[16:17], -1
                                        ; implicit-def: $vgpr18_vgpr19
	s_and_saveexec_b64 s[20:21], s[18:19]
	s_xor_b64 s[18:19], exec, s[20:21]
	s_cbranch_execz .LBB147_44
; %bb.43:                               ;   in Loop: Header=BB147_2 Depth=1
	v_lshlrev_b32_e32 v18, 3, v98
	ds_read_b64 v[18:19], v18 offset:8
.LBB147_44:                             ;   in Loop: Header=BB147_2 Depth=1
	s_or_saveexec_b64 s[18:19], s[18:19]
	v_mov_b64_e32 v[20:21], v[16:17]
	s_xor_b64 exec, exec, s[18:19]
	s_cbranch_execz .LBB147_46
; %bb.45:                               ;   in Loop: Header=BB147_2 Depth=1
	s_waitcnt lgkmcnt(0)
	v_lshlrev_b32_e32 v18, 3, v97
	ds_read_b64 v[20:21], v18 offset:8
	v_mov_b64_e32 v[18:19], v[14:15]
.LBB147_46:                             ;   in Loop: Header=BB147_2 Depth=1
	s_or_b64 exec, exec, s[18:19]
	v_add_u32_e32 v23, 1, v98
	v_add_u32_e32 v22, 1, v97
	v_cndmask_b32_e64 v100, v23, v98, s[16:17]
	v_cndmask_b32_e64 v99, v97, v22, s[16:17]
	v_cmp_ge_i32_e64 s[20:21], v100, v47
	s_waitcnt lgkmcnt(0)
	v_cmp_lt_i64_e64 s[22:23], v[20:21], v[18:19]
	v_cmp_lt_i32_e64 s[18:19], v99, v48
	s_or_b64 s[20:21], s[20:21], s[22:23]
	s_and_b64 s[18:19], s[18:19], s[20:21]
	s_xor_b64 s[20:21], s[18:19], -1
                                        ; implicit-def: $vgpr22_vgpr23
	s_and_saveexec_b64 s[22:23], s[20:21]
	s_xor_b64 s[20:21], exec, s[22:23]
	s_cbranch_execz .LBB147_48
; %bb.47:                               ;   in Loop: Header=BB147_2 Depth=1
	v_lshlrev_b32_e32 v22, 3, v100
	ds_read_b64 v[22:23], v22 offset:8
.LBB147_48:                             ;   in Loop: Header=BB147_2 Depth=1
	s_or_saveexec_b64 s[20:21], s[20:21]
	v_mov_b64_e32 v[24:25], v[20:21]
	s_xor_b64 exec, exec, s[20:21]
	s_cbranch_execz .LBB147_50
; %bb.49:                               ;   in Loop: Header=BB147_2 Depth=1
	s_waitcnt lgkmcnt(0)
	v_lshlrev_b32_e32 v22, 3, v99
	ds_read_b64 v[24:25], v22 offset:8
	v_mov_b64_e32 v[22:23], v[18:19]
.LBB147_50:                             ;   in Loop: Header=BB147_2 Depth=1
	s_or_b64 exec, exec, s[20:21]
	v_cndmask_b32_e64 v19, v19, v21, s[18:19]
	v_add_u32_e32 v21, 1, v100
	v_cndmask_b32_e64 v18, v18, v20, s[18:19]
	v_add_u32_e32 v20, 1, v99
	v_cndmask_b32_e64 v21, v21, v100, s[18:19]
	v_cndmask_b32_e64 v20, v99, v20, s[18:19]
	;; [unrolled: 1-line block ×6, first 2 shown]
	v_cmp_ge_i32_e64 s[16:17], v21, v47
	s_waitcnt lgkmcnt(0)
	v_cmp_lt_i64_e64 s[18:19], v[24:25], v[22:23]
	v_cndmask_b32_e64 v11, v11, v13, s[14:15]
	v_cndmask_b32_e64 v10, v10, v12, s[14:15]
	;; [unrolled: 1-line block ×3, first 2 shown]
	v_cmp_lt_i32_e64 s[14:15], v20, v48
	s_or_b64 s[16:17], s[16:17], s[18:19]
	s_and_b64 s[14:15], s[14:15], s[16:17]
	v_cndmask_b32_e64 v20, v21, v20, s[14:15]
	s_barrier
	ds_write2_b64 v26, v[6:7], v[8:9] offset1:1
	ds_write2_b64 v26, v[2:3], v[4:5] offset0:2 offset1:3
	v_lshlrev_b32_e32 v2, 3, v17
	v_lshlrev_b32_e32 v3, 3, v16
	;; [unrolled: 1-line block ×4, first 2 shown]
	s_waitcnt lgkmcnt(0)
	s_barrier
	ds_read_b64 v[6:7], v2
	ds_read_b64 v[8:9], v3
	;; [unrolled: 1-line block ×4, first 2 shown]
	v_cndmask_b32_e64 v13, v23, v25, s[14:15]
	v_cndmask_b32_e64 v12, v22, v24, s[14:15]
	s_waitcnt lgkmcnt(0)
	s_barrier
	ds_write2_b64 v26, v[10:11], v[14:15] offset1:1
	ds_write2_b64 v26, v[18:19], v[12:13] offset0:2 offset1:3
	v_mov_b32_e32 v14, v60
	s_waitcnt lgkmcnt(0)
	s_barrier
	s_and_saveexec_b64 s[16:17], s[4:5]
	s_cbranch_execz .LBB147_54
; %bb.51:                               ;   in Loop: Header=BB147_2 Depth=1
	s_mov_b64 s[18:19], 0
	v_mov_b32_e32 v14, v60
	v_mov_b32_e32 v10, v61
.LBB147_52:                             ;   Parent Loop BB147_2 Depth=1
                                        ; =>  This Inner Loop Header: Depth=2
	v_sub_u32_e32 v11, v10, v14
	v_lshrrev_b32_e32 v12, 31, v11
	v_add_u32_e32 v11, v11, v12
	v_ashrrev_i32_e32 v11, 1, v11
	v_add_u32_e32 v11, v11, v14
	v_lshl_add_u32 v12, v11, 3, v58
	v_xad_u32 v13, v11, -1, v55
	v_lshl_add_u32 v15, v13, 3, v59
	ds_read_b64 v[12:13], v12
	ds_read_b64 v[16:17], v15
	v_add_u32_e32 v15, 1, v11
	s_waitcnt lgkmcnt(0)
	v_cmp_lt_i64_e64 s[14:15], v[16:17], v[12:13]
	s_nop 1
	v_cndmask_b32_e64 v10, v10, v11, s[14:15]
	v_cndmask_b32_e64 v14, v15, v14, s[14:15]
	v_cmp_ge_i32_e64 s[14:15], v14, v10
	s_or_b64 s[18:19], s[14:15], s[18:19]
	s_andn2_b64 exec, exec, s[18:19]
	s_cbranch_execnz .LBB147_52
; %bb.53:                               ;   in Loop: Header=BB147_2 Depth=1
	s_or_b64 exec, exec, s[18:19]
.LBB147_54:                             ;   in Loop: Header=BB147_2 Depth=1
	s_or_b64 exec, exec, s[16:17]
	v_sub_u32_e32 v95, v83, v14
	v_lshl_add_u32 v16, v14, 3, v58
	v_lshlrev_b32_e32 v18, 3, v95
	ds_read_b64 v[10:11], v16
	ds_read_b64 v[12:13], v18
	v_add_u32_e32 v96, v14, v54
	v_cmp_le_i32_e64 s[16:17], v56, v96
	v_cmp_gt_i32_e64 s[14:15], v57, v95
                                        ; implicit-def: $vgpr14_vgpr15
	s_waitcnt lgkmcnt(0)
	v_cmp_lt_i64_e64 s[18:19], v[12:13], v[10:11]
	s_or_b64 s[16:17], s[16:17], s[18:19]
	s_and_b64 s[14:15], s[14:15], s[16:17]
	s_xor_b64 s[16:17], s[14:15], -1
	s_and_saveexec_b64 s[18:19], s[16:17]
	s_xor_b64 s[16:17], exec, s[18:19]
	s_cbranch_execz .LBB147_56
; %bb.55:                               ;   in Loop: Header=BB147_2 Depth=1
	ds_read_b64 v[14:15], v16 offset:8
                                        ; implicit-def: $vgpr18
.LBB147_56:                             ;   in Loop: Header=BB147_2 Depth=1
	s_or_saveexec_b64 s[16:17], s[16:17]
	v_mov_b64_e32 v[16:17], v[12:13]
	s_xor_b64 exec, exec, s[16:17]
	s_cbranch_execz .LBB147_58
; %bb.57:                               ;   in Loop: Header=BB147_2 Depth=1
	ds_read_b64 v[16:17], v18 offset:8
	s_waitcnt lgkmcnt(1)
	v_mov_b64_e32 v[14:15], v[10:11]
.LBB147_58:                             ;   in Loop: Header=BB147_2 Depth=1
	s_or_b64 exec, exec, s[16:17]
	v_add_u32_e32 v19, 1, v96
	v_add_u32_e32 v18, 1, v95
	v_cndmask_b32_e64 v98, v19, v96, s[14:15]
	v_cndmask_b32_e64 v97, v95, v18, s[14:15]
	v_cmp_ge_i32_e64 s[18:19], v98, v56
	s_waitcnt lgkmcnt(0)
	v_cmp_lt_i64_e64 s[20:21], v[16:17], v[14:15]
	v_cmp_lt_i32_e64 s[16:17], v97, v57
	s_or_b64 s[18:19], s[18:19], s[20:21]
	s_and_b64 s[16:17], s[16:17], s[18:19]
	s_xor_b64 s[18:19], s[16:17], -1
                                        ; implicit-def: $vgpr18_vgpr19
	s_and_saveexec_b64 s[20:21], s[18:19]
	s_xor_b64 s[18:19], exec, s[20:21]
	s_cbranch_execz .LBB147_60
; %bb.59:                               ;   in Loop: Header=BB147_2 Depth=1
	v_lshlrev_b32_e32 v18, 3, v98
	ds_read_b64 v[18:19], v18 offset:8
.LBB147_60:                             ;   in Loop: Header=BB147_2 Depth=1
	s_or_saveexec_b64 s[18:19], s[18:19]
	v_mov_b64_e32 v[20:21], v[16:17]
	s_xor_b64 exec, exec, s[18:19]
	s_cbranch_execz .LBB147_62
; %bb.61:                               ;   in Loop: Header=BB147_2 Depth=1
	s_waitcnt lgkmcnt(0)
	v_lshlrev_b32_e32 v18, 3, v97
	ds_read_b64 v[20:21], v18 offset:8
	v_mov_b64_e32 v[18:19], v[14:15]
.LBB147_62:                             ;   in Loop: Header=BB147_2 Depth=1
	s_or_b64 exec, exec, s[18:19]
	v_add_u32_e32 v23, 1, v98
	v_add_u32_e32 v22, 1, v97
	v_cndmask_b32_e64 v100, v23, v98, s[16:17]
	v_cndmask_b32_e64 v99, v97, v22, s[16:17]
	v_cmp_ge_i32_e64 s[20:21], v100, v56
	s_waitcnt lgkmcnt(0)
	v_cmp_lt_i64_e64 s[22:23], v[20:21], v[18:19]
	v_cmp_lt_i32_e64 s[18:19], v99, v57
	s_or_b64 s[20:21], s[20:21], s[22:23]
	s_and_b64 s[18:19], s[18:19], s[20:21]
	s_xor_b64 s[20:21], s[18:19], -1
                                        ; implicit-def: $vgpr22_vgpr23
	s_and_saveexec_b64 s[22:23], s[20:21]
	s_xor_b64 s[20:21], exec, s[22:23]
	s_cbranch_execz .LBB147_64
; %bb.63:                               ;   in Loop: Header=BB147_2 Depth=1
	v_lshlrev_b32_e32 v22, 3, v100
	ds_read_b64 v[22:23], v22 offset:8
.LBB147_64:                             ;   in Loop: Header=BB147_2 Depth=1
	s_or_saveexec_b64 s[20:21], s[20:21]
	v_mov_b64_e32 v[24:25], v[20:21]
	s_xor_b64 exec, exec, s[20:21]
	s_cbranch_execz .LBB147_66
; %bb.65:                               ;   in Loop: Header=BB147_2 Depth=1
	s_waitcnt lgkmcnt(0)
	v_lshlrev_b32_e32 v22, 3, v99
	ds_read_b64 v[24:25], v22 offset:8
	v_mov_b64_e32 v[22:23], v[18:19]
.LBB147_66:                             ;   in Loop: Header=BB147_2 Depth=1
	s_or_b64 exec, exec, s[20:21]
	v_cndmask_b32_e64 v19, v19, v21, s[18:19]
	v_add_u32_e32 v21, 1, v100
	v_cndmask_b32_e64 v18, v18, v20, s[18:19]
	v_add_u32_e32 v20, 1, v99
	v_cndmask_b32_e64 v21, v21, v100, s[18:19]
	v_cndmask_b32_e64 v20, v99, v20, s[18:19]
	;; [unrolled: 1-line block ×6, first 2 shown]
	v_cmp_ge_i32_e64 s[16:17], v21, v56
	s_waitcnt lgkmcnt(0)
	v_cmp_lt_i64_e64 s[18:19], v[24:25], v[22:23]
	v_cndmask_b32_e64 v11, v11, v13, s[14:15]
	v_cndmask_b32_e64 v10, v10, v12, s[14:15]
	v_cndmask_b32_e64 v17, v96, v95, s[14:15]
	v_cmp_lt_i32_e64 s[14:15], v20, v57
	s_or_b64 s[16:17], s[16:17], s[18:19]
	s_and_b64 s[14:15], s[14:15], s[16:17]
	v_cndmask_b32_e64 v20, v21, v20, s[14:15]
	s_barrier
	ds_write2_b64 v26, v[6:7], v[8:9] offset1:1
	ds_write2_b64 v26, v[2:3], v[4:5] offset0:2 offset1:3
	v_lshlrev_b32_e32 v2, 3, v17
	v_lshlrev_b32_e32 v3, 3, v16
	v_lshlrev_b32_e32 v4, 3, v99
	v_lshlrev_b32_e32 v5, 3, v20
	s_waitcnt lgkmcnt(0)
	s_barrier
	ds_read_b64 v[6:7], v2
	ds_read_b64 v[8:9], v3
	;; [unrolled: 1-line block ×4, first 2 shown]
	v_cndmask_b32_e64 v13, v23, v25, s[14:15]
	v_cndmask_b32_e64 v12, v22, v24, s[14:15]
	s_waitcnt lgkmcnt(0)
	s_barrier
	ds_write2_b64 v26, v[10:11], v[14:15] offset1:1
	ds_write2_b64 v26, v[18:19], v[12:13] offset0:2 offset1:3
	v_mov_b32_e32 v14, v66
	s_waitcnt lgkmcnt(0)
	s_barrier
	s_and_saveexec_b64 s[16:17], s[6:7]
	s_cbranch_execz .LBB147_70
; %bb.67:                               ;   in Loop: Header=BB147_2 Depth=1
	s_mov_b64 s[18:19], 0
	v_mov_b32_e32 v14, v66
	v_mov_b32_e32 v10, v67
.LBB147_68:                             ;   Parent Loop BB147_2 Depth=1
                                        ; =>  This Inner Loop Header: Depth=2
	v_sub_u32_e32 v11, v10, v14
	v_lshrrev_b32_e32 v12, 31, v11
	v_add_u32_e32 v11, v11, v12
	v_ashrrev_i32_e32 v11, 1, v11
	v_add_u32_e32 v11, v11, v14
	v_lshl_add_u32 v12, v11, 3, v84
	v_xad_u32 v13, v11, -1, v63
	v_lshl_add_u32 v15, v13, 3, v85
	ds_read_b64 v[12:13], v12
	ds_read_b64 v[16:17], v15
	v_add_u32_e32 v15, 1, v11
	s_waitcnt lgkmcnt(0)
	v_cmp_lt_i64_e64 s[14:15], v[16:17], v[12:13]
	s_nop 1
	v_cndmask_b32_e64 v10, v10, v11, s[14:15]
	v_cndmask_b32_e64 v14, v15, v14, s[14:15]
	v_cmp_ge_i32_e64 s[14:15], v14, v10
	s_or_b64 s[18:19], s[14:15], s[18:19]
	s_andn2_b64 exec, exec, s[18:19]
	s_cbranch_execnz .LBB147_68
; %bb.69:                               ;   in Loop: Header=BB147_2 Depth=1
	s_or_b64 exec, exec, s[18:19]
.LBB147_70:                             ;   in Loop: Header=BB147_2 Depth=1
	s_or_b64 exec, exec, s[16:17]
	v_sub_u32_e32 v95, v86, v14
	v_lshl_add_u32 v16, v14, 3, v84
	v_lshlrev_b32_e32 v18, 3, v95
	ds_read_b64 v[10:11], v16
	ds_read_b64 v[12:13], v18
	v_add_u32_e32 v96, v14, v62
	v_cmp_le_i32_e64 s[16:17], v64, v96
	v_cmp_gt_i32_e64 s[14:15], v65, v95
                                        ; implicit-def: $vgpr14_vgpr15
	s_waitcnt lgkmcnt(0)
	v_cmp_lt_i64_e64 s[18:19], v[12:13], v[10:11]
	s_or_b64 s[16:17], s[16:17], s[18:19]
	s_and_b64 s[14:15], s[14:15], s[16:17]
	s_xor_b64 s[16:17], s[14:15], -1
	s_and_saveexec_b64 s[18:19], s[16:17]
	s_xor_b64 s[16:17], exec, s[18:19]
	s_cbranch_execz .LBB147_72
; %bb.71:                               ;   in Loop: Header=BB147_2 Depth=1
	ds_read_b64 v[14:15], v16 offset:8
                                        ; implicit-def: $vgpr18
.LBB147_72:                             ;   in Loop: Header=BB147_2 Depth=1
	s_or_saveexec_b64 s[16:17], s[16:17]
	v_mov_b64_e32 v[16:17], v[12:13]
	s_xor_b64 exec, exec, s[16:17]
	s_cbranch_execz .LBB147_74
; %bb.73:                               ;   in Loop: Header=BB147_2 Depth=1
	ds_read_b64 v[16:17], v18 offset:8
	s_waitcnt lgkmcnt(1)
	v_mov_b64_e32 v[14:15], v[10:11]
.LBB147_74:                             ;   in Loop: Header=BB147_2 Depth=1
	s_or_b64 exec, exec, s[16:17]
	v_add_u32_e32 v19, 1, v96
	v_add_u32_e32 v18, 1, v95
	v_cndmask_b32_e64 v98, v19, v96, s[14:15]
	v_cndmask_b32_e64 v97, v95, v18, s[14:15]
	v_cmp_ge_i32_e64 s[18:19], v98, v64
	s_waitcnt lgkmcnt(0)
	v_cmp_lt_i64_e64 s[20:21], v[16:17], v[14:15]
	v_cmp_lt_i32_e64 s[16:17], v97, v65
	s_or_b64 s[18:19], s[18:19], s[20:21]
	s_and_b64 s[16:17], s[16:17], s[18:19]
	s_xor_b64 s[18:19], s[16:17], -1
                                        ; implicit-def: $vgpr18_vgpr19
	s_and_saveexec_b64 s[20:21], s[18:19]
	s_xor_b64 s[18:19], exec, s[20:21]
	s_cbranch_execz .LBB147_76
; %bb.75:                               ;   in Loop: Header=BB147_2 Depth=1
	v_lshlrev_b32_e32 v18, 3, v98
	ds_read_b64 v[18:19], v18 offset:8
.LBB147_76:                             ;   in Loop: Header=BB147_2 Depth=1
	s_or_saveexec_b64 s[18:19], s[18:19]
	v_mov_b64_e32 v[20:21], v[16:17]
	s_xor_b64 exec, exec, s[18:19]
	s_cbranch_execz .LBB147_78
; %bb.77:                               ;   in Loop: Header=BB147_2 Depth=1
	s_waitcnt lgkmcnt(0)
	v_lshlrev_b32_e32 v18, 3, v97
	ds_read_b64 v[20:21], v18 offset:8
	v_mov_b64_e32 v[18:19], v[14:15]
.LBB147_78:                             ;   in Loop: Header=BB147_2 Depth=1
	s_or_b64 exec, exec, s[18:19]
	v_add_u32_e32 v23, 1, v98
	v_add_u32_e32 v22, 1, v97
	v_cndmask_b32_e64 v100, v23, v98, s[16:17]
	v_cndmask_b32_e64 v99, v97, v22, s[16:17]
	v_cmp_ge_i32_e64 s[20:21], v100, v64
	s_waitcnt lgkmcnt(0)
	v_cmp_lt_i64_e64 s[22:23], v[20:21], v[18:19]
	v_cmp_lt_i32_e64 s[18:19], v99, v65
	s_or_b64 s[20:21], s[20:21], s[22:23]
	s_and_b64 s[18:19], s[18:19], s[20:21]
	s_xor_b64 s[20:21], s[18:19], -1
                                        ; implicit-def: $vgpr22_vgpr23
	s_and_saveexec_b64 s[22:23], s[20:21]
	s_xor_b64 s[20:21], exec, s[22:23]
	s_cbranch_execz .LBB147_80
; %bb.79:                               ;   in Loop: Header=BB147_2 Depth=1
	v_lshlrev_b32_e32 v22, 3, v100
	ds_read_b64 v[22:23], v22 offset:8
.LBB147_80:                             ;   in Loop: Header=BB147_2 Depth=1
	s_or_saveexec_b64 s[20:21], s[20:21]
	v_mov_b64_e32 v[24:25], v[20:21]
	s_xor_b64 exec, exec, s[20:21]
	s_cbranch_execz .LBB147_82
; %bb.81:                               ;   in Loop: Header=BB147_2 Depth=1
	s_waitcnt lgkmcnt(0)
	v_lshlrev_b32_e32 v22, 3, v99
	ds_read_b64 v[24:25], v22 offset:8
	v_mov_b64_e32 v[22:23], v[18:19]
.LBB147_82:                             ;   in Loop: Header=BB147_2 Depth=1
	s_or_b64 exec, exec, s[20:21]
	v_cndmask_b32_e64 v19, v19, v21, s[18:19]
	v_add_u32_e32 v21, 1, v100
	v_cndmask_b32_e64 v18, v18, v20, s[18:19]
	v_add_u32_e32 v20, 1, v99
	v_cndmask_b32_e64 v21, v21, v100, s[18:19]
	v_cndmask_b32_e64 v20, v99, v20, s[18:19]
	;; [unrolled: 1-line block ×6, first 2 shown]
	v_cmp_ge_i32_e64 s[16:17], v21, v64
	s_waitcnt lgkmcnt(0)
	v_cmp_lt_i64_e64 s[18:19], v[24:25], v[22:23]
	v_cndmask_b32_e64 v11, v11, v13, s[14:15]
	v_cndmask_b32_e64 v10, v10, v12, s[14:15]
	;; [unrolled: 1-line block ×3, first 2 shown]
	v_cmp_lt_i32_e64 s[14:15], v20, v65
	s_or_b64 s[16:17], s[16:17], s[18:19]
	s_and_b64 s[14:15], s[14:15], s[16:17]
	v_cndmask_b32_e64 v20, v21, v20, s[14:15]
	s_barrier
	ds_write2_b64 v26, v[6:7], v[8:9] offset1:1
	ds_write2_b64 v26, v[2:3], v[4:5] offset0:2 offset1:3
	v_lshlrev_b32_e32 v2, 3, v17
	v_lshlrev_b32_e32 v3, 3, v16
	;; [unrolled: 1-line block ×4, first 2 shown]
	s_waitcnt lgkmcnt(0)
	s_barrier
	ds_read_b64 v[6:7], v2
	ds_read_b64 v[8:9], v3
	ds_read_b64 v[2:3], v4
	ds_read_b64 v[4:5], v5
	v_cndmask_b32_e64 v13, v23, v25, s[14:15]
	v_cndmask_b32_e64 v12, v22, v24, s[14:15]
	s_waitcnt lgkmcnt(0)
	s_barrier
	ds_write2_b64 v26, v[10:11], v[14:15] offset1:1
	ds_write2_b64 v26, v[18:19], v[12:13] offset0:2 offset1:3
	v_mov_b32_e32 v14, v72
	s_waitcnt lgkmcnt(0)
	s_barrier
	s_and_saveexec_b64 s[16:17], s[8:9]
	s_cbranch_execz .LBB147_86
; %bb.83:                               ;   in Loop: Header=BB147_2 Depth=1
	s_mov_b64 s[18:19], 0
	v_mov_b32_e32 v14, v72
	v_mov_b32_e32 v10, v73
.LBB147_84:                             ;   Parent Loop BB147_2 Depth=1
                                        ; =>  This Inner Loop Header: Depth=2
	v_sub_u32_e32 v11, v10, v14
	v_lshrrev_b32_e32 v12, 31, v11
	v_add_u32_e32 v11, v11, v12
	v_ashrrev_i32_e32 v11, 1, v11
	v_add_u32_e32 v11, v11, v14
	v_lshl_add_u32 v12, v11, 3, v87
	v_xad_u32 v13, v11, -1, v69
	v_lshl_add_u32 v15, v13, 3, v88
	ds_read_b64 v[12:13], v12
	ds_read_b64 v[16:17], v15
	v_add_u32_e32 v15, 1, v11
	s_waitcnt lgkmcnt(0)
	v_cmp_lt_i64_e64 s[14:15], v[16:17], v[12:13]
	s_nop 1
	v_cndmask_b32_e64 v10, v10, v11, s[14:15]
	v_cndmask_b32_e64 v14, v15, v14, s[14:15]
	v_cmp_ge_i32_e64 s[14:15], v14, v10
	s_or_b64 s[18:19], s[14:15], s[18:19]
	s_andn2_b64 exec, exec, s[18:19]
	s_cbranch_execnz .LBB147_84
; %bb.85:                               ;   in Loop: Header=BB147_2 Depth=1
	s_or_b64 exec, exec, s[18:19]
.LBB147_86:                             ;   in Loop: Header=BB147_2 Depth=1
	s_or_b64 exec, exec, s[16:17]
	v_sub_u32_e32 v95, v89, v14
	v_lshl_add_u32 v16, v14, 3, v87
	v_lshlrev_b32_e32 v18, 3, v95
	ds_read_b64 v[10:11], v16
	ds_read_b64 v[12:13], v18
	v_add_u32_e32 v96, v14, v68
	v_cmp_le_i32_e64 s[16:17], v70, v96
	v_cmp_gt_i32_e64 s[14:15], v71, v95
                                        ; implicit-def: $vgpr14_vgpr15
	s_waitcnt lgkmcnt(0)
	v_cmp_lt_i64_e64 s[18:19], v[12:13], v[10:11]
	s_or_b64 s[16:17], s[16:17], s[18:19]
	s_and_b64 s[14:15], s[14:15], s[16:17]
	s_xor_b64 s[16:17], s[14:15], -1
	s_and_saveexec_b64 s[18:19], s[16:17]
	s_xor_b64 s[16:17], exec, s[18:19]
	s_cbranch_execz .LBB147_88
; %bb.87:                               ;   in Loop: Header=BB147_2 Depth=1
	ds_read_b64 v[14:15], v16 offset:8
                                        ; implicit-def: $vgpr18
.LBB147_88:                             ;   in Loop: Header=BB147_2 Depth=1
	s_or_saveexec_b64 s[16:17], s[16:17]
	v_mov_b64_e32 v[16:17], v[12:13]
	s_xor_b64 exec, exec, s[16:17]
	s_cbranch_execz .LBB147_90
; %bb.89:                               ;   in Loop: Header=BB147_2 Depth=1
	ds_read_b64 v[16:17], v18 offset:8
	s_waitcnt lgkmcnt(1)
	v_mov_b64_e32 v[14:15], v[10:11]
.LBB147_90:                             ;   in Loop: Header=BB147_2 Depth=1
	s_or_b64 exec, exec, s[16:17]
	v_add_u32_e32 v19, 1, v96
	v_add_u32_e32 v18, 1, v95
	v_cndmask_b32_e64 v98, v19, v96, s[14:15]
	v_cndmask_b32_e64 v97, v95, v18, s[14:15]
	v_cmp_ge_i32_e64 s[18:19], v98, v70
	s_waitcnt lgkmcnt(0)
	v_cmp_lt_i64_e64 s[20:21], v[16:17], v[14:15]
	v_cmp_lt_i32_e64 s[16:17], v97, v71
	s_or_b64 s[18:19], s[18:19], s[20:21]
	s_and_b64 s[16:17], s[16:17], s[18:19]
	s_xor_b64 s[18:19], s[16:17], -1
                                        ; implicit-def: $vgpr18_vgpr19
	s_and_saveexec_b64 s[20:21], s[18:19]
	s_xor_b64 s[18:19], exec, s[20:21]
	s_cbranch_execz .LBB147_92
; %bb.91:                               ;   in Loop: Header=BB147_2 Depth=1
	v_lshlrev_b32_e32 v18, 3, v98
	ds_read_b64 v[18:19], v18 offset:8
.LBB147_92:                             ;   in Loop: Header=BB147_2 Depth=1
	s_or_saveexec_b64 s[18:19], s[18:19]
	v_mov_b64_e32 v[20:21], v[16:17]
	s_xor_b64 exec, exec, s[18:19]
	s_cbranch_execz .LBB147_94
; %bb.93:                               ;   in Loop: Header=BB147_2 Depth=1
	s_waitcnt lgkmcnt(0)
	v_lshlrev_b32_e32 v18, 3, v97
	ds_read_b64 v[20:21], v18 offset:8
	v_mov_b64_e32 v[18:19], v[14:15]
.LBB147_94:                             ;   in Loop: Header=BB147_2 Depth=1
	s_or_b64 exec, exec, s[18:19]
	v_add_u32_e32 v23, 1, v98
	v_add_u32_e32 v22, 1, v97
	v_cndmask_b32_e64 v100, v23, v98, s[16:17]
	v_cndmask_b32_e64 v99, v97, v22, s[16:17]
	v_cmp_ge_i32_e64 s[20:21], v100, v70
	s_waitcnt lgkmcnt(0)
	v_cmp_lt_i64_e64 s[22:23], v[20:21], v[18:19]
	v_cmp_lt_i32_e64 s[18:19], v99, v71
	s_or_b64 s[20:21], s[20:21], s[22:23]
	s_and_b64 s[18:19], s[18:19], s[20:21]
	s_xor_b64 s[20:21], s[18:19], -1
                                        ; implicit-def: $vgpr22_vgpr23
	s_and_saveexec_b64 s[22:23], s[20:21]
	s_xor_b64 s[20:21], exec, s[22:23]
	s_cbranch_execz .LBB147_96
; %bb.95:                               ;   in Loop: Header=BB147_2 Depth=1
	v_lshlrev_b32_e32 v22, 3, v100
	ds_read_b64 v[22:23], v22 offset:8
.LBB147_96:                             ;   in Loop: Header=BB147_2 Depth=1
	s_or_saveexec_b64 s[20:21], s[20:21]
	v_mov_b64_e32 v[24:25], v[20:21]
	s_xor_b64 exec, exec, s[20:21]
	s_cbranch_execz .LBB147_98
; %bb.97:                               ;   in Loop: Header=BB147_2 Depth=1
	s_waitcnt lgkmcnt(0)
	v_lshlrev_b32_e32 v22, 3, v99
	ds_read_b64 v[24:25], v22 offset:8
	v_mov_b64_e32 v[22:23], v[18:19]
.LBB147_98:                             ;   in Loop: Header=BB147_2 Depth=1
	s_or_b64 exec, exec, s[20:21]
	v_cndmask_b32_e64 v19, v19, v21, s[18:19]
	v_add_u32_e32 v21, 1, v100
	v_cndmask_b32_e64 v18, v18, v20, s[18:19]
	v_add_u32_e32 v20, 1, v99
	v_cndmask_b32_e64 v21, v21, v100, s[18:19]
	v_cndmask_b32_e64 v20, v99, v20, s[18:19]
	v_cndmask_b32_e64 v99, v100, v99, s[18:19]
	v_cndmask_b32_e64 v15, v15, v17, s[16:17]
	v_cndmask_b32_e64 v14, v14, v16, s[16:17]
	v_cndmask_b32_e64 v16, v98, v97, s[16:17]
	v_cmp_ge_i32_e64 s[16:17], v21, v70
	s_waitcnt lgkmcnt(0)
	v_cmp_lt_i64_e64 s[18:19], v[24:25], v[22:23]
	v_cndmask_b32_e64 v11, v11, v13, s[14:15]
	v_cndmask_b32_e64 v10, v10, v12, s[14:15]
	;; [unrolled: 1-line block ×3, first 2 shown]
	v_cmp_lt_i32_e64 s[14:15], v20, v71
	s_or_b64 s[16:17], s[16:17], s[18:19]
	s_and_b64 s[14:15], s[14:15], s[16:17]
	v_cndmask_b32_e64 v20, v21, v20, s[14:15]
	s_barrier
	ds_write2_b64 v26, v[6:7], v[8:9] offset1:1
	ds_write2_b64 v26, v[2:3], v[4:5] offset0:2 offset1:3
	v_lshlrev_b32_e32 v2, 3, v17
	v_lshlrev_b32_e32 v3, 3, v16
	;; [unrolled: 1-line block ×4, first 2 shown]
	s_waitcnt lgkmcnt(0)
	s_barrier
	ds_read_b64 v[6:7], v2
	ds_read_b64 v[8:9], v3
	;; [unrolled: 1-line block ×4, first 2 shown]
	v_cndmask_b32_e64 v13, v23, v25, s[14:15]
	v_cndmask_b32_e64 v12, v22, v24, s[14:15]
	s_waitcnt lgkmcnt(0)
	s_barrier
	ds_write2_b64 v26, v[10:11], v[14:15] offset1:1
	ds_write2_b64 v26, v[18:19], v[12:13] offset0:2 offset1:3
	v_mov_b32_e32 v14, v79
	s_waitcnt lgkmcnt(0)
	s_barrier
	s_and_saveexec_b64 s[16:17], s[10:11]
	s_cbranch_execz .LBB147_102
; %bb.99:                               ;   in Loop: Header=BB147_2 Depth=1
	s_mov_b64 s[18:19], 0
	v_mov_b32_e32 v14, v79
	v_mov_b32_e32 v10, v80
.LBB147_100:                            ;   Parent Loop BB147_2 Depth=1
                                        ; =>  This Inner Loop Header: Depth=2
	v_sub_u32_e32 v11, v10, v14
	v_lshrrev_b32_e32 v12, 31, v11
	v_add_u32_e32 v11, v11, v12
	v_ashrrev_i32_e32 v11, 1, v11
	v_add_u32_e32 v11, v11, v14
	v_lshl_add_u32 v12, v11, 3, v90
	v_xad_u32 v13, v11, -1, v76
	v_lshl_add_u32 v15, v13, 3, v91
	ds_read_b64 v[12:13], v12
	ds_read_b64 v[16:17], v15
	v_add_u32_e32 v15, 1, v11
	s_waitcnt lgkmcnt(0)
	v_cmp_lt_i64_e64 s[14:15], v[16:17], v[12:13]
	s_nop 1
	v_cndmask_b32_e64 v10, v10, v11, s[14:15]
	v_cndmask_b32_e64 v14, v15, v14, s[14:15]
	v_cmp_ge_i32_e64 s[14:15], v14, v10
	s_or_b64 s[18:19], s[14:15], s[18:19]
	s_andn2_b64 exec, exec, s[18:19]
	s_cbranch_execnz .LBB147_100
; %bb.101:                              ;   in Loop: Header=BB147_2 Depth=1
	s_or_b64 exec, exec, s[18:19]
.LBB147_102:                            ;   in Loop: Header=BB147_2 Depth=1
	s_or_b64 exec, exec, s[16:17]
	v_sub_u32_e32 v95, v92, v14
	v_lshl_add_u32 v16, v14, 3, v90
	v_lshlrev_b32_e32 v18, 3, v95
	ds_read_b64 v[10:11], v16
	ds_read_b64 v[12:13], v18
	v_add_u32_e32 v96, v14, v75
	v_cmp_le_i32_e64 s[16:17], v77, v96
	v_cmp_gt_i32_e64 s[14:15], v78, v95
                                        ; implicit-def: $vgpr14_vgpr15
	s_waitcnt lgkmcnt(0)
	v_cmp_lt_i64_e64 s[18:19], v[12:13], v[10:11]
	s_or_b64 s[16:17], s[16:17], s[18:19]
	s_and_b64 s[14:15], s[14:15], s[16:17]
	s_xor_b64 s[16:17], s[14:15], -1
	s_and_saveexec_b64 s[18:19], s[16:17]
	s_xor_b64 s[16:17], exec, s[18:19]
	s_cbranch_execz .LBB147_104
; %bb.103:                              ;   in Loop: Header=BB147_2 Depth=1
	ds_read_b64 v[14:15], v16 offset:8
                                        ; implicit-def: $vgpr18
.LBB147_104:                            ;   in Loop: Header=BB147_2 Depth=1
	s_or_saveexec_b64 s[16:17], s[16:17]
	v_mov_b64_e32 v[16:17], v[12:13]
	s_xor_b64 exec, exec, s[16:17]
	s_cbranch_execz .LBB147_106
; %bb.105:                              ;   in Loop: Header=BB147_2 Depth=1
	ds_read_b64 v[16:17], v18 offset:8
	s_waitcnt lgkmcnt(1)
	v_mov_b64_e32 v[14:15], v[10:11]
.LBB147_106:                            ;   in Loop: Header=BB147_2 Depth=1
	s_or_b64 exec, exec, s[16:17]
	v_add_u32_e32 v19, 1, v96
	v_add_u32_e32 v18, 1, v95
	v_cndmask_b32_e64 v98, v19, v96, s[14:15]
	v_cndmask_b32_e64 v97, v95, v18, s[14:15]
	v_cmp_ge_i32_e64 s[18:19], v98, v77
	s_waitcnt lgkmcnt(0)
	v_cmp_lt_i64_e64 s[20:21], v[16:17], v[14:15]
	v_cmp_lt_i32_e64 s[16:17], v97, v78
	s_or_b64 s[18:19], s[18:19], s[20:21]
	s_and_b64 s[16:17], s[16:17], s[18:19]
	s_xor_b64 s[18:19], s[16:17], -1
                                        ; implicit-def: $vgpr18_vgpr19
	s_and_saveexec_b64 s[20:21], s[18:19]
	s_xor_b64 s[18:19], exec, s[20:21]
	s_cbranch_execz .LBB147_108
; %bb.107:                              ;   in Loop: Header=BB147_2 Depth=1
	v_lshlrev_b32_e32 v18, 3, v98
	ds_read_b64 v[18:19], v18 offset:8
.LBB147_108:                            ;   in Loop: Header=BB147_2 Depth=1
	s_or_saveexec_b64 s[18:19], s[18:19]
	v_mov_b64_e32 v[20:21], v[16:17]
	s_xor_b64 exec, exec, s[18:19]
	s_cbranch_execz .LBB147_110
; %bb.109:                              ;   in Loop: Header=BB147_2 Depth=1
	s_waitcnt lgkmcnt(0)
	v_lshlrev_b32_e32 v18, 3, v97
	ds_read_b64 v[20:21], v18 offset:8
	v_mov_b64_e32 v[18:19], v[14:15]
.LBB147_110:                            ;   in Loop: Header=BB147_2 Depth=1
	s_or_b64 exec, exec, s[18:19]
	v_add_u32_e32 v23, 1, v98
	v_add_u32_e32 v22, 1, v97
	v_cndmask_b32_e64 v100, v23, v98, s[16:17]
	v_cndmask_b32_e64 v99, v97, v22, s[16:17]
	v_cmp_ge_i32_e64 s[20:21], v100, v77
	s_waitcnt lgkmcnt(0)
	v_cmp_lt_i64_e64 s[22:23], v[20:21], v[18:19]
	v_cmp_lt_i32_e64 s[18:19], v99, v78
	s_or_b64 s[20:21], s[20:21], s[22:23]
	s_and_b64 s[18:19], s[18:19], s[20:21]
	s_xor_b64 s[20:21], s[18:19], -1
                                        ; implicit-def: $vgpr22_vgpr23
	s_and_saveexec_b64 s[22:23], s[20:21]
	s_xor_b64 s[20:21], exec, s[22:23]
	s_cbranch_execz .LBB147_112
; %bb.111:                              ;   in Loop: Header=BB147_2 Depth=1
	v_lshlrev_b32_e32 v22, 3, v100
	ds_read_b64 v[22:23], v22 offset:8
.LBB147_112:                            ;   in Loop: Header=BB147_2 Depth=1
	s_or_saveexec_b64 s[20:21], s[20:21]
	v_mov_b64_e32 v[24:25], v[20:21]
	s_xor_b64 exec, exec, s[20:21]
	s_cbranch_execz .LBB147_114
; %bb.113:                              ;   in Loop: Header=BB147_2 Depth=1
	s_waitcnt lgkmcnt(0)
	v_lshlrev_b32_e32 v22, 3, v99
	ds_read_b64 v[24:25], v22 offset:8
	v_mov_b64_e32 v[22:23], v[18:19]
.LBB147_114:                            ;   in Loop: Header=BB147_2 Depth=1
	s_or_b64 exec, exec, s[20:21]
	v_cndmask_b32_e64 v19, v19, v21, s[18:19]
	v_add_u32_e32 v21, 1, v100
	v_cndmask_b32_e64 v18, v18, v20, s[18:19]
	v_add_u32_e32 v20, 1, v99
	v_cndmask_b32_e64 v21, v21, v100, s[18:19]
	v_cndmask_b32_e64 v20, v99, v20, s[18:19]
	;; [unrolled: 1-line block ×6, first 2 shown]
	v_cmp_ge_i32_e64 s[16:17], v21, v77
	s_waitcnt lgkmcnt(0)
	v_cmp_lt_i64_e64 s[18:19], v[24:25], v[22:23]
	v_cndmask_b32_e64 v11, v11, v13, s[14:15]
	v_cndmask_b32_e64 v10, v10, v12, s[14:15]
	;; [unrolled: 1-line block ×3, first 2 shown]
	v_cmp_lt_i32_e64 s[14:15], v20, v78
	s_or_b64 s[16:17], s[16:17], s[18:19]
	s_and_b64 s[14:15], s[14:15], s[16:17]
	v_cndmask_b32_e64 v20, v21, v20, s[14:15]
	s_barrier
	ds_write2_b64 v26, v[6:7], v[8:9] offset1:1
	ds_write2_b64 v26, v[2:3], v[4:5] offset0:2 offset1:3
	v_lshlrev_b32_e32 v2, 3, v17
	v_lshlrev_b32_e32 v3, 3, v16
	;; [unrolled: 1-line block ×4, first 2 shown]
	s_waitcnt lgkmcnt(0)
	s_barrier
	ds_read_b64 v[6:7], v2
	ds_read_b64 v[8:9], v3
	;; [unrolled: 1-line block ×4, first 2 shown]
	v_mov_b32_e32 v95, v81
	v_cndmask_b32_e64 v13, v23, v25, s[14:15]
	v_cndmask_b32_e64 v12, v22, v24, s[14:15]
	s_waitcnt lgkmcnt(0)
	s_barrier
	ds_write2_b64 v26, v[10:11], v[14:15] offset1:1
	ds_write2_b64 v26, v[18:19], v[12:13] offset0:2 offset1:3
	s_waitcnt lgkmcnt(0)
	s_barrier
	s_and_saveexec_b64 s[16:17], s[12:13]
	s_cbranch_execz .LBB147_118
; %bb.115:                              ;   in Loop: Header=BB147_2 Depth=1
	s_mov_b64 s[18:19], 0
	v_mov_b32_e32 v95, v81
	v_mov_b32_e32 v10, v82
.LBB147_116:                            ;   Parent Loop BB147_2 Depth=1
                                        ; =>  This Inner Loop Header: Depth=2
	v_sub_u32_e32 v11, v10, v95
	v_lshrrev_b32_e32 v12, 31, v11
	v_add_u32_e32 v11, v11, v12
	v_ashrrev_i32_e32 v11, 1, v11
	v_add_u32_e32 v11, v11, v95
	v_xad_u32 v13, v11, -1, v1
	v_lshlrev_b32_e32 v12, 3, v11
	v_lshl_add_u32 v14, v13, 3, v93
	ds_read_b64 v[12:13], v12
	ds_read_b64 v[14:15], v14
	v_add_u32_e32 v16, 1, v11
	s_waitcnt lgkmcnt(0)
	v_cmp_lt_i64_e64 s[14:15], v[14:15], v[12:13]
	s_nop 1
	v_cndmask_b32_e64 v10, v10, v11, s[14:15]
	v_cndmask_b32_e64 v95, v16, v95, s[14:15]
	v_cmp_ge_i32_e64 s[14:15], v95, v10
	s_or_b64 s[18:19], s[14:15], s[18:19]
	s_andn2_b64 exec, exec, s[18:19]
	s_cbranch_execnz .LBB147_116
; %bb.117:                              ;   in Loop: Header=BB147_2 Depth=1
	s_or_b64 exec, exec, s[18:19]
.LBB147_118:                            ;   in Loop: Header=BB147_2 Depth=1
	s_or_b64 exec, exec, s[16:17]
	v_sub_u32_e32 v96, v94, v95
	v_lshlrev_b32_e32 v11, 3, v95
	v_lshlrev_b32_e32 v10, 3, v96
	ds_read_b64 v[12:13], v11
	ds_read_b64 v[14:15], v10
	v_cmp_le_i32_e64 s[16:17], v74, v95
	v_cmp_gt_i32_e64 s[14:15], s33, v96
                                        ; implicit-def: $vgpr16_vgpr17
	s_waitcnt lgkmcnt(0)
	v_cmp_lt_i64_e64 s[18:19], v[14:15], v[12:13]
	s_or_b64 s[16:17], s[16:17], s[18:19]
	s_and_b64 s[14:15], s[14:15], s[16:17]
	s_xor_b64 s[16:17], s[14:15], -1
	s_and_saveexec_b64 s[18:19], s[16:17]
	s_xor_b64 s[16:17], exec, s[18:19]
	s_cbranch_execz .LBB147_120
; %bb.119:                              ;   in Loop: Header=BB147_2 Depth=1
	ds_read_b64 v[16:17], v11 offset:8
                                        ; implicit-def: $vgpr10
.LBB147_120:                            ;   in Loop: Header=BB147_2 Depth=1
	s_or_saveexec_b64 s[16:17], s[16:17]
	v_mov_b64_e32 v[20:21], v[14:15]
	s_xor_b64 exec, exec, s[16:17]
	s_cbranch_execz .LBB147_122
; %bb.121:                              ;   in Loop: Header=BB147_2 Depth=1
	ds_read_b64 v[20:21], v10 offset:8
	s_waitcnt lgkmcnt(1)
	v_mov_b64_e32 v[16:17], v[12:13]
.LBB147_122:                            ;   in Loop: Header=BB147_2 Depth=1
	s_or_b64 exec, exec, s[16:17]
	v_add_u32_e32 v11, 1, v95
	v_add_u32_e32 v10, 1, v96
	v_cndmask_b32_e64 v98, v11, v95, s[14:15]
	v_cndmask_b32_e64 v97, v96, v10, s[14:15]
	v_cmp_ge_i32_e64 s[18:19], v98, v74
	s_waitcnt lgkmcnt(0)
	v_cmp_lt_i64_e64 s[20:21], v[20:21], v[16:17]
	v_cmp_gt_i32_e64 s[16:17], s33, v97
	s_or_b64 s[18:19], s[18:19], s[20:21]
	s_and_b64 s[18:19], s[16:17], s[18:19]
	s_xor_b64 s[16:17], s[18:19], -1
                                        ; implicit-def: $vgpr10_vgpr11
	s_and_saveexec_b64 s[20:21], s[16:17]
	s_xor_b64 s[16:17], exec, s[20:21]
	s_cbranch_execz .LBB147_124
; %bb.123:                              ;   in Loop: Header=BB147_2 Depth=1
	v_lshlrev_b32_e32 v10, 3, v98
	ds_read_b64 v[10:11], v10 offset:8
.LBB147_124:                            ;   in Loop: Header=BB147_2 Depth=1
	s_or_saveexec_b64 s[16:17], s[16:17]
	v_mov_b64_e32 v[18:19], v[20:21]
	s_xor_b64 exec, exec, s[16:17]
	s_cbranch_execz .LBB147_126
; %bb.125:                              ;   in Loop: Header=BB147_2 Depth=1
	s_waitcnt lgkmcnt(0)
	v_lshlrev_b32_e32 v10, 3, v97
	ds_read_b64 v[18:19], v10 offset:8
	v_mov_b64_e32 v[10:11], v[16:17]
.LBB147_126:                            ;   in Loop: Header=BB147_2 Depth=1
	s_or_b64 exec, exec, s[16:17]
	v_add_u32_e32 v23, 1, v98
	v_add_u32_e32 v22, 1, v97
	v_cndmask_b32_e64 v102, v23, v98, s[18:19]
	v_cndmask_b32_e64 v99, v97, v22, s[18:19]
	v_cmp_ge_i32_e64 s[20:21], v102, v74
	s_waitcnt lgkmcnt(0)
	v_cmp_lt_i64_e64 s[22:23], v[18:19], v[10:11]
	v_cmp_gt_i32_e64 s[16:17], s33, v99
	s_or_b64 s[20:21], s[20:21], s[22:23]
	s_and_b64 s[16:17], s[16:17], s[20:21]
	s_xor_b64 s[20:21], s[16:17], -1
                                        ; implicit-def: $vgpr22_vgpr23
                                        ; implicit-def: $vgpr101
	s_and_saveexec_b64 s[22:23], s[20:21]
	s_xor_b64 s[20:21], exec, s[22:23]
	s_cbranch_execz .LBB147_128
; %bb.127:                              ;   in Loop: Header=BB147_2 Depth=1
	v_lshlrev_b32_e32 v22, 3, v102
	ds_read_b64 v[22:23], v22 offset:8
	v_add_u32_e32 v101, 1, v102
.LBB147_128:                            ;   in Loop: Header=BB147_2 Depth=1
	s_or_saveexec_b64 s[20:21], s[20:21]
	v_mov_b32_e32 v100, v102
	v_mov_b64_e32 v[24:25], v[18:19]
	s_xor_b64 exec, exec, s[20:21]
	s_cbranch_execz .LBB147_1
; %bb.129:                              ;   in Loop: Header=BB147_2 Depth=1
	s_waitcnt lgkmcnt(0)
	v_lshlrev_b32_e32 v23, 3, v99
	ds_read_b64 v[24:25], v23 offset:8
	v_add_u32_e32 v22, 1, v99
	v_mov_b32_e32 v100, v99
	v_mov_b32_e32 v101, v102
	;; [unrolled: 1-line block ×3, first 2 shown]
	v_mov_b64_e32 v[22:23], v[10:11]
	s_branch .LBB147_1
.LBB147_130:
	s_add_u32 s0, s38, s40
	s_addc_u32 s1, s39, s41
	v_lshlrev_b32_e32 v0, 3, v0
	v_mov_b32_e32 v1, 0
	s_waitcnt lgkmcnt(3)
	v_lshl_add_u64 v[6:7], v[12:13], 0, v[6:7]
	s_waitcnt lgkmcnt(1)
	v_lshl_add_u64 v[2:3], v[10:11], 0, v[2:3]
	v_lshl_add_u64 v[10:11], s[0:1], 0, v[0:1]
	;; [unrolled: 1-line block ×3, first 2 shown]
	global_store_dwordx2 v0, v[6:7], s[0:1]
	global_store_dwordx2 v0, v[8:9], s[0:1] offset:2048
	v_add_co_u32_e32 v0, vcc, 0x1000, v10
	s_waitcnt lgkmcnt(0)
	v_lshl_add_u64 v[4:5], v[16:17], 0, v[4:5]
	v_addc_co_u32_e32 v1, vcc, 0, v11, vcc
	global_store_dwordx2 v[0:1], v[2:3], off
	global_store_dwordx2 v[0:1], v[4:5], off offset:2048
	s_endpgm
	.section	.rodata,"a",@progbits
	.p2align	6, 0x0
	.amdhsa_kernel _Z17sort_pairs_kernelIxLj256ELj4EN10test_utils4lessELj10EEvPKT_PS2_T2_
		.amdhsa_group_segment_fixed_size 8200
		.amdhsa_private_segment_fixed_size 0
		.amdhsa_kernarg_size 20
		.amdhsa_user_sgpr_count 2
		.amdhsa_user_sgpr_dispatch_ptr 0
		.amdhsa_user_sgpr_queue_ptr 0
		.amdhsa_user_sgpr_kernarg_segment_ptr 1
		.amdhsa_user_sgpr_dispatch_id 0
		.amdhsa_user_sgpr_kernarg_preload_length 0
		.amdhsa_user_sgpr_kernarg_preload_offset 0
		.amdhsa_user_sgpr_private_segment_size 0
		.amdhsa_uses_dynamic_stack 0
		.amdhsa_enable_private_segment 0
		.amdhsa_system_sgpr_workgroup_id_x 1
		.amdhsa_system_sgpr_workgroup_id_y 0
		.amdhsa_system_sgpr_workgroup_id_z 0
		.amdhsa_system_sgpr_workgroup_info 0
		.amdhsa_system_vgpr_workitem_id 0
		.amdhsa_next_free_vgpr 103
		.amdhsa_next_free_sgpr 44
		.amdhsa_accum_offset 104
		.amdhsa_reserve_vcc 1
		.amdhsa_float_round_mode_32 0
		.amdhsa_float_round_mode_16_64 0
		.amdhsa_float_denorm_mode_32 3
		.amdhsa_float_denorm_mode_16_64 3
		.amdhsa_dx10_clamp 1
		.amdhsa_ieee_mode 1
		.amdhsa_fp16_overflow 0
		.amdhsa_tg_split 0
		.amdhsa_exception_fp_ieee_invalid_op 0
		.amdhsa_exception_fp_denorm_src 0
		.amdhsa_exception_fp_ieee_div_zero 0
		.amdhsa_exception_fp_ieee_overflow 0
		.amdhsa_exception_fp_ieee_underflow 0
		.amdhsa_exception_fp_ieee_inexact 0
		.amdhsa_exception_int_div_zero 0
	.end_amdhsa_kernel
	.section	.text._Z17sort_pairs_kernelIxLj256ELj4EN10test_utils4lessELj10EEvPKT_PS2_T2_,"axG",@progbits,_Z17sort_pairs_kernelIxLj256ELj4EN10test_utils4lessELj10EEvPKT_PS2_T2_,comdat
.Lfunc_end147:
	.size	_Z17sort_pairs_kernelIxLj256ELj4EN10test_utils4lessELj10EEvPKT_PS2_T2_, .Lfunc_end147-_Z17sort_pairs_kernelIxLj256ELj4EN10test_utils4lessELj10EEvPKT_PS2_T2_
                                        ; -- End function
	.section	.AMDGPU.csdata,"",@progbits
; Kernel info:
; codeLenInByte = 7680
; NumSgprs: 50
; NumVgprs: 103
; NumAgprs: 0
; TotalNumVgprs: 103
; ScratchSize: 0
; MemoryBound: 0
; FloatMode: 240
; IeeeMode: 1
; LDSByteSize: 8200 bytes/workgroup (compile time only)
; SGPRBlocks: 6
; VGPRBlocks: 12
; NumSGPRsForWavesPerEU: 50
; NumVGPRsForWavesPerEU: 103
; AccumOffset: 104
; Occupancy: 4
; WaveLimiterHint : 1
; COMPUTE_PGM_RSRC2:SCRATCH_EN: 0
; COMPUTE_PGM_RSRC2:USER_SGPR: 2
; COMPUTE_PGM_RSRC2:TRAP_HANDLER: 0
; COMPUTE_PGM_RSRC2:TGID_X_EN: 1
; COMPUTE_PGM_RSRC2:TGID_Y_EN: 0
; COMPUTE_PGM_RSRC2:TGID_Z_EN: 0
; COMPUTE_PGM_RSRC2:TIDIG_COMP_CNT: 0
; COMPUTE_PGM_RSRC3_GFX90A:ACCUM_OFFSET: 25
; COMPUTE_PGM_RSRC3_GFX90A:TG_SPLIT: 0
	.section	.text._Z16sort_keys_kernelIxLj256ELj8EN10test_utils4lessELj10EEvPKT_PS2_T2_,"axG",@progbits,_Z16sort_keys_kernelIxLj256ELj8EN10test_utils4lessELj10EEvPKT_PS2_T2_,comdat
	.protected	_Z16sort_keys_kernelIxLj256ELj8EN10test_utils4lessELj10EEvPKT_PS2_T2_ ; -- Begin function _Z16sort_keys_kernelIxLj256ELj8EN10test_utils4lessELj10EEvPKT_PS2_T2_
	.globl	_Z16sort_keys_kernelIxLj256ELj8EN10test_utils4lessELj10EEvPKT_PS2_T2_
	.p2align	8
	.type	_Z16sort_keys_kernelIxLj256ELj8EN10test_utils4lessELj10EEvPKT_PS2_T2_,@function
_Z16sort_keys_kernelIxLj256ELj8EN10test_utils4lessELj10EEvPKT_PS2_T2_: ; @_Z16sort_keys_kernelIxLj256ELj8EN10test_utils4lessELj10EEvPKT_PS2_T2_
; %bb.0:
	s_load_dwordx4 s[36:39], s[0:1], 0x0
	s_lshl_b32 s34, s2, 11
	s_mov_b32 s35, 0
	s_lshl_b64 s[40:41], s[34:35], 3
	v_mov_b32_e32 v3, 0
	s_waitcnt lgkmcnt(0)
	s_add_u32 s0, s36, s40
	s_addc_u32 s1, s37, s41
	v_lshlrev_b32_e32 v2, 3, v0
	v_lshl_add_u64 v[4:5], s[0:1], 0, v[2:3]
	s_movk_i32 s2, 0x1000
	v_add_co_u32_e32 v16, vcc, s2, v4
	s_movk_i32 s2, 0x2000
	s_nop 0
	v_addc_co_u32_e32 v17, vcc, 0, v5, vcc
	v_add_co_u32_e32 v12, vcc, s2, v4
	s_movk_i32 s2, 0x3000
	s_nop 0
	v_addc_co_u32_e32 v13, vcc, 0, v5, vcc
	v_add_co_u32_e32 v20, vcc, s2, v4
	global_load_dwordx2 v[18:19], v2, s[0:1] offset:2048
	global_load_dwordx2 v[10:11], v[12:13], off offset:-4096
	global_load_dwordx2 v[6:7], v[12:13], off
	global_load_dwordx2 v[8:9], v[12:13], off offset:2048
	v_addc_co_u32_e32 v21, vcc, 0, v5, vcc
	global_load_dwordx2 v[14:15], v[16:17], off offset:2048
	global_load_dwordx2 v[4:5], v[20:21], off
	global_load_dwordx2 v[22:23], v2, s[0:1]
	global_load_dwordx2 v[12:13], v[20:21], off offset:2048
	v_and_b32_e32 v3, 0x7f0, v2
	v_or_b32_e32 v41, 8, v3
	v_add_u32_e32 v42, 16, v3
	v_and_b32_e32 v48, 0x7e0, v2
	v_and_b32_e32 v40, 8, v2
	v_sub_u32_e32 v17, v42, v41
	v_or_b32_e32 v50, 16, v48
	v_add_u32_e32 v51, 32, v48
	v_and_b32_e32 v57, 0x7c0, v2
	v_sub_u32_e32 v16, v41, v3
	v_sub_u32_e32 v20, v40, v17
	v_cmp_ge_i32_e32 vcc, v40, v17
	v_and_b32_e32 v49, 24, v2
	v_sub_u32_e32 v17, v51, v50
	v_or_b32_e32 v59, 32, v57
	v_add_u32_e32 v60, 64, v57
	v_and_b32_e32 v66, 0x780, v2
	v_cndmask_b32_e32 v45, 0, v20, vcc
	v_min_i32_e32 v46, v40, v16
	v_sub_u32_e32 v16, v50, v48
	v_sub_u32_e32 v20, v49, v17
	v_cmp_ge_i32_e64 s[0:1], v49, v17
	v_and_b32_e32 v58, 56, v2
	v_sub_u32_e32 v17, v60, v59
	v_or_b32_e32 v68, 64, v66
	v_add_u32_e32 v69, 0x80, v66
	v_and_b32_e32 v75, 0x700, v2
	v_cndmask_b32_e64 v54, 0, v20, s[0:1]
	v_min_i32_e32 v55, v49, v16
	v_sub_u32_e32 v16, v59, v57
	v_sub_u32_e32 v20, v58, v17
	v_cmp_ge_i32_e64 s[2:3], v58, v17
	v_and_b32_e32 v67, 0x78, v2
	v_sub_u32_e32 v17, v69, v68
	v_or_b32_e32 v77, 0x80, v75
	v_add_u32_e32 v78, 0x100, v75
	v_and_b32_e32 v84, 0x600, v2
	v_cndmask_b32_e64 v63, 0, v20, s[2:3]
	v_min_i32_e32 v64, v58, v16
	v_sub_u32_e32 v16, v68, v66
	v_sub_u32_e32 v20, v67, v17
	v_cmp_ge_i32_e64 s[4:5], v67, v17
	v_and_b32_e32 v76, 0xf8, v2
	v_sub_u32_e32 v17, v78, v77
	v_or_b32_e32 v86, 0x100, v84
	v_add_u32_e32 v87, 0x200, v84
	v_and_b32_e32 v94, 0x400, v2
	v_cndmask_b32_e64 v72, 0, v20, s[4:5]
	v_min_i32_e32 v73, v67, v16
	v_sub_u32_e32 v16, v77, v75
	v_sub_u32_e32 v20, v76, v17
	v_cmp_ge_i32_e64 s[6:7], v76, v17
	v_and_b32_e32 v85, 0x1f8, v2
	v_sub_u32_e32 v17, v87, v86
	v_or_b32_e32 v96, 0x200, v94
	v_add_u32_e32 v97, 0x400, v94
	v_cndmask_b32_e64 v81, 0, v20, s[6:7]
	v_min_i32_e32 v82, v76, v16
	v_sub_u32_e32 v16, v86, v84
	v_sub_u32_e32 v20, v85, v17
	v_cmp_ge_i32_e64 s[8:9], v85, v17
	v_and_b32_e32 v95, 0x3f8, v2
	v_sub_u32_e32 v17, v97, v96
	v_cndmask_b32_e64 v90, 0, v20, s[8:9]
	v_min_i32_e32 v91, v85, v16
	v_mov_b32_e32 v93, 0x400
	v_sub_u32_e32 v16, v96, v94
	v_sub_u32_e32 v20, v95, v17
	v_cmp_ge_i32_e64 s[10:11], v95, v17
	v_min_i32_e32 v101, v95, v16
	v_sub_u32_e64 v104, v2, v93 clamp
	v_cndmask_b32_e64 v100, 0, v20, s[10:11]
	v_min_i32_e32 v105, 0x400, v2
	v_lshlrev_b32_e32 v1, 6, v0
	v_lshlrev_b32_e32 v43, 3, v3
	;; [unrolled: 1-line block ×3, first 2 shown]
	v_cmp_lt_i32_e32 vcc, v45, v46
	v_add_u32_e32 v47, v41, v40
	v_lshlrev_b32_e32 v52, 3, v48
	v_lshlrev_b32_e32 v53, 3, v50
	v_cmp_lt_i32_e64 s[0:1], v54, v55
	v_add_u32_e32 v56, v50, v49
	v_lshlrev_b32_e32 v61, 3, v57
	v_lshlrev_b32_e32 v62, 3, v59
	v_cmp_lt_i32_e64 s[2:3], v63, v64
	;; [unrolled: 4-line block ×6, first 2 shown]
	v_add_u32_e32 v102, v96, v95
	v_mov_b32_e32 v103, 0x2000
	v_cmp_lt_i32_e64 s[12:13], v104, v105
	v_add_u32_e32 v106, 0x400, v2
	s_movk_i32 s33, 0x800
	s_branch .LBB148_2
.LBB148_1:                              ;   in Loop: Header=BB148_2 Depth=1
	s_or_b64 exec, exec, s[28:29]
	v_cndmask_b32_e64 v19, v9, v11, s[16:17]
	v_cndmask_b32_e64 v18, v8, v10, s[16:17]
	;; [unrolled: 1-line block ×4, first 2 shown]
	v_cmp_ge_i32_e64 s[16:17], v108, v93
	s_waitcnt lgkmcnt(0)
	v_cmp_lt_i64_e64 s[18:19], v[38:39], v[36:37]
	v_cndmask_b32_e64 v23, v5, v7, s[14:15]
	v_cndmask_b32_e64 v22, v4, v6, s[14:15]
	v_cmp_gt_i32_e64 s[14:15], s33, v107
	s_or_b64 s[16:17], s[16:17], s[18:19]
	s_and_b64 s[14:15], s[14:15], s[16:17]
	s_add_i32 s35, s35, 1
	v_cndmask_b32_e64 v15, v17, v21, s[20:21]
	v_cndmask_b32_e64 v14, v16, v20, s[20:21]
	;; [unrolled: 1-line block ×9, first 2 shown]
	s_cmp_eq_u32 s35, 10
	v_cndmask_b32_e64 v12, v36, v38, s[14:15]
	s_cbranch_scc1 .LBB148_258
.LBB148_2:                              ; =>This Loop Header: Depth=1
                                        ;     Child Loop BB148_4 Depth 2
                                        ;     Child Loop BB148_36 Depth 2
	;; [unrolled: 1-line block ×8, first 2 shown]
	s_waitcnt vmcnt(1)
	v_cmp_lt_i64_e64 s[14:15], v[18:19], v[22:23]
	s_barrier
	s_nop 0
	v_cndmask_b32_e64 v17, v23, v19, s[14:15]
	v_cndmask_b32_e64 v16, v22, v18, s[14:15]
	;; [unrolled: 1-line block ×4, first 2 shown]
	v_cmp_gt_i64_e64 s[14:15], v[18:19], v[22:23]
	s_nop 1
	v_cndmask_b32_e64 v19, v23, v19, s[14:15]
	v_cndmask_b32_e64 v18, v22, v18, s[14:15]
	v_cmp_lt_i64_e64 s[14:15], v[14:15], v[10:11]
	s_nop 1
	v_cndmask_b32_e64 v21, v11, v15, s[14:15]
	v_cndmask_b32_e64 v20, v10, v14, s[14:15]
	;; [unrolled: 1-line block ×4, first 2 shown]
	v_cmp_gt_i64_e64 s[14:15], v[14:15], v[10:11]
	v_cmp_gt_i64_e64 s[16:17], v[20:21], v[18:19]
	s_nop 0
	v_cndmask_b32_e64 v11, v11, v15, s[14:15]
	v_cndmask_b32_e64 v10, v10, v14, s[14:15]
	v_cmp_lt_i64_e64 s[14:15], v[8:9], v[6:7]
	s_nop 1
	v_cndmask_b32_e64 v15, v7, v9, s[14:15]
	v_cndmask_b32_e64 v14, v6, v8, s[14:15]
	;; [unrolled: 1-line block ×4, first 2 shown]
	v_cmp_gt_i64_e64 s[14:15], v[8:9], v[6:7]
	s_nop 1
	v_cndmask_b32_e64 v7, v7, v9, s[14:15]
	v_cndmask_b32_e64 v6, v6, v8, s[14:15]
	s_waitcnt vmcnt(0)
	v_cmp_lt_i64_e64 s[14:15], v[12:13], v[4:5]
	s_nop 1
	v_cndmask_b32_e64 v9, v5, v13, s[14:15]
	v_cndmask_b32_e64 v8, v4, v12, s[14:15]
	;; [unrolled: 1-line block ×4, first 2 shown]
	v_cmp_gt_i64_e64 s[14:15], v[12:13], v[4:5]
	s_nop 1
	v_cndmask_b32_e64 v5, v5, v13, s[14:15]
	v_cndmask_b32_e64 v4, v4, v12, s[14:15]
	v_cmp_lt_i64_e64 s[14:15], v[20:21], v[18:19]
	v_cndmask_b32_e64 v13, v19, v21, s[16:17]
	v_cndmask_b32_e64 v12, v18, v20, s[16:17]
	v_cndmask_b32_e64 v30, v21, v19, s[14:15]
	v_cndmask_b32_e64 v31, v20, v18, s[14:15]
	v_cndmask_b32_e64 v25, v25, v21, s[14:15]
	v_cndmask_b32_e64 v24, v24, v20, s[14:15]
	v_cndmask_b32_e64 v32, v18, v20, s[14:15]
	v_cndmask_b32_e64 v33, v19, v21, s[14:15]
	v_cmp_lt_i64_e64 s[14:15], v[14:15], v[10:11]
	v_cmp_gt_i64_e64 s[16:17], v[14:15], v[10:11]
	s_nop 0
	v_cndmask_b32_e64 v34, v15, v11, s[14:15]
	v_cndmask_b32_e64 v35, v14, v10, s[14:15]
	v_cndmask_b32_e64 v23, v23, v15, s[14:15]
	v_cndmask_b32_e64 v22, v22, v14, s[14:15]
	v_cndmask_b32_e64 v19, v11, v15, s[16:17]
	v_cndmask_b32_e64 v18, v10, v14, s[16:17]
	v_cndmask_b32_e64 v11, v11, v15, s[14:15]
	v_cndmask_b32_e64 v10, v10, v14, s[14:15]
	v_cmp_lt_i64_e64 s[14:15], v[8:9], v[6:7]
	v_cmp_gt_i64_e64 s[16:17], v[8:9], v[6:7]
	s_nop 0
	v_cndmask_b32_e64 v36, v9, v7, s[14:15]
	v_cndmask_b32_e64 v37, v8, v6, s[14:15]
	v_cndmask_b32_e64 v27, v27, v9, s[14:15]
	v_cndmask_b32_e64 v26, v26, v8, s[14:15]
	v_cndmask_b32_e64 v38, v6, v8, s[16:17]
	v_cndmask_b32_e64 v39, v7, v9, s[16:17]
	v_cndmask_b32_e64 v9, v7, v9, s[14:15]
	v_cndmask_b32_e64 v8, v6, v8, s[14:15]
	v_cmp_lt_i64_e64 s[14:15], v[20:21], v[16:17]
	v_cmp_gt_i64_e64 s[16:17], v[10:11], v[12:13]
	s_nop 0
	v_cndmask_b32_e64 v15, v17, v33, s[14:15]
	v_cndmask_b32_e64 v14, v16, v32, s[14:15]
	v_cndmask_b32_e64 v24, v24, v16, s[14:15]
	v_cndmask_b32_e64 v25, v25, v17, s[14:15]
	v_cndmask_b32_e64 v17, v33, v17, s[14:15]
	v_cndmask_b32_e64 v16, v32, v16, s[14:15]
	v_cmp_lt_i64_e64 s[14:15], v[10:11], v[12:13]
	v_cndmask_b32_e64 v21, v13, v11, s[16:17]
	v_cndmask_b32_e64 v20, v12, v10, s[16:17]
	;; [unrolled: 1-line block ×8, first 2 shown]
	v_cmp_lt_i64_e64 s[14:15], v[8:9], v[18:19]
	v_cmp_gt_i64_e64 s[16:17], v[8:9], v[18:19]
	s_nop 0
	v_cndmask_b32_e64 v26, v26, v18, s[14:15]
	v_cndmask_b32_e64 v27, v27, v19, s[14:15]
	;; [unrolled: 1-line block ×8, first 2 shown]
	v_cmp_gt_i64_e64 s[14:15], v[6:7], v[4:5]
	v_cmp_gt_i64_e64 s[16:17], v[10:11], v[16:17]
	s_nop 0
	v_cndmask_b32_e64 v29, v29, v39, s[14:15]
	v_cndmask_b32_e64 v28, v28, v38, s[14:15]
	v_cndmask_b32_e64 v34, v37, v4, s[14:15]
	v_cndmask_b32_e64 v35, v36, v5, s[14:15]
	v_cndmask_b32_e64 v7, v5, v39, s[14:15]
	v_cndmask_b32_e64 v6, v4, v38, s[14:15]
	v_cndmask_b32_e64 v5, v39, v5, s[14:15]
	v_cndmask_b32_e64 v4, v38, v4, s[14:15]
	v_cmp_lt_i64_e64 s[14:15], v[10:11], v[16:17]
	v_cndmask_b32_e64 v19, v17, v11, s[16:17]
	v_cndmask_b32_e64 v18, v16, v10, s[16:17]
	v_cndmask_b32_e64 v30, v30, v17, s[14:15]
	v_cndmask_b32_e64 v31, v31, v16, s[14:15]
	v_cndmask_b32_e64 v25, v25, v11, s[14:15]
	v_cndmask_b32_e64 v24, v24, v10, s[14:15]
	v_cndmask_b32_e64 v11, v17, v11, s[14:15]
	v_cndmask_b32_e64 v10, v16, v10, s[14:15]
	v_cmp_lt_i64_e64 s[14:15], v[8:9], v[20:21]
	v_cmp_gt_i64_e64 s[16:17], v[8:9], v[20:21]
	s_nop 0
	v_cndmask_b32_e64 v33, v33, v21, s[14:15]
	v_cndmask_b32_e64 v32, v32, v20, s[14:15]
	v_cndmask_b32_e64 v23, v23, v9, s[14:15]
	v_cndmask_b32_e64 v22, v22, v8, s[14:15]
	v_cndmask_b32_e64 v17, v21, v9, s[16:17]
	v_cndmask_b32_e64 v16, v20, v8, s[16:17]
	v_cndmask_b32_e64 v9, v21, v9, s[14:15]
	v_cndmask_b32_e64 v8, v20, v8, s[14:15]
	v_cmp_lt_i64_e64 s[14:15], v[4:5], v[12:13]
	v_cmp_gt_i64_e64 s[16:17], v[4:5], v[12:13]
	s_nop 0
	;; [unrolled: 11-line block ×3, first 2 shown]
	v_cndmask_b32_e64 v24, v24, v14, s[14:15]
	v_cndmask_b32_e64 v25, v25, v15, s[14:15]
	;; [unrolled: 1-line block ×4, first 2 shown]
	v_cmp_gt_i64_e64 s[14:15], v[10:11], v[14:15]
	s_nop 1
	v_cndmask_b32_e64 v11, v15, v11, s[14:15]
	v_cndmask_b32_e64 v10, v14, v10, s[14:15]
	v_cmp_lt_i64_e64 s[14:15], v[8:9], v[18:19]
	v_cndmask_b32_e64 v15, v19, v9, s[16:17]
	v_cndmask_b32_e64 v14, v18, v8, s[16:17]
	v_cndmask_b32_e64 v22, v22, v18, s[14:15]
	v_cndmask_b32_e64 v23, v23, v19, s[14:15]
	v_cndmask_b32_e64 v31, v31, v8, s[14:15]
	v_cndmask_b32_e64 v30, v30, v9, s[14:15]
	v_cndmask_b32_e64 v9, v19, v9, s[14:15]
	v_cndmask_b32_e64 v8, v18, v8, s[14:15]
	v_cmp_lt_i64_e64 s[14:15], v[4:5], v[16:17]
	v_cmp_gt_i64_e64 s[16:17], v[4:5], v[16:17]
	s_nop 0
	v_cndmask_b32_e64 v26, v26, v16, s[14:15]
	v_cndmask_b32_e64 v27, v27, v17, s[14:15]
	v_cndmask_b32_e64 v32, v32, v4, s[14:15]
	v_cndmask_b32_e64 v33, v33, v5, s[14:15]
	v_cndmask_b32_e64 v19, v17, v5, s[16:17]
	v_cndmask_b32_e64 v18, v16, v4, s[16:17]
	v_cndmask_b32_e64 v5, v17, v5, s[14:15]
	v_cndmask_b32_e64 v4, v16, v4, s[14:15]
	v_cmp_lt_i64_e64 s[14:15], v[6:7], v[20:21]
	v_cmp_gt_i64_e64 s[16:17], v[6:7], v[20:21]
	s_nop 0
	;; [unrolled: 11-line block ×6, first 2 shown]
	v_cndmask_b32_e64 v9, v13, v37, s[14:15]
	v_cndmask_b32_e64 v8, v12, v36, s[14:15]
	;; [unrolled: 1-line block ×6, first 2 shown]
	v_cmp_lt_i64_e64 s[14:15], v[4:5], v[20:21]
	v_cndmask_b32_e64 v15, v21, v5, s[16:17]
	v_cndmask_b32_e64 v14, v20, v4, s[16:17]
	;; [unrolled: 1-line block ×8, first 2 shown]
	v_cmp_lt_i64_e64 s[14:15], v[6:7], v[10:11]
	v_cmp_gt_i64_e64 s[16:17], v[6:7], v[10:11]
	s_nop 0
	v_cndmask_b32_e64 v26, v26, v10, s[14:15]
	v_cndmask_b32_e64 v27, v27, v11, s[14:15]
	;; [unrolled: 1-line block ×8, first 2 shown]
	v_cmp_gt_i64_e64 s[14:15], v[18:19], v[16:17]
	s_nop 1
	v_cndmask_b32_e64 v11, v29, v39, s[14:15]
	v_cndmask_b32_e64 v10, v28, v38, s[14:15]
	;; [unrolled: 1-line block ×6, first 2 shown]
	v_cmp_lt_i64_e64 s[14:15], v[4:5], v[12:13]
	s_nop 1
	v_cndmask_b32_e64 v13, v30, v13, s[14:15]
	v_cndmask_b32_e64 v12, v31, v12, s[14:15]
	v_cndmask_b32_e64 v5, v25, v5, s[14:15]
	v_cndmask_b32_e64 v4, v24, v4, s[14:15]
	v_cmp_lt_i64_e64 s[14:15], v[6:7], v[14:15]
	s_nop 1
	v_cndmask_b32_e64 v15, v33, v15, s[14:15]
	v_cndmask_b32_e64 v14, v32, v14, s[14:15]
	v_cndmask_b32_e64 v7, v23, v7, s[14:15]
	v_cndmask_b32_e64 v6, v22, v6, s[14:15]
	;; [unrolled: 6-line block ×3, first 2 shown]
	ds_write2_b64 v1, v[8:9], v[4:5] offset1:1
	ds_write2_b64 v1, v[12:13], v[6:7] offset0:2 offset1:3
	ds_write2_b64 v1, v[14:15], v[16:17] offset0:4 offset1:5
	;; [unrolled: 1-line block ×3, first 2 shown]
	v_mov_b32_e32 v8, v45
	s_waitcnt lgkmcnt(0)
	s_barrier
	s_and_saveexec_b64 s[16:17], vcc
	s_cbranch_execz .LBB148_6
; %bb.3:                                ;   in Loop: Header=BB148_2 Depth=1
	s_mov_b64 s[18:19], 0
	v_mov_b32_e32 v8, v45
	v_mov_b32_e32 v4, v46
.LBB148_4:                              ;   Parent Loop BB148_2 Depth=1
                                        ; =>  This Inner Loop Header: Depth=2
	v_sub_u32_e32 v5, v4, v8
	v_lshrrev_b32_e32 v6, 31, v5
	v_add_u32_e32 v5, v5, v6
	v_ashrrev_i32_e32 v5, 1, v5
	v_add_u32_e32 v5, v5, v8
	v_lshl_add_u32 v6, v5, 3, v43
	v_xad_u32 v7, v5, -1, v40
	v_lshl_add_u32 v9, v7, 3, v44
	ds_read_b64 v[6:7], v6
	ds_read_b64 v[10:11], v9
	v_add_u32_e32 v9, 1, v5
	s_waitcnt lgkmcnt(0)
	v_cmp_lt_i64_e64 s[14:15], v[10:11], v[6:7]
	s_nop 1
	v_cndmask_b32_e64 v4, v4, v5, s[14:15]
	v_cndmask_b32_e64 v8, v9, v8, s[14:15]
	v_cmp_ge_i32_e64 s[14:15], v8, v4
	s_or_b64 s[18:19], s[14:15], s[18:19]
	s_andn2_b64 exec, exec, s[18:19]
	s_cbranch_execnz .LBB148_4
; %bb.5:                                ;   in Loop: Header=BB148_2 Depth=1
	s_or_b64 exec, exec, s[18:19]
.LBB148_6:                              ;   in Loop: Header=BB148_2 Depth=1
	s_or_b64 exec, exec, s[16:17]
	v_sub_u32_e32 v12, v47, v8
	v_lshl_add_u32 v10, v8, 3, v43
	v_lshlrev_b32_e32 v14, 3, v12
	ds_read_b64 v[4:5], v10
	ds_read_b64 v[6:7], v14
	v_add_u32_e32 v13, v8, v3
	v_cmp_le_i32_e64 s[16:17], v41, v13
	v_cmp_gt_i32_e64 s[14:15], v42, v12
                                        ; implicit-def: $vgpr8_vgpr9
	s_waitcnt lgkmcnt(0)
	v_cmp_lt_i64_e64 s[18:19], v[6:7], v[4:5]
	s_or_b64 s[16:17], s[16:17], s[18:19]
	s_and_b64 s[14:15], s[14:15], s[16:17]
	s_xor_b64 s[16:17], s[14:15], -1
	s_and_saveexec_b64 s[18:19], s[16:17]
	s_xor_b64 s[16:17], exec, s[18:19]
	s_cbranch_execz .LBB148_8
; %bb.7:                                ;   in Loop: Header=BB148_2 Depth=1
	ds_read_b64 v[8:9], v10 offset:8
                                        ; implicit-def: $vgpr14
.LBB148_8:                              ;   in Loop: Header=BB148_2 Depth=1
	s_or_saveexec_b64 s[16:17], s[16:17]
	v_mov_b64_e32 v[10:11], v[6:7]
	s_xor_b64 exec, exec, s[16:17]
	s_cbranch_execz .LBB148_10
; %bb.9:                                ;   in Loop: Header=BB148_2 Depth=1
	ds_read_b64 v[10:11], v14 offset:8
	s_waitcnt lgkmcnt(1)
	v_mov_b64_e32 v[8:9], v[4:5]
.LBB148_10:                             ;   in Loop: Header=BB148_2 Depth=1
	s_or_b64 exec, exec, s[16:17]
	v_add_u32_e32 v15, 1, v13
	v_add_u32_e32 v14, 1, v12
	v_cndmask_b32_e64 v17, v15, v13, s[14:15]
	v_cndmask_b32_e64 v16, v12, v14, s[14:15]
	v_cmp_ge_i32_e64 s[18:19], v17, v41
	s_waitcnt lgkmcnt(0)
	v_cmp_lt_i64_e64 s[20:21], v[10:11], v[8:9]
	v_cmp_lt_i32_e64 s[16:17], v16, v42
	s_or_b64 s[18:19], s[18:19], s[20:21]
	s_and_b64 s[16:17], s[16:17], s[18:19]
	s_xor_b64 s[18:19], s[16:17], -1
                                        ; implicit-def: $vgpr12_vgpr13
	s_and_saveexec_b64 s[20:21], s[18:19]
	s_xor_b64 s[18:19], exec, s[20:21]
	s_cbranch_execz .LBB148_12
; %bb.11:                               ;   in Loop: Header=BB148_2 Depth=1
	v_lshlrev_b32_e32 v12, 3, v17
	ds_read_b64 v[12:13], v12 offset:8
.LBB148_12:                             ;   in Loop: Header=BB148_2 Depth=1
	s_or_saveexec_b64 s[18:19], s[18:19]
	v_mov_b64_e32 v[14:15], v[10:11]
	s_xor_b64 exec, exec, s[18:19]
	s_cbranch_execz .LBB148_14
; %bb.13:                               ;   in Loop: Header=BB148_2 Depth=1
	s_waitcnt lgkmcnt(0)
	v_lshlrev_b32_e32 v12, 3, v16
	ds_read_b64 v[14:15], v12 offset:8
	v_mov_b64_e32 v[12:13], v[8:9]
.LBB148_14:                             ;   in Loop: Header=BB148_2 Depth=1
	s_or_b64 exec, exec, s[18:19]
	v_add_u32_e32 v19, 1, v17
	v_add_u32_e32 v18, 1, v16
	v_cndmask_b32_e64 v21, v19, v17, s[16:17]
	v_cndmask_b32_e64 v20, v16, v18, s[16:17]
	v_cmp_ge_i32_e64 s[20:21], v21, v41
	s_waitcnt lgkmcnt(0)
	v_cmp_lt_i64_e64 s[22:23], v[14:15], v[12:13]
	v_cmp_lt_i32_e64 s[18:19], v20, v42
	s_or_b64 s[20:21], s[20:21], s[22:23]
	s_and_b64 s[18:19], s[18:19], s[20:21]
	s_xor_b64 s[20:21], s[18:19], -1
                                        ; implicit-def: $vgpr16_vgpr17
	s_and_saveexec_b64 s[22:23], s[20:21]
	s_xor_b64 s[20:21], exec, s[22:23]
	s_cbranch_execz .LBB148_16
; %bb.15:                               ;   in Loop: Header=BB148_2 Depth=1
	v_lshlrev_b32_e32 v16, 3, v21
	ds_read_b64 v[16:17], v16 offset:8
.LBB148_16:                             ;   in Loop: Header=BB148_2 Depth=1
	s_or_saveexec_b64 s[20:21], s[20:21]
	v_mov_b64_e32 v[18:19], v[14:15]
	s_xor_b64 exec, exec, s[20:21]
	s_cbranch_execz .LBB148_18
; %bb.17:                               ;   in Loop: Header=BB148_2 Depth=1
	s_waitcnt lgkmcnt(0)
	v_lshlrev_b32_e32 v16, 3, v20
	ds_read_b64 v[18:19], v16 offset:8
	v_mov_b64_e32 v[16:17], v[12:13]
.LBB148_18:                             ;   in Loop: Header=BB148_2 Depth=1
	s_or_b64 exec, exec, s[20:21]
	v_add_u32_e32 v23, 1, v21
	v_add_u32_e32 v22, 1, v20
	v_cndmask_b32_e64 v25, v23, v21, s[18:19]
	v_cndmask_b32_e64 v24, v20, v22, s[18:19]
	v_cmp_ge_i32_e64 s[22:23], v25, v41
	s_waitcnt lgkmcnt(0)
	v_cmp_lt_i64_e64 s[24:25], v[18:19], v[16:17]
	v_cmp_lt_i32_e64 s[20:21], v24, v42
	s_or_b64 s[22:23], s[22:23], s[24:25]
	s_and_b64 s[20:21], s[20:21], s[22:23]
	s_xor_b64 s[22:23], s[20:21], -1
                                        ; implicit-def: $vgpr20_vgpr21
	s_and_saveexec_b64 s[24:25], s[22:23]
	s_xor_b64 s[22:23], exec, s[24:25]
	s_cbranch_execz .LBB148_20
; %bb.19:                               ;   in Loop: Header=BB148_2 Depth=1
	v_lshlrev_b32_e32 v20, 3, v25
	ds_read_b64 v[20:21], v20 offset:8
.LBB148_20:                             ;   in Loop: Header=BB148_2 Depth=1
	s_or_saveexec_b64 s[22:23], s[22:23]
	v_mov_b64_e32 v[22:23], v[18:19]
	s_xor_b64 exec, exec, s[22:23]
	s_cbranch_execz .LBB148_22
; %bb.21:                               ;   in Loop: Header=BB148_2 Depth=1
	s_waitcnt lgkmcnt(0)
	v_lshlrev_b32_e32 v20, 3, v24
	ds_read_b64 v[22:23], v20 offset:8
	v_mov_b64_e32 v[20:21], v[16:17]
.LBB148_22:                             ;   in Loop: Header=BB148_2 Depth=1
	s_or_b64 exec, exec, s[22:23]
	v_add_u32_e32 v27, 1, v25
	v_add_u32_e32 v26, 1, v24
	v_cndmask_b32_e64 v29, v27, v25, s[20:21]
	v_cndmask_b32_e64 v28, v24, v26, s[20:21]
	v_cmp_ge_i32_e64 s[24:25], v29, v41
	s_waitcnt lgkmcnt(0)
	v_cmp_lt_i64_e64 s[26:27], v[22:23], v[20:21]
	v_cmp_lt_i32_e64 s[22:23], v28, v42
	s_or_b64 s[24:25], s[24:25], s[26:27]
	s_and_b64 s[22:23], s[22:23], s[24:25]
	s_xor_b64 s[24:25], s[22:23], -1
                                        ; implicit-def: $vgpr24_vgpr25
	s_and_saveexec_b64 s[26:27], s[24:25]
	s_xor_b64 s[24:25], exec, s[26:27]
	s_cbranch_execz .LBB148_24
; %bb.23:                               ;   in Loop: Header=BB148_2 Depth=1
	v_lshlrev_b32_e32 v24, 3, v29
	ds_read_b64 v[24:25], v24 offset:8
.LBB148_24:                             ;   in Loop: Header=BB148_2 Depth=1
	s_or_saveexec_b64 s[24:25], s[24:25]
	v_mov_b64_e32 v[26:27], v[22:23]
	s_xor_b64 exec, exec, s[24:25]
	s_cbranch_execz .LBB148_26
; %bb.25:                               ;   in Loop: Header=BB148_2 Depth=1
	s_waitcnt lgkmcnt(0)
	v_lshlrev_b32_e32 v24, 3, v28
	ds_read_b64 v[26:27], v24 offset:8
	v_mov_b64_e32 v[24:25], v[20:21]
.LBB148_26:                             ;   in Loop: Header=BB148_2 Depth=1
	s_or_b64 exec, exec, s[24:25]
	v_add_u32_e32 v31, 1, v29
	v_add_u32_e32 v30, 1, v28
	v_cndmask_b32_e64 v33, v31, v29, s[22:23]
	v_cndmask_b32_e64 v32, v28, v30, s[22:23]
	v_cmp_ge_i32_e64 s[26:27], v33, v41
	s_waitcnt lgkmcnt(0)
	v_cmp_lt_i64_e64 s[28:29], v[26:27], v[24:25]
	v_cmp_lt_i32_e64 s[24:25], v32, v42
	s_or_b64 s[26:27], s[26:27], s[28:29]
	s_and_b64 s[24:25], s[24:25], s[26:27]
	s_xor_b64 s[26:27], s[24:25], -1
                                        ; implicit-def: $vgpr28_vgpr29
	s_and_saveexec_b64 s[28:29], s[26:27]
	s_xor_b64 s[26:27], exec, s[28:29]
	s_cbranch_execz .LBB148_28
; %bb.27:                               ;   in Loop: Header=BB148_2 Depth=1
	v_lshlrev_b32_e32 v28, 3, v33
	ds_read_b64 v[28:29], v28 offset:8
.LBB148_28:                             ;   in Loop: Header=BB148_2 Depth=1
	s_or_saveexec_b64 s[26:27], s[26:27]
	v_mov_b64_e32 v[30:31], v[26:27]
	s_xor_b64 exec, exec, s[26:27]
	s_cbranch_execz .LBB148_30
; %bb.29:                               ;   in Loop: Header=BB148_2 Depth=1
	s_waitcnt lgkmcnt(0)
	v_lshlrev_b32_e32 v28, 3, v32
	ds_read_b64 v[30:31], v28 offset:8
	v_mov_b64_e32 v[28:29], v[24:25]
.LBB148_30:                             ;   in Loop: Header=BB148_2 Depth=1
	s_or_b64 exec, exec, s[26:27]
	v_add_u32_e32 v35, 1, v33
	v_add_u32_e32 v34, 1, v32
	v_cndmask_b32_e64 v37, v35, v33, s[24:25]
	v_cndmask_b32_e64 v36, v32, v34, s[24:25]
	v_cmp_ge_i32_e64 s[28:29], v37, v41
	s_waitcnt lgkmcnt(0)
	v_cmp_lt_i64_e64 s[30:31], v[30:31], v[28:29]
	v_cmp_lt_i32_e64 s[26:27], v36, v42
	s_or_b64 s[28:29], s[28:29], s[30:31]
	s_and_b64 s[26:27], s[26:27], s[28:29]
	s_xor_b64 s[28:29], s[26:27], -1
                                        ; implicit-def: $vgpr32_vgpr33
	s_and_saveexec_b64 s[30:31], s[28:29]
	s_xor_b64 s[28:29], exec, s[30:31]
	s_cbranch_execz .LBB148_32
; %bb.31:                               ;   in Loop: Header=BB148_2 Depth=1
	v_lshlrev_b32_e32 v32, 3, v37
	ds_read_b64 v[32:33], v32 offset:8
.LBB148_32:                             ;   in Loop: Header=BB148_2 Depth=1
	s_or_saveexec_b64 s[28:29], s[28:29]
	v_mov_b64_e32 v[34:35], v[30:31]
	s_xor_b64 exec, exec, s[28:29]
	s_cbranch_execz .LBB148_34
; %bb.33:                               ;   in Loop: Header=BB148_2 Depth=1
	s_waitcnt lgkmcnt(0)
	v_lshlrev_b32_e32 v32, 3, v36
	ds_read_b64 v[34:35], v32 offset:8
	v_mov_b64_e32 v[32:33], v[28:29]
.LBB148_34:                             ;   in Loop: Header=BB148_2 Depth=1
	s_or_b64 exec, exec, s[28:29]
	v_cndmask_b32_e64 v29, v29, v31, s[26:27]
	v_add_u32_e32 v31, 1, v37
	v_cndmask_b32_e64 v28, v28, v30, s[26:27]
	v_add_u32_e32 v30, 1, v36
	v_cndmask_b32_e64 v31, v31, v37, s[26:27]
	v_cndmask_b32_e64 v30, v36, v30, s[26:27]
	;; [unrolled: 1-line block ×6, first 2 shown]
	v_cmp_ge_i32_e64 s[16:17], v31, v41
	s_waitcnt lgkmcnt(0)
	v_cmp_lt_i64_e64 s[18:19], v[34:35], v[32:33]
	v_cndmask_b32_e64 v5, v5, v7, s[14:15]
	v_cndmask_b32_e64 v4, v4, v6, s[14:15]
	v_cmp_lt_i32_e64 s[14:15], v30, v42
	s_or_b64 s[16:17], s[16:17], s[18:19]
	s_and_b64 s[14:15], s[14:15], s[16:17]
	v_cndmask_b32_e64 v25, v25, v27, s[24:25]
	v_cndmask_b32_e64 v24, v24, v26, s[24:25]
	;; [unrolled: 1-line block ×8, first 2 shown]
	s_barrier
	ds_write2_b64 v1, v[4:5], v[8:9] offset1:1
	ds_write2_b64 v1, v[12:13], v[16:17] offset0:2 offset1:3
	ds_write2_b64 v1, v[20:21], v[24:25] offset0:4 offset1:5
	;; [unrolled: 1-line block ×3, first 2 shown]
	v_mov_b32_e32 v8, v54
	s_waitcnt lgkmcnt(0)
	s_barrier
	s_and_saveexec_b64 s[16:17], s[0:1]
	s_cbranch_execz .LBB148_38
; %bb.35:                               ;   in Loop: Header=BB148_2 Depth=1
	s_mov_b64 s[18:19], 0
	v_mov_b32_e32 v8, v54
	v_mov_b32_e32 v4, v55
.LBB148_36:                             ;   Parent Loop BB148_2 Depth=1
                                        ; =>  This Inner Loop Header: Depth=2
	v_sub_u32_e32 v5, v4, v8
	v_lshrrev_b32_e32 v6, 31, v5
	v_add_u32_e32 v5, v5, v6
	v_ashrrev_i32_e32 v5, 1, v5
	v_add_u32_e32 v5, v5, v8
	v_lshl_add_u32 v6, v5, 3, v52
	v_xad_u32 v7, v5, -1, v49
	v_lshl_add_u32 v9, v7, 3, v53
	ds_read_b64 v[6:7], v6
	ds_read_b64 v[10:11], v9
	v_add_u32_e32 v9, 1, v5
	s_waitcnt lgkmcnt(0)
	v_cmp_lt_i64_e64 s[14:15], v[10:11], v[6:7]
	s_nop 1
	v_cndmask_b32_e64 v4, v4, v5, s[14:15]
	v_cndmask_b32_e64 v8, v9, v8, s[14:15]
	v_cmp_ge_i32_e64 s[14:15], v8, v4
	s_or_b64 s[18:19], s[14:15], s[18:19]
	s_andn2_b64 exec, exec, s[18:19]
	s_cbranch_execnz .LBB148_36
; %bb.37:                               ;   in Loop: Header=BB148_2 Depth=1
	s_or_b64 exec, exec, s[18:19]
.LBB148_38:                             ;   in Loop: Header=BB148_2 Depth=1
	s_or_b64 exec, exec, s[16:17]
	v_sub_u32_e32 v12, v56, v8
	v_lshl_add_u32 v10, v8, 3, v52
	v_lshlrev_b32_e32 v14, 3, v12
	ds_read_b64 v[4:5], v10
	ds_read_b64 v[6:7], v14
	v_add_u32_e32 v13, v8, v48
	v_cmp_le_i32_e64 s[16:17], v50, v13
	v_cmp_gt_i32_e64 s[14:15], v51, v12
                                        ; implicit-def: $vgpr8_vgpr9
	s_waitcnt lgkmcnt(0)
	v_cmp_lt_i64_e64 s[18:19], v[6:7], v[4:5]
	s_or_b64 s[16:17], s[16:17], s[18:19]
	s_and_b64 s[14:15], s[14:15], s[16:17]
	s_xor_b64 s[16:17], s[14:15], -1
	s_and_saveexec_b64 s[18:19], s[16:17]
	s_xor_b64 s[16:17], exec, s[18:19]
	s_cbranch_execz .LBB148_40
; %bb.39:                               ;   in Loop: Header=BB148_2 Depth=1
	ds_read_b64 v[8:9], v10 offset:8
                                        ; implicit-def: $vgpr14
.LBB148_40:                             ;   in Loop: Header=BB148_2 Depth=1
	s_or_saveexec_b64 s[16:17], s[16:17]
	v_mov_b64_e32 v[10:11], v[6:7]
	s_xor_b64 exec, exec, s[16:17]
	s_cbranch_execz .LBB148_42
; %bb.41:                               ;   in Loop: Header=BB148_2 Depth=1
	ds_read_b64 v[10:11], v14 offset:8
	s_waitcnt lgkmcnt(1)
	v_mov_b64_e32 v[8:9], v[4:5]
.LBB148_42:                             ;   in Loop: Header=BB148_2 Depth=1
	s_or_b64 exec, exec, s[16:17]
	v_add_u32_e32 v15, 1, v13
	v_add_u32_e32 v14, 1, v12
	v_cndmask_b32_e64 v17, v15, v13, s[14:15]
	v_cndmask_b32_e64 v16, v12, v14, s[14:15]
	v_cmp_ge_i32_e64 s[18:19], v17, v50
	s_waitcnt lgkmcnt(0)
	v_cmp_lt_i64_e64 s[20:21], v[10:11], v[8:9]
	v_cmp_lt_i32_e64 s[16:17], v16, v51
	s_or_b64 s[18:19], s[18:19], s[20:21]
	s_and_b64 s[16:17], s[16:17], s[18:19]
	s_xor_b64 s[18:19], s[16:17], -1
                                        ; implicit-def: $vgpr12_vgpr13
	s_and_saveexec_b64 s[20:21], s[18:19]
	s_xor_b64 s[18:19], exec, s[20:21]
	s_cbranch_execz .LBB148_44
; %bb.43:                               ;   in Loop: Header=BB148_2 Depth=1
	v_lshlrev_b32_e32 v12, 3, v17
	ds_read_b64 v[12:13], v12 offset:8
.LBB148_44:                             ;   in Loop: Header=BB148_2 Depth=1
	s_or_saveexec_b64 s[18:19], s[18:19]
	v_mov_b64_e32 v[14:15], v[10:11]
	s_xor_b64 exec, exec, s[18:19]
	s_cbranch_execz .LBB148_46
; %bb.45:                               ;   in Loop: Header=BB148_2 Depth=1
	s_waitcnt lgkmcnt(0)
	v_lshlrev_b32_e32 v12, 3, v16
	ds_read_b64 v[14:15], v12 offset:8
	v_mov_b64_e32 v[12:13], v[8:9]
.LBB148_46:                             ;   in Loop: Header=BB148_2 Depth=1
	s_or_b64 exec, exec, s[18:19]
	v_add_u32_e32 v19, 1, v17
	v_add_u32_e32 v18, 1, v16
	v_cndmask_b32_e64 v21, v19, v17, s[16:17]
	v_cndmask_b32_e64 v20, v16, v18, s[16:17]
	v_cmp_ge_i32_e64 s[20:21], v21, v50
	s_waitcnt lgkmcnt(0)
	v_cmp_lt_i64_e64 s[22:23], v[14:15], v[12:13]
	v_cmp_lt_i32_e64 s[18:19], v20, v51
	s_or_b64 s[20:21], s[20:21], s[22:23]
	s_and_b64 s[18:19], s[18:19], s[20:21]
	s_xor_b64 s[20:21], s[18:19], -1
                                        ; implicit-def: $vgpr16_vgpr17
	s_and_saveexec_b64 s[22:23], s[20:21]
	s_xor_b64 s[20:21], exec, s[22:23]
	s_cbranch_execz .LBB148_48
; %bb.47:                               ;   in Loop: Header=BB148_2 Depth=1
	v_lshlrev_b32_e32 v16, 3, v21
	ds_read_b64 v[16:17], v16 offset:8
.LBB148_48:                             ;   in Loop: Header=BB148_2 Depth=1
	s_or_saveexec_b64 s[20:21], s[20:21]
	v_mov_b64_e32 v[18:19], v[14:15]
	s_xor_b64 exec, exec, s[20:21]
	s_cbranch_execz .LBB148_50
; %bb.49:                               ;   in Loop: Header=BB148_2 Depth=1
	s_waitcnt lgkmcnt(0)
	v_lshlrev_b32_e32 v16, 3, v20
	ds_read_b64 v[18:19], v16 offset:8
	v_mov_b64_e32 v[16:17], v[12:13]
.LBB148_50:                             ;   in Loop: Header=BB148_2 Depth=1
	s_or_b64 exec, exec, s[20:21]
	v_add_u32_e32 v23, 1, v21
	v_add_u32_e32 v22, 1, v20
	v_cndmask_b32_e64 v25, v23, v21, s[18:19]
	v_cndmask_b32_e64 v24, v20, v22, s[18:19]
	v_cmp_ge_i32_e64 s[22:23], v25, v50
	s_waitcnt lgkmcnt(0)
	v_cmp_lt_i64_e64 s[24:25], v[18:19], v[16:17]
	v_cmp_lt_i32_e64 s[20:21], v24, v51
	s_or_b64 s[22:23], s[22:23], s[24:25]
	s_and_b64 s[20:21], s[20:21], s[22:23]
	s_xor_b64 s[22:23], s[20:21], -1
                                        ; implicit-def: $vgpr20_vgpr21
	s_and_saveexec_b64 s[24:25], s[22:23]
	s_xor_b64 s[22:23], exec, s[24:25]
	s_cbranch_execz .LBB148_52
; %bb.51:                               ;   in Loop: Header=BB148_2 Depth=1
	v_lshlrev_b32_e32 v20, 3, v25
	ds_read_b64 v[20:21], v20 offset:8
.LBB148_52:                             ;   in Loop: Header=BB148_2 Depth=1
	s_or_saveexec_b64 s[22:23], s[22:23]
	v_mov_b64_e32 v[22:23], v[18:19]
	s_xor_b64 exec, exec, s[22:23]
	s_cbranch_execz .LBB148_54
; %bb.53:                               ;   in Loop: Header=BB148_2 Depth=1
	s_waitcnt lgkmcnt(0)
	v_lshlrev_b32_e32 v20, 3, v24
	ds_read_b64 v[22:23], v20 offset:8
	v_mov_b64_e32 v[20:21], v[16:17]
.LBB148_54:                             ;   in Loop: Header=BB148_2 Depth=1
	s_or_b64 exec, exec, s[22:23]
	v_add_u32_e32 v27, 1, v25
	v_add_u32_e32 v26, 1, v24
	v_cndmask_b32_e64 v29, v27, v25, s[20:21]
	v_cndmask_b32_e64 v28, v24, v26, s[20:21]
	v_cmp_ge_i32_e64 s[24:25], v29, v50
	s_waitcnt lgkmcnt(0)
	v_cmp_lt_i64_e64 s[26:27], v[22:23], v[20:21]
	v_cmp_lt_i32_e64 s[22:23], v28, v51
	s_or_b64 s[24:25], s[24:25], s[26:27]
	s_and_b64 s[22:23], s[22:23], s[24:25]
	s_xor_b64 s[24:25], s[22:23], -1
                                        ; implicit-def: $vgpr24_vgpr25
	s_and_saveexec_b64 s[26:27], s[24:25]
	s_xor_b64 s[24:25], exec, s[26:27]
	s_cbranch_execz .LBB148_56
; %bb.55:                               ;   in Loop: Header=BB148_2 Depth=1
	v_lshlrev_b32_e32 v24, 3, v29
	ds_read_b64 v[24:25], v24 offset:8
.LBB148_56:                             ;   in Loop: Header=BB148_2 Depth=1
	s_or_saveexec_b64 s[24:25], s[24:25]
	v_mov_b64_e32 v[26:27], v[22:23]
	s_xor_b64 exec, exec, s[24:25]
	s_cbranch_execz .LBB148_58
; %bb.57:                               ;   in Loop: Header=BB148_2 Depth=1
	s_waitcnt lgkmcnt(0)
	v_lshlrev_b32_e32 v24, 3, v28
	ds_read_b64 v[26:27], v24 offset:8
	v_mov_b64_e32 v[24:25], v[20:21]
.LBB148_58:                             ;   in Loop: Header=BB148_2 Depth=1
	s_or_b64 exec, exec, s[24:25]
	v_add_u32_e32 v31, 1, v29
	v_add_u32_e32 v30, 1, v28
	v_cndmask_b32_e64 v33, v31, v29, s[22:23]
	v_cndmask_b32_e64 v32, v28, v30, s[22:23]
	v_cmp_ge_i32_e64 s[26:27], v33, v50
	s_waitcnt lgkmcnt(0)
	v_cmp_lt_i64_e64 s[28:29], v[26:27], v[24:25]
	v_cmp_lt_i32_e64 s[24:25], v32, v51
	s_or_b64 s[26:27], s[26:27], s[28:29]
	s_and_b64 s[24:25], s[24:25], s[26:27]
	s_xor_b64 s[26:27], s[24:25], -1
                                        ; implicit-def: $vgpr28_vgpr29
	s_and_saveexec_b64 s[28:29], s[26:27]
	s_xor_b64 s[26:27], exec, s[28:29]
	s_cbranch_execz .LBB148_60
; %bb.59:                               ;   in Loop: Header=BB148_2 Depth=1
	v_lshlrev_b32_e32 v28, 3, v33
	ds_read_b64 v[28:29], v28 offset:8
.LBB148_60:                             ;   in Loop: Header=BB148_2 Depth=1
	s_or_saveexec_b64 s[26:27], s[26:27]
	v_mov_b64_e32 v[30:31], v[26:27]
	s_xor_b64 exec, exec, s[26:27]
	s_cbranch_execz .LBB148_62
; %bb.61:                               ;   in Loop: Header=BB148_2 Depth=1
	s_waitcnt lgkmcnt(0)
	v_lshlrev_b32_e32 v28, 3, v32
	ds_read_b64 v[30:31], v28 offset:8
	v_mov_b64_e32 v[28:29], v[24:25]
.LBB148_62:                             ;   in Loop: Header=BB148_2 Depth=1
	s_or_b64 exec, exec, s[26:27]
	v_add_u32_e32 v35, 1, v33
	v_add_u32_e32 v34, 1, v32
	v_cndmask_b32_e64 v37, v35, v33, s[24:25]
	v_cndmask_b32_e64 v36, v32, v34, s[24:25]
	v_cmp_ge_i32_e64 s[28:29], v37, v50
	s_waitcnt lgkmcnt(0)
	v_cmp_lt_i64_e64 s[30:31], v[30:31], v[28:29]
	v_cmp_lt_i32_e64 s[26:27], v36, v51
	s_or_b64 s[28:29], s[28:29], s[30:31]
	s_and_b64 s[26:27], s[26:27], s[28:29]
	s_xor_b64 s[28:29], s[26:27], -1
                                        ; implicit-def: $vgpr32_vgpr33
	s_and_saveexec_b64 s[30:31], s[28:29]
	s_xor_b64 s[28:29], exec, s[30:31]
	s_cbranch_execz .LBB148_64
; %bb.63:                               ;   in Loop: Header=BB148_2 Depth=1
	v_lshlrev_b32_e32 v32, 3, v37
	ds_read_b64 v[32:33], v32 offset:8
.LBB148_64:                             ;   in Loop: Header=BB148_2 Depth=1
	s_or_saveexec_b64 s[28:29], s[28:29]
	v_mov_b64_e32 v[34:35], v[30:31]
	s_xor_b64 exec, exec, s[28:29]
	s_cbranch_execz .LBB148_66
; %bb.65:                               ;   in Loop: Header=BB148_2 Depth=1
	s_waitcnt lgkmcnt(0)
	v_lshlrev_b32_e32 v32, 3, v36
	ds_read_b64 v[34:35], v32 offset:8
	v_mov_b64_e32 v[32:33], v[28:29]
.LBB148_66:                             ;   in Loop: Header=BB148_2 Depth=1
	s_or_b64 exec, exec, s[28:29]
	v_cndmask_b32_e64 v29, v29, v31, s[26:27]
	v_add_u32_e32 v31, 1, v37
	v_cndmask_b32_e64 v28, v28, v30, s[26:27]
	v_add_u32_e32 v30, 1, v36
	v_cndmask_b32_e64 v31, v31, v37, s[26:27]
	v_cndmask_b32_e64 v30, v36, v30, s[26:27]
	;; [unrolled: 1-line block ×6, first 2 shown]
	v_cmp_ge_i32_e64 s[16:17], v31, v50
	s_waitcnt lgkmcnt(0)
	v_cmp_lt_i64_e64 s[18:19], v[34:35], v[32:33]
	v_cndmask_b32_e64 v5, v5, v7, s[14:15]
	v_cndmask_b32_e64 v4, v4, v6, s[14:15]
	v_cmp_lt_i32_e64 s[14:15], v30, v51
	s_or_b64 s[16:17], s[16:17], s[18:19]
	s_and_b64 s[14:15], s[14:15], s[16:17]
	v_cndmask_b32_e64 v25, v25, v27, s[24:25]
	v_cndmask_b32_e64 v24, v24, v26, s[24:25]
	v_cndmask_b32_e64 v21, v21, v23, s[22:23]
	v_cndmask_b32_e64 v20, v20, v22, s[22:23]
	v_cndmask_b32_e64 v17, v17, v19, s[20:21]
	v_cndmask_b32_e64 v16, v16, v18, s[20:21]
	v_cndmask_b32_e64 v7, v33, v35, s[14:15]
	v_cndmask_b32_e64 v6, v32, v34, s[14:15]
	s_barrier
	ds_write2_b64 v1, v[4:5], v[8:9] offset1:1
	ds_write2_b64 v1, v[12:13], v[16:17] offset0:2 offset1:3
	ds_write2_b64 v1, v[20:21], v[24:25] offset0:4 offset1:5
	;; [unrolled: 1-line block ×3, first 2 shown]
	v_mov_b32_e32 v8, v63
	s_waitcnt lgkmcnt(0)
	s_barrier
	s_and_saveexec_b64 s[16:17], s[2:3]
	s_cbranch_execz .LBB148_70
; %bb.67:                               ;   in Loop: Header=BB148_2 Depth=1
	s_mov_b64 s[18:19], 0
	v_mov_b32_e32 v8, v63
	v_mov_b32_e32 v4, v64
.LBB148_68:                             ;   Parent Loop BB148_2 Depth=1
                                        ; =>  This Inner Loop Header: Depth=2
	v_sub_u32_e32 v5, v4, v8
	v_lshrrev_b32_e32 v6, 31, v5
	v_add_u32_e32 v5, v5, v6
	v_ashrrev_i32_e32 v5, 1, v5
	v_add_u32_e32 v5, v5, v8
	v_lshl_add_u32 v6, v5, 3, v61
	v_xad_u32 v7, v5, -1, v58
	v_lshl_add_u32 v9, v7, 3, v62
	ds_read_b64 v[6:7], v6
	ds_read_b64 v[10:11], v9
	v_add_u32_e32 v9, 1, v5
	s_waitcnt lgkmcnt(0)
	v_cmp_lt_i64_e64 s[14:15], v[10:11], v[6:7]
	s_nop 1
	v_cndmask_b32_e64 v4, v4, v5, s[14:15]
	v_cndmask_b32_e64 v8, v9, v8, s[14:15]
	v_cmp_ge_i32_e64 s[14:15], v8, v4
	s_or_b64 s[18:19], s[14:15], s[18:19]
	s_andn2_b64 exec, exec, s[18:19]
	s_cbranch_execnz .LBB148_68
; %bb.69:                               ;   in Loop: Header=BB148_2 Depth=1
	s_or_b64 exec, exec, s[18:19]
.LBB148_70:                             ;   in Loop: Header=BB148_2 Depth=1
	s_or_b64 exec, exec, s[16:17]
	v_sub_u32_e32 v12, v65, v8
	v_lshl_add_u32 v10, v8, 3, v61
	v_lshlrev_b32_e32 v14, 3, v12
	ds_read_b64 v[4:5], v10
	ds_read_b64 v[6:7], v14
	v_add_u32_e32 v13, v8, v57
	v_cmp_le_i32_e64 s[16:17], v59, v13
	v_cmp_gt_i32_e64 s[14:15], v60, v12
                                        ; implicit-def: $vgpr8_vgpr9
	s_waitcnt lgkmcnt(0)
	v_cmp_lt_i64_e64 s[18:19], v[6:7], v[4:5]
	s_or_b64 s[16:17], s[16:17], s[18:19]
	s_and_b64 s[14:15], s[14:15], s[16:17]
	s_xor_b64 s[16:17], s[14:15], -1
	s_and_saveexec_b64 s[18:19], s[16:17]
	s_xor_b64 s[16:17], exec, s[18:19]
	s_cbranch_execz .LBB148_72
; %bb.71:                               ;   in Loop: Header=BB148_2 Depth=1
	ds_read_b64 v[8:9], v10 offset:8
                                        ; implicit-def: $vgpr14
.LBB148_72:                             ;   in Loop: Header=BB148_2 Depth=1
	s_or_saveexec_b64 s[16:17], s[16:17]
	v_mov_b64_e32 v[10:11], v[6:7]
	s_xor_b64 exec, exec, s[16:17]
	s_cbranch_execz .LBB148_74
; %bb.73:                               ;   in Loop: Header=BB148_2 Depth=1
	ds_read_b64 v[10:11], v14 offset:8
	s_waitcnt lgkmcnt(1)
	v_mov_b64_e32 v[8:9], v[4:5]
.LBB148_74:                             ;   in Loop: Header=BB148_2 Depth=1
	s_or_b64 exec, exec, s[16:17]
	v_add_u32_e32 v15, 1, v13
	v_add_u32_e32 v14, 1, v12
	v_cndmask_b32_e64 v17, v15, v13, s[14:15]
	v_cndmask_b32_e64 v16, v12, v14, s[14:15]
	v_cmp_ge_i32_e64 s[18:19], v17, v59
	s_waitcnt lgkmcnt(0)
	v_cmp_lt_i64_e64 s[20:21], v[10:11], v[8:9]
	v_cmp_lt_i32_e64 s[16:17], v16, v60
	s_or_b64 s[18:19], s[18:19], s[20:21]
	s_and_b64 s[16:17], s[16:17], s[18:19]
	s_xor_b64 s[18:19], s[16:17], -1
                                        ; implicit-def: $vgpr12_vgpr13
	s_and_saveexec_b64 s[20:21], s[18:19]
	s_xor_b64 s[18:19], exec, s[20:21]
	s_cbranch_execz .LBB148_76
; %bb.75:                               ;   in Loop: Header=BB148_2 Depth=1
	v_lshlrev_b32_e32 v12, 3, v17
	ds_read_b64 v[12:13], v12 offset:8
.LBB148_76:                             ;   in Loop: Header=BB148_2 Depth=1
	s_or_saveexec_b64 s[18:19], s[18:19]
	v_mov_b64_e32 v[14:15], v[10:11]
	s_xor_b64 exec, exec, s[18:19]
	s_cbranch_execz .LBB148_78
; %bb.77:                               ;   in Loop: Header=BB148_2 Depth=1
	s_waitcnt lgkmcnt(0)
	v_lshlrev_b32_e32 v12, 3, v16
	ds_read_b64 v[14:15], v12 offset:8
	v_mov_b64_e32 v[12:13], v[8:9]
.LBB148_78:                             ;   in Loop: Header=BB148_2 Depth=1
	s_or_b64 exec, exec, s[18:19]
	v_add_u32_e32 v19, 1, v17
	v_add_u32_e32 v18, 1, v16
	v_cndmask_b32_e64 v21, v19, v17, s[16:17]
	v_cndmask_b32_e64 v20, v16, v18, s[16:17]
	v_cmp_ge_i32_e64 s[20:21], v21, v59
	s_waitcnt lgkmcnt(0)
	v_cmp_lt_i64_e64 s[22:23], v[14:15], v[12:13]
	v_cmp_lt_i32_e64 s[18:19], v20, v60
	s_or_b64 s[20:21], s[20:21], s[22:23]
	s_and_b64 s[18:19], s[18:19], s[20:21]
	s_xor_b64 s[20:21], s[18:19], -1
                                        ; implicit-def: $vgpr16_vgpr17
	s_and_saveexec_b64 s[22:23], s[20:21]
	s_xor_b64 s[20:21], exec, s[22:23]
	s_cbranch_execz .LBB148_80
; %bb.79:                               ;   in Loop: Header=BB148_2 Depth=1
	v_lshlrev_b32_e32 v16, 3, v21
	ds_read_b64 v[16:17], v16 offset:8
.LBB148_80:                             ;   in Loop: Header=BB148_2 Depth=1
	s_or_saveexec_b64 s[20:21], s[20:21]
	v_mov_b64_e32 v[18:19], v[14:15]
	s_xor_b64 exec, exec, s[20:21]
	s_cbranch_execz .LBB148_82
; %bb.81:                               ;   in Loop: Header=BB148_2 Depth=1
	s_waitcnt lgkmcnt(0)
	v_lshlrev_b32_e32 v16, 3, v20
	ds_read_b64 v[18:19], v16 offset:8
	v_mov_b64_e32 v[16:17], v[12:13]
.LBB148_82:                             ;   in Loop: Header=BB148_2 Depth=1
	s_or_b64 exec, exec, s[20:21]
	v_add_u32_e32 v23, 1, v21
	v_add_u32_e32 v22, 1, v20
	v_cndmask_b32_e64 v25, v23, v21, s[18:19]
	v_cndmask_b32_e64 v24, v20, v22, s[18:19]
	v_cmp_ge_i32_e64 s[22:23], v25, v59
	s_waitcnt lgkmcnt(0)
	v_cmp_lt_i64_e64 s[24:25], v[18:19], v[16:17]
	v_cmp_lt_i32_e64 s[20:21], v24, v60
	s_or_b64 s[22:23], s[22:23], s[24:25]
	s_and_b64 s[20:21], s[20:21], s[22:23]
	s_xor_b64 s[22:23], s[20:21], -1
                                        ; implicit-def: $vgpr20_vgpr21
	s_and_saveexec_b64 s[24:25], s[22:23]
	s_xor_b64 s[22:23], exec, s[24:25]
	s_cbranch_execz .LBB148_84
; %bb.83:                               ;   in Loop: Header=BB148_2 Depth=1
	v_lshlrev_b32_e32 v20, 3, v25
	ds_read_b64 v[20:21], v20 offset:8
.LBB148_84:                             ;   in Loop: Header=BB148_2 Depth=1
	s_or_saveexec_b64 s[22:23], s[22:23]
	v_mov_b64_e32 v[22:23], v[18:19]
	s_xor_b64 exec, exec, s[22:23]
	s_cbranch_execz .LBB148_86
; %bb.85:                               ;   in Loop: Header=BB148_2 Depth=1
	s_waitcnt lgkmcnt(0)
	v_lshlrev_b32_e32 v20, 3, v24
	ds_read_b64 v[22:23], v20 offset:8
	v_mov_b64_e32 v[20:21], v[16:17]
.LBB148_86:                             ;   in Loop: Header=BB148_2 Depth=1
	s_or_b64 exec, exec, s[22:23]
	v_add_u32_e32 v27, 1, v25
	v_add_u32_e32 v26, 1, v24
	v_cndmask_b32_e64 v29, v27, v25, s[20:21]
	v_cndmask_b32_e64 v28, v24, v26, s[20:21]
	v_cmp_ge_i32_e64 s[24:25], v29, v59
	s_waitcnt lgkmcnt(0)
	v_cmp_lt_i64_e64 s[26:27], v[22:23], v[20:21]
	v_cmp_lt_i32_e64 s[22:23], v28, v60
	s_or_b64 s[24:25], s[24:25], s[26:27]
	s_and_b64 s[22:23], s[22:23], s[24:25]
	s_xor_b64 s[24:25], s[22:23], -1
                                        ; implicit-def: $vgpr24_vgpr25
	s_and_saveexec_b64 s[26:27], s[24:25]
	s_xor_b64 s[24:25], exec, s[26:27]
	s_cbranch_execz .LBB148_88
; %bb.87:                               ;   in Loop: Header=BB148_2 Depth=1
	v_lshlrev_b32_e32 v24, 3, v29
	ds_read_b64 v[24:25], v24 offset:8
.LBB148_88:                             ;   in Loop: Header=BB148_2 Depth=1
	s_or_saveexec_b64 s[24:25], s[24:25]
	v_mov_b64_e32 v[26:27], v[22:23]
	s_xor_b64 exec, exec, s[24:25]
	s_cbranch_execz .LBB148_90
; %bb.89:                               ;   in Loop: Header=BB148_2 Depth=1
	s_waitcnt lgkmcnt(0)
	v_lshlrev_b32_e32 v24, 3, v28
	ds_read_b64 v[26:27], v24 offset:8
	v_mov_b64_e32 v[24:25], v[20:21]
.LBB148_90:                             ;   in Loop: Header=BB148_2 Depth=1
	s_or_b64 exec, exec, s[24:25]
	v_add_u32_e32 v31, 1, v29
	v_add_u32_e32 v30, 1, v28
	v_cndmask_b32_e64 v33, v31, v29, s[22:23]
	v_cndmask_b32_e64 v32, v28, v30, s[22:23]
	v_cmp_ge_i32_e64 s[26:27], v33, v59
	s_waitcnt lgkmcnt(0)
	v_cmp_lt_i64_e64 s[28:29], v[26:27], v[24:25]
	v_cmp_lt_i32_e64 s[24:25], v32, v60
	s_or_b64 s[26:27], s[26:27], s[28:29]
	s_and_b64 s[24:25], s[24:25], s[26:27]
	s_xor_b64 s[26:27], s[24:25], -1
                                        ; implicit-def: $vgpr28_vgpr29
	s_and_saveexec_b64 s[28:29], s[26:27]
	s_xor_b64 s[26:27], exec, s[28:29]
	s_cbranch_execz .LBB148_92
; %bb.91:                               ;   in Loop: Header=BB148_2 Depth=1
	v_lshlrev_b32_e32 v28, 3, v33
	ds_read_b64 v[28:29], v28 offset:8
.LBB148_92:                             ;   in Loop: Header=BB148_2 Depth=1
	s_or_saveexec_b64 s[26:27], s[26:27]
	v_mov_b64_e32 v[30:31], v[26:27]
	s_xor_b64 exec, exec, s[26:27]
	s_cbranch_execz .LBB148_94
; %bb.93:                               ;   in Loop: Header=BB148_2 Depth=1
	s_waitcnt lgkmcnt(0)
	v_lshlrev_b32_e32 v28, 3, v32
	ds_read_b64 v[30:31], v28 offset:8
	v_mov_b64_e32 v[28:29], v[24:25]
.LBB148_94:                             ;   in Loop: Header=BB148_2 Depth=1
	s_or_b64 exec, exec, s[26:27]
	v_add_u32_e32 v35, 1, v33
	v_add_u32_e32 v34, 1, v32
	v_cndmask_b32_e64 v37, v35, v33, s[24:25]
	v_cndmask_b32_e64 v36, v32, v34, s[24:25]
	v_cmp_ge_i32_e64 s[28:29], v37, v59
	s_waitcnt lgkmcnt(0)
	v_cmp_lt_i64_e64 s[30:31], v[30:31], v[28:29]
	v_cmp_lt_i32_e64 s[26:27], v36, v60
	s_or_b64 s[28:29], s[28:29], s[30:31]
	s_and_b64 s[26:27], s[26:27], s[28:29]
	s_xor_b64 s[28:29], s[26:27], -1
                                        ; implicit-def: $vgpr32_vgpr33
	s_and_saveexec_b64 s[30:31], s[28:29]
	s_xor_b64 s[28:29], exec, s[30:31]
	s_cbranch_execz .LBB148_96
; %bb.95:                               ;   in Loop: Header=BB148_2 Depth=1
	v_lshlrev_b32_e32 v32, 3, v37
	ds_read_b64 v[32:33], v32 offset:8
.LBB148_96:                             ;   in Loop: Header=BB148_2 Depth=1
	s_or_saveexec_b64 s[28:29], s[28:29]
	v_mov_b64_e32 v[34:35], v[30:31]
	s_xor_b64 exec, exec, s[28:29]
	s_cbranch_execz .LBB148_98
; %bb.97:                               ;   in Loop: Header=BB148_2 Depth=1
	s_waitcnt lgkmcnt(0)
	v_lshlrev_b32_e32 v32, 3, v36
	ds_read_b64 v[34:35], v32 offset:8
	v_mov_b64_e32 v[32:33], v[28:29]
.LBB148_98:                             ;   in Loop: Header=BB148_2 Depth=1
	s_or_b64 exec, exec, s[28:29]
	v_cndmask_b32_e64 v29, v29, v31, s[26:27]
	v_add_u32_e32 v31, 1, v37
	v_cndmask_b32_e64 v28, v28, v30, s[26:27]
	v_add_u32_e32 v30, 1, v36
	v_cndmask_b32_e64 v31, v31, v37, s[26:27]
	v_cndmask_b32_e64 v30, v36, v30, s[26:27]
	;; [unrolled: 1-line block ×6, first 2 shown]
	v_cmp_ge_i32_e64 s[16:17], v31, v59
	s_waitcnt lgkmcnt(0)
	v_cmp_lt_i64_e64 s[18:19], v[34:35], v[32:33]
	v_cndmask_b32_e64 v5, v5, v7, s[14:15]
	v_cndmask_b32_e64 v4, v4, v6, s[14:15]
	v_cmp_lt_i32_e64 s[14:15], v30, v60
	s_or_b64 s[16:17], s[16:17], s[18:19]
	s_and_b64 s[14:15], s[14:15], s[16:17]
	v_cndmask_b32_e64 v25, v25, v27, s[24:25]
	v_cndmask_b32_e64 v24, v24, v26, s[24:25]
	;; [unrolled: 1-line block ×8, first 2 shown]
	s_barrier
	ds_write2_b64 v1, v[4:5], v[8:9] offset1:1
	ds_write2_b64 v1, v[12:13], v[16:17] offset0:2 offset1:3
	ds_write2_b64 v1, v[20:21], v[24:25] offset0:4 offset1:5
	;; [unrolled: 1-line block ×3, first 2 shown]
	v_mov_b32_e32 v8, v72
	s_waitcnt lgkmcnt(0)
	s_barrier
	s_and_saveexec_b64 s[16:17], s[4:5]
	s_cbranch_execz .LBB148_102
; %bb.99:                               ;   in Loop: Header=BB148_2 Depth=1
	s_mov_b64 s[18:19], 0
	v_mov_b32_e32 v8, v72
	v_mov_b32_e32 v4, v73
.LBB148_100:                            ;   Parent Loop BB148_2 Depth=1
                                        ; =>  This Inner Loop Header: Depth=2
	v_sub_u32_e32 v5, v4, v8
	v_lshrrev_b32_e32 v6, 31, v5
	v_add_u32_e32 v5, v5, v6
	v_ashrrev_i32_e32 v5, 1, v5
	v_add_u32_e32 v5, v5, v8
	v_lshl_add_u32 v6, v5, 3, v70
	v_xad_u32 v7, v5, -1, v67
	v_lshl_add_u32 v9, v7, 3, v71
	ds_read_b64 v[6:7], v6
	ds_read_b64 v[10:11], v9
	v_add_u32_e32 v9, 1, v5
	s_waitcnt lgkmcnt(0)
	v_cmp_lt_i64_e64 s[14:15], v[10:11], v[6:7]
	s_nop 1
	v_cndmask_b32_e64 v4, v4, v5, s[14:15]
	v_cndmask_b32_e64 v8, v9, v8, s[14:15]
	v_cmp_ge_i32_e64 s[14:15], v8, v4
	s_or_b64 s[18:19], s[14:15], s[18:19]
	s_andn2_b64 exec, exec, s[18:19]
	s_cbranch_execnz .LBB148_100
; %bb.101:                              ;   in Loop: Header=BB148_2 Depth=1
	s_or_b64 exec, exec, s[18:19]
.LBB148_102:                            ;   in Loop: Header=BB148_2 Depth=1
	s_or_b64 exec, exec, s[16:17]
	v_sub_u32_e32 v12, v74, v8
	v_lshl_add_u32 v10, v8, 3, v70
	v_lshlrev_b32_e32 v14, 3, v12
	ds_read_b64 v[4:5], v10
	ds_read_b64 v[6:7], v14
	v_add_u32_e32 v13, v8, v66
	v_cmp_le_i32_e64 s[16:17], v68, v13
	v_cmp_gt_i32_e64 s[14:15], v69, v12
                                        ; implicit-def: $vgpr8_vgpr9
	s_waitcnt lgkmcnt(0)
	v_cmp_lt_i64_e64 s[18:19], v[6:7], v[4:5]
	s_or_b64 s[16:17], s[16:17], s[18:19]
	s_and_b64 s[14:15], s[14:15], s[16:17]
	s_xor_b64 s[16:17], s[14:15], -1
	s_and_saveexec_b64 s[18:19], s[16:17]
	s_xor_b64 s[16:17], exec, s[18:19]
	s_cbranch_execz .LBB148_104
; %bb.103:                              ;   in Loop: Header=BB148_2 Depth=1
	ds_read_b64 v[8:9], v10 offset:8
                                        ; implicit-def: $vgpr14
.LBB148_104:                            ;   in Loop: Header=BB148_2 Depth=1
	s_or_saveexec_b64 s[16:17], s[16:17]
	v_mov_b64_e32 v[10:11], v[6:7]
	s_xor_b64 exec, exec, s[16:17]
	s_cbranch_execz .LBB148_106
; %bb.105:                              ;   in Loop: Header=BB148_2 Depth=1
	ds_read_b64 v[10:11], v14 offset:8
	s_waitcnt lgkmcnt(1)
	v_mov_b64_e32 v[8:9], v[4:5]
.LBB148_106:                            ;   in Loop: Header=BB148_2 Depth=1
	s_or_b64 exec, exec, s[16:17]
	v_add_u32_e32 v15, 1, v13
	v_add_u32_e32 v14, 1, v12
	v_cndmask_b32_e64 v17, v15, v13, s[14:15]
	v_cndmask_b32_e64 v16, v12, v14, s[14:15]
	v_cmp_ge_i32_e64 s[18:19], v17, v68
	s_waitcnt lgkmcnt(0)
	v_cmp_lt_i64_e64 s[20:21], v[10:11], v[8:9]
	v_cmp_lt_i32_e64 s[16:17], v16, v69
	s_or_b64 s[18:19], s[18:19], s[20:21]
	s_and_b64 s[16:17], s[16:17], s[18:19]
	s_xor_b64 s[18:19], s[16:17], -1
                                        ; implicit-def: $vgpr12_vgpr13
	s_and_saveexec_b64 s[20:21], s[18:19]
	s_xor_b64 s[18:19], exec, s[20:21]
	s_cbranch_execz .LBB148_108
; %bb.107:                              ;   in Loop: Header=BB148_2 Depth=1
	v_lshlrev_b32_e32 v12, 3, v17
	ds_read_b64 v[12:13], v12 offset:8
.LBB148_108:                            ;   in Loop: Header=BB148_2 Depth=1
	s_or_saveexec_b64 s[18:19], s[18:19]
	v_mov_b64_e32 v[14:15], v[10:11]
	s_xor_b64 exec, exec, s[18:19]
	s_cbranch_execz .LBB148_110
; %bb.109:                              ;   in Loop: Header=BB148_2 Depth=1
	s_waitcnt lgkmcnt(0)
	v_lshlrev_b32_e32 v12, 3, v16
	ds_read_b64 v[14:15], v12 offset:8
	v_mov_b64_e32 v[12:13], v[8:9]
.LBB148_110:                            ;   in Loop: Header=BB148_2 Depth=1
	s_or_b64 exec, exec, s[18:19]
	v_add_u32_e32 v19, 1, v17
	v_add_u32_e32 v18, 1, v16
	v_cndmask_b32_e64 v21, v19, v17, s[16:17]
	v_cndmask_b32_e64 v20, v16, v18, s[16:17]
	v_cmp_ge_i32_e64 s[20:21], v21, v68
	s_waitcnt lgkmcnt(0)
	v_cmp_lt_i64_e64 s[22:23], v[14:15], v[12:13]
	v_cmp_lt_i32_e64 s[18:19], v20, v69
	s_or_b64 s[20:21], s[20:21], s[22:23]
	s_and_b64 s[18:19], s[18:19], s[20:21]
	s_xor_b64 s[20:21], s[18:19], -1
                                        ; implicit-def: $vgpr16_vgpr17
	s_and_saveexec_b64 s[22:23], s[20:21]
	s_xor_b64 s[20:21], exec, s[22:23]
	s_cbranch_execz .LBB148_112
; %bb.111:                              ;   in Loop: Header=BB148_2 Depth=1
	v_lshlrev_b32_e32 v16, 3, v21
	ds_read_b64 v[16:17], v16 offset:8
.LBB148_112:                            ;   in Loop: Header=BB148_2 Depth=1
	s_or_saveexec_b64 s[20:21], s[20:21]
	v_mov_b64_e32 v[18:19], v[14:15]
	s_xor_b64 exec, exec, s[20:21]
	s_cbranch_execz .LBB148_114
; %bb.113:                              ;   in Loop: Header=BB148_2 Depth=1
	s_waitcnt lgkmcnt(0)
	v_lshlrev_b32_e32 v16, 3, v20
	ds_read_b64 v[18:19], v16 offset:8
	v_mov_b64_e32 v[16:17], v[12:13]
.LBB148_114:                            ;   in Loop: Header=BB148_2 Depth=1
	s_or_b64 exec, exec, s[20:21]
	v_add_u32_e32 v23, 1, v21
	v_add_u32_e32 v22, 1, v20
	v_cndmask_b32_e64 v25, v23, v21, s[18:19]
	v_cndmask_b32_e64 v24, v20, v22, s[18:19]
	v_cmp_ge_i32_e64 s[22:23], v25, v68
	s_waitcnt lgkmcnt(0)
	v_cmp_lt_i64_e64 s[24:25], v[18:19], v[16:17]
	v_cmp_lt_i32_e64 s[20:21], v24, v69
	s_or_b64 s[22:23], s[22:23], s[24:25]
	s_and_b64 s[20:21], s[20:21], s[22:23]
	s_xor_b64 s[22:23], s[20:21], -1
                                        ; implicit-def: $vgpr20_vgpr21
	s_and_saveexec_b64 s[24:25], s[22:23]
	s_xor_b64 s[22:23], exec, s[24:25]
	s_cbranch_execz .LBB148_116
; %bb.115:                              ;   in Loop: Header=BB148_2 Depth=1
	v_lshlrev_b32_e32 v20, 3, v25
	ds_read_b64 v[20:21], v20 offset:8
.LBB148_116:                            ;   in Loop: Header=BB148_2 Depth=1
	s_or_saveexec_b64 s[22:23], s[22:23]
	v_mov_b64_e32 v[22:23], v[18:19]
	s_xor_b64 exec, exec, s[22:23]
	s_cbranch_execz .LBB148_118
; %bb.117:                              ;   in Loop: Header=BB148_2 Depth=1
	s_waitcnt lgkmcnt(0)
	v_lshlrev_b32_e32 v20, 3, v24
	ds_read_b64 v[22:23], v20 offset:8
	v_mov_b64_e32 v[20:21], v[16:17]
.LBB148_118:                            ;   in Loop: Header=BB148_2 Depth=1
	s_or_b64 exec, exec, s[22:23]
	v_add_u32_e32 v27, 1, v25
	v_add_u32_e32 v26, 1, v24
	v_cndmask_b32_e64 v29, v27, v25, s[20:21]
	v_cndmask_b32_e64 v28, v24, v26, s[20:21]
	v_cmp_ge_i32_e64 s[24:25], v29, v68
	s_waitcnt lgkmcnt(0)
	v_cmp_lt_i64_e64 s[26:27], v[22:23], v[20:21]
	v_cmp_lt_i32_e64 s[22:23], v28, v69
	s_or_b64 s[24:25], s[24:25], s[26:27]
	s_and_b64 s[22:23], s[22:23], s[24:25]
	s_xor_b64 s[24:25], s[22:23], -1
                                        ; implicit-def: $vgpr24_vgpr25
	s_and_saveexec_b64 s[26:27], s[24:25]
	s_xor_b64 s[24:25], exec, s[26:27]
	s_cbranch_execz .LBB148_120
; %bb.119:                              ;   in Loop: Header=BB148_2 Depth=1
	v_lshlrev_b32_e32 v24, 3, v29
	ds_read_b64 v[24:25], v24 offset:8
.LBB148_120:                            ;   in Loop: Header=BB148_2 Depth=1
	s_or_saveexec_b64 s[24:25], s[24:25]
	v_mov_b64_e32 v[26:27], v[22:23]
	s_xor_b64 exec, exec, s[24:25]
	s_cbranch_execz .LBB148_122
; %bb.121:                              ;   in Loop: Header=BB148_2 Depth=1
	s_waitcnt lgkmcnt(0)
	v_lshlrev_b32_e32 v24, 3, v28
	ds_read_b64 v[26:27], v24 offset:8
	v_mov_b64_e32 v[24:25], v[20:21]
.LBB148_122:                            ;   in Loop: Header=BB148_2 Depth=1
	s_or_b64 exec, exec, s[24:25]
	v_add_u32_e32 v31, 1, v29
	v_add_u32_e32 v30, 1, v28
	v_cndmask_b32_e64 v33, v31, v29, s[22:23]
	v_cndmask_b32_e64 v32, v28, v30, s[22:23]
	v_cmp_ge_i32_e64 s[26:27], v33, v68
	s_waitcnt lgkmcnt(0)
	v_cmp_lt_i64_e64 s[28:29], v[26:27], v[24:25]
	v_cmp_lt_i32_e64 s[24:25], v32, v69
	s_or_b64 s[26:27], s[26:27], s[28:29]
	s_and_b64 s[24:25], s[24:25], s[26:27]
	s_xor_b64 s[26:27], s[24:25], -1
                                        ; implicit-def: $vgpr28_vgpr29
	s_and_saveexec_b64 s[28:29], s[26:27]
	s_xor_b64 s[26:27], exec, s[28:29]
	s_cbranch_execz .LBB148_124
; %bb.123:                              ;   in Loop: Header=BB148_2 Depth=1
	v_lshlrev_b32_e32 v28, 3, v33
	ds_read_b64 v[28:29], v28 offset:8
.LBB148_124:                            ;   in Loop: Header=BB148_2 Depth=1
	s_or_saveexec_b64 s[26:27], s[26:27]
	v_mov_b64_e32 v[30:31], v[26:27]
	s_xor_b64 exec, exec, s[26:27]
	s_cbranch_execz .LBB148_126
; %bb.125:                              ;   in Loop: Header=BB148_2 Depth=1
	s_waitcnt lgkmcnt(0)
	v_lshlrev_b32_e32 v28, 3, v32
	ds_read_b64 v[30:31], v28 offset:8
	v_mov_b64_e32 v[28:29], v[24:25]
.LBB148_126:                            ;   in Loop: Header=BB148_2 Depth=1
	s_or_b64 exec, exec, s[26:27]
	v_add_u32_e32 v35, 1, v33
	v_add_u32_e32 v34, 1, v32
	v_cndmask_b32_e64 v37, v35, v33, s[24:25]
	v_cndmask_b32_e64 v36, v32, v34, s[24:25]
	v_cmp_ge_i32_e64 s[28:29], v37, v68
	s_waitcnt lgkmcnt(0)
	v_cmp_lt_i64_e64 s[30:31], v[30:31], v[28:29]
	v_cmp_lt_i32_e64 s[26:27], v36, v69
	s_or_b64 s[28:29], s[28:29], s[30:31]
	s_and_b64 s[26:27], s[26:27], s[28:29]
	s_xor_b64 s[28:29], s[26:27], -1
                                        ; implicit-def: $vgpr32_vgpr33
	s_and_saveexec_b64 s[30:31], s[28:29]
	s_xor_b64 s[28:29], exec, s[30:31]
	s_cbranch_execz .LBB148_128
; %bb.127:                              ;   in Loop: Header=BB148_2 Depth=1
	v_lshlrev_b32_e32 v32, 3, v37
	ds_read_b64 v[32:33], v32 offset:8
.LBB148_128:                            ;   in Loop: Header=BB148_2 Depth=1
	s_or_saveexec_b64 s[28:29], s[28:29]
	v_mov_b64_e32 v[34:35], v[30:31]
	s_xor_b64 exec, exec, s[28:29]
	s_cbranch_execz .LBB148_130
; %bb.129:                              ;   in Loop: Header=BB148_2 Depth=1
	s_waitcnt lgkmcnt(0)
	v_lshlrev_b32_e32 v32, 3, v36
	ds_read_b64 v[34:35], v32 offset:8
	v_mov_b64_e32 v[32:33], v[28:29]
.LBB148_130:                            ;   in Loop: Header=BB148_2 Depth=1
	s_or_b64 exec, exec, s[28:29]
	v_cndmask_b32_e64 v29, v29, v31, s[26:27]
	v_add_u32_e32 v31, 1, v37
	v_cndmask_b32_e64 v28, v28, v30, s[26:27]
	v_add_u32_e32 v30, 1, v36
	v_cndmask_b32_e64 v31, v31, v37, s[26:27]
	v_cndmask_b32_e64 v30, v36, v30, s[26:27]
	;; [unrolled: 1-line block ×6, first 2 shown]
	v_cmp_ge_i32_e64 s[16:17], v31, v68
	s_waitcnt lgkmcnt(0)
	v_cmp_lt_i64_e64 s[18:19], v[34:35], v[32:33]
	v_cndmask_b32_e64 v5, v5, v7, s[14:15]
	v_cndmask_b32_e64 v4, v4, v6, s[14:15]
	v_cmp_lt_i32_e64 s[14:15], v30, v69
	s_or_b64 s[16:17], s[16:17], s[18:19]
	s_and_b64 s[14:15], s[14:15], s[16:17]
	v_cndmask_b32_e64 v25, v25, v27, s[24:25]
	v_cndmask_b32_e64 v24, v24, v26, s[24:25]
	;; [unrolled: 1-line block ×8, first 2 shown]
	s_barrier
	ds_write2_b64 v1, v[4:5], v[8:9] offset1:1
	ds_write2_b64 v1, v[12:13], v[16:17] offset0:2 offset1:3
	ds_write2_b64 v1, v[20:21], v[24:25] offset0:4 offset1:5
	;; [unrolled: 1-line block ×3, first 2 shown]
	v_mov_b32_e32 v8, v81
	s_waitcnt lgkmcnt(0)
	s_barrier
	s_and_saveexec_b64 s[16:17], s[6:7]
	s_cbranch_execz .LBB148_134
; %bb.131:                              ;   in Loop: Header=BB148_2 Depth=1
	s_mov_b64 s[18:19], 0
	v_mov_b32_e32 v8, v81
	v_mov_b32_e32 v4, v82
.LBB148_132:                            ;   Parent Loop BB148_2 Depth=1
                                        ; =>  This Inner Loop Header: Depth=2
	v_sub_u32_e32 v5, v4, v8
	v_lshrrev_b32_e32 v6, 31, v5
	v_add_u32_e32 v5, v5, v6
	v_ashrrev_i32_e32 v5, 1, v5
	v_add_u32_e32 v5, v5, v8
	v_lshl_add_u32 v6, v5, 3, v79
	v_xad_u32 v7, v5, -1, v76
	v_lshl_add_u32 v9, v7, 3, v80
	ds_read_b64 v[6:7], v6
	ds_read_b64 v[10:11], v9
	v_add_u32_e32 v9, 1, v5
	s_waitcnt lgkmcnt(0)
	v_cmp_lt_i64_e64 s[14:15], v[10:11], v[6:7]
	s_nop 1
	v_cndmask_b32_e64 v4, v4, v5, s[14:15]
	v_cndmask_b32_e64 v8, v9, v8, s[14:15]
	v_cmp_ge_i32_e64 s[14:15], v8, v4
	s_or_b64 s[18:19], s[14:15], s[18:19]
	s_andn2_b64 exec, exec, s[18:19]
	s_cbranch_execnz .LBB148_132
; %bb.133:                              ;   in Loop: Header=BB148_2 Depth=1
	s_or_b64 exec, exec, s[18:19]
.LBB148_134:                            ;   in Loop: Header=BB148_2 Depth=1
	s_or_b64 exec, exec, s[16:17]
	v_sub_u32_e32 v12, v83, v8
	v_lshl_add_u32 v10, v8, 3, v79
	v_lshlrev_b32_e32 v14, 3, v12
	ds_read_b64 v[4:5], v10
	ds_read_b64 v[6:7], v14
	v_add_u32_e32 v13, v8, v75
	v_cmp_le_i32_e64 s[16:17], v77, v13
	v_cmp_gt_i32_e64 s[14:15], v78, v12
                                        ; implicit-def: $vgpr8_vgpr9
	s_waitcnt lgkmcnt(0)
	v_cmp_lt_i64_e64 s[18:19], v[6:7], v[4:5]
	s_or_b64 s[16:17], s[16:17], s[18:19]
	s_and_b64 s[14:15], s[14:15], s[16:17]
	s_xor_b64 s[16:17], s[14:15], -1
	s_and_saveexec_b64 s[18:19], s[16:17]
	s_xor_b64 s[16:17], exec, s[18:19]
	s_cbranch_execz .LBB148_136
; %bb.135:                              ;   in Loop: Header=BB148_2 Depth=1
	ds_read_b64 v[8:9], v10 offset:8
                                        ; implicit-def: $vgpr14
.LBB148_136:                            ;   in Loop: Header=BB148_2 Depth=1
	s_or_saveexec_b64 s[16:17], s[16:17]
	v_mov_b64_e32 v[10:11], v[6:7]
	s_xor_b64 exec, exec, s[16:17]
	s_cbranch_execz .LBB148_138
; %bb.137:                              ;   in Loop: Header=BB148_2 Depth=1
	ds_read_b64 v[10:11], v14 offset:8
	s_waitcnt lgkmcnt(1)
	v_mov_b64_e32 v[8:9], v[4:5]
.LBB148_138:                            ;   in Loop: Header=BB148_2 Depth=1
	s_or_b64 exec, exec, s[16:17]
	v_add_u32_e32 v15, 1, v13
	v_add_u32_e32 v14, 1, v12
	v_cndmask_b32_e64 v17, v15, v13, s[14:15]
	v_cndmask_b32_e64 v16, v12, v14, s[14:15]
	v_cmp_ge_i32_e64 s[18:19], v17, v77
	s_waitcnt lgkmcnt(0)
	v_cmp_lt_i64_e64 s[20:21], v[10:11], v[8:9]
	v_cmp_lt_i32_e64 s[16:17], v16, v78
	s_or_b64 s[18:19], s[18:19], s[20:21]
	s_and_b64 s[16:17], s[16:17], s[18:19]
	s_xor_b64 s[18:19], s[16:17], -1
                                        ; implicit-def: $vgpr12_vgpr13
	s_and_saveexec_b64 s[20:21], s[18:19]
	s_xor_b64 s[18:19], exec, s[20:21]
	s_cbranch_execz .LBB148_140
; %bb.139:                              ;   in Loop: Header=BB148_2 Depth=1
	v_lshlrev_b32_e32 v12, 3, v17
	ds_read_b64 v[12:13], v12 offset:8
.LBB148_140:                            ;   in Loop: Header=BB148_2 Depth=1
	s_or_saveexec_b64 s[18:19], s[18:19]
	v_mov_b64_e32 v[14:15], v[10:11]
	s_xor_b64 exec, exec, s[18:19]
	s_cbranch_execz .LBB148_142
; %bb.141:                              ;   in Loop: Header=BB148_2 Depth=1
	s_waitcnt lgkmcnt(0)
	v_lshlrev_b32_e32 v12, 3, v16
	ds_read_b64 v[14:15], v12 offset:8
	v_mov_b64_e32 v[12:13], v[8:9]
.LBB148_142:                            ;   in Loop: Header=BB148_2 Depth=1
	s_or_b64 exec, exec, s[18:19]
	v_add_u32_e32 v19, 1, v17
	v_add_u32_e32 v18, 1, v16
	v_cndmask_b32_e64 v21, v19, v17, s[16:17]
	v_cndmask_b32_e64 v20, v16, v18, s[16:17]
	v_cmp_ge_i32_e64 s[20:21], v21, v77
	s_waitcnt lgkmcnt(0)
	v_cmp_lt_i64_e64 s[22:23], v[14:15], v[12:13]
	v_cmp_lt_i32_e64 s[18:19], v20, v78
	s_or_b64 s[20:21], s[20:21], s[22:23]
	s_and_b64 s[18:19], s[18:19], s[20:21]
	s_xor_b64 s[20:21], s[18:19], -1
                                        ; implicit-def: $vgpr16_vgpr17
	s_and_saveexec_b64 s[22:23], s[20:21]
	s_xor_b64 s[20:21], exec, s[22:23]
	s_cbranch_execz .LBB148_144
; %bb.143:                              ;   in Loop: Header=BB148_2 Depth=1
	v_lshlrev_b32_e32 v16, 3, v21
	ds_read_b64 v[16:17], v16 offset:8
.LBB148_144:                            ;   in Loop: Header=BB148_2 Depth=1
	s_or_saveexec_b64 s[20:21], s[20:21]
	v_mov_b64_e32 v[18:19], v[14:15]
	s_xor_b64 exec, exec, s[20:21]
	s_cbranch_execz .LBB148_146
; %bb.145:                              ;   in Loop: Header=BB148_2 Depth=1
	s_waitcnt lgkmcnt(0)
	v_lshlrev_b32_e32 v16, 3, v20
	ds_read_b64 v[18:19], v16 offset:8
	v_mov_b64_e32 v[16:17], v[12:13]
.LBB148_146:                            ;   in Loop: Header=BB148_2 Depth=1
	s_or_b64 exec, exec, s[20:21]
	v_add_u32_e32 v23, 1, v21
	v_add_u32_e32 v22, 1, v20
	v_cndmask_b32_e64 v25, v23, v21, s[18:19]
	v_cndmask_b32_e64 v24, v20, v22, s[18:19]
	v_cmp_ge_i32_e64 s[22:23], v25, v77
	s_waitcnt lgkmcnt(0)
	v_cmp_lt_i64_e64 s[24:25], v[18:19], v[16:17]
	v_cmp_lt_i32_e64 s[20:21], v24, v78
	s_or_b64 s[22:23], s[22:23], s[24:25]
	s_and_b64 s[20:21], s[20:21], s[22:23]
	s_xor_b64 s[22:23], s[20:21], -1
                                        ; implicit-def: $vgpr20_vgpr21
	s_and_saveexec_b64 s[24:25], s[22:23]
	s_xor_b64 s[22:23], exec, s[24:25]
	s_cbranch_execz .LBB148_148
; %bb.147:                              ;   in Loop: Header=BB148_2 Depth=1
	v_lshlrev_b32_e32 v20, 3, v25
	ds_read_b64 v[20:21], v20 offset:8
.LBB148_148:                            ;   in Loop: Header=BB148_2 Depth=1
	s_or_saveexec_b64 s[22:23], s[22:23]
	v_mov_b64_e32 v[22:23], v[18:19]
	s_xor_b64 exec, exec, s[22:23]
	s_cbranch_execz .LBB148_150
; %bb.149:                              ;   in Loop: Header=BB148_2 Depth=1
	s_waitcnt lgkmcnt(0)
	v_lshlrev_b32_e32 v20, 3, v24
	ds_read_b64 v[22:23], v20 offset:8
	v_mov_b64_e32 v[20:21], v[16:17]
.LBB148_150:                            ;   in Loop: Header=BB148_2 Depth=1
	s_or_b64 exec, exec, s[22:23]
	v_add_u32_e32 v27, 1, v25
	v_add_u32_e32 v26, 1, v24
	v_cndmask_b32_e64 v29, v27, v25, s[20:21]
	v_cndmask_b32_e64 v28, v24, v26, s[20:21]
	v_cmp_ge_i32_e64 s[24:25], v29, v77
	s_waitcnt lgkmcnt(0)
	v_cmp_lt_i64_e64 s[26:27], v[22:23], v[20:21]
	v_cmp_lt_i32_e64 s[22:23], v28, v78
	s_or_b64 s[24:25], s[24:25], s[26:27]
	s_and_b64 s[22:23], s[22:23], s[24:25]
	s_xor_b64 s[24:25], s[22:23], -1
                                        ; implicit-def: $vgpr24_vgpr25
	s_and_saveexec_b64 s[26:27], s[24:25]
	s_xor_b64 s[24:25], exec, s[26:27]
	s_cbranch_execz .LBB148_152
; %bb.151:                              ;   in Loop: Header=BB148_2 Depth=1
	v_lshlrev_b32_e32 v24, 3, v29
	ds_read_b64 v[24:25], v24 offset:8
.LBB148_152:                            ;   in Loop: Header=BB148_2 Depth=1
	s_or_saveexec_b64 s[24:25], s[24:25]
	v_mov_b64_e32 v[26:27], v[22:23]
	s_xor_b64 exec, exec, s[24:25]
	s_cbranch_execz .LBB148_154
; %bb.153:                              ;   in Loop: Header=BB148_2 Depth=1
	s_waitcnt lgkmcnt(0)
	v_lshlrev_b32_e32 v24, 3, v28
	ds_read_b64 v[26:27], v24 offset:8
	v_mov_b64_e32 v[24:25], v[20:21]
.LBB148_154:                            ;   in Loop: Header=BB148_2 Depth=1
	s_or_b64 exec, exec, s[24:25]
	v_add_u32_e32 v31, 1, v29
	v_add_u32_e32 v30, 1, v28
	v_cndmask_b32_e64 v33, v31, v29, s[22:23]
	v_cndmask_b32_e64 v32, v28, v30, s[22:23]
	v_cmp_ge_i32_e64 s[26:27], v33, v77
	s_waitcnt lgkmcnt(0)
	v_cmp_lt_i64_e64 s[28:29], v[26:27], v[24:25]
	v_cmp_lt_i32_e64 s[24:25], v32, v78
	s_or_b64 s[26:27], s[26:27], s[28:29]
	s_and_b64 s[24:25], s[24:25], s[26:27]
	s_xor_b64 s[26:27], s[24:25], -1
                                        ; implicit-def: $vgpr28_vgpr29
	s_and_saveexec_b64 s[28:29], s[26:27]
	s_xor_b64 s[26:27], exec, s[28:29]
	s_cbranch_execz .LBB148_156
; %bb.155:                              ;   in Loop: Header=BB148_2 Depth=1
	v_lshlrev_b32_e32 v28, 3, v33
	ds_read_b64 v[28:29], v28 offset:8
.LBB148_156:                            ;   in Loop: Header=BB148_2 Depth=1
	s_or_saveexec_b64 s[26:27], s[26:27]
	v_mov_b64_e32 v[30:31], v[26:27]
	s_xor_b64 exec, exec, s[26:27]
	s_cbranch_execz .LBB148_158
; %bb.157:                              ;   in Loop: Header=BB148_2 Depth=1
	s_waitcnt lgkmcnt(0)
	v_lshlrev_b32_e32 v28, 3, v32
	ds_read_b64 v[30:31], v28 offset:8
	v_mov_b64_e32 v[28:29], v[24:25]
.LBB148_158:                            ;   in Loop: Header=BB148_2 Depth=1
	s_or_b64 exec, exec, s[26:27]
	v_add_u32_e32 v35, 1, v33
	v_add_u32_e32 v34, 1, v32
	v_cndmask_b32_e64 v37, v35, v33, s[24:25]
	v_cndmask_b32_e64 v36, v32, v34, s[24:25]
	v_cmp_ge_i32_e64 s[28:29], v37, v77
	s_waitcnt lgkmcnt(0)
	v_cmp_lt_i64_e64 s[30:31], v[30:31], v[28:29]
	v_cmp_lt_i32_e64 s[26:27], v36, v78
	s_or_b64 s[28:29], s[28:29], s[30:31]
	s_and_b64 s[26:27], s[26:27], s[28:29]
	s_xor_b64 s[28:29], s[26:27], -1
                                        ; implicit-def: $vgpr32_vgpr33
	s_and_saveexec_b64 s[30:31], s[28:29]
	s_xor_b64 s[28:29], exec, s[30:31]
	s_cbranch_execz .LBB148_160
; %bb.159:                              ;   in Loop: Header=BB148_2 Depth=1
	v_lshlrev_b32_e32 v32, 3, v37
	ds_read_b64 v[32:33], v32 offset:8
.LBB148_160:                            ;   in Loop: Header=BB148_2 Depth=1
	s_or_saveexec_b64 s[28:29], s[28:29]
	v_mov_b64_e32 v[34:35], v[30:31]
	s_xor_b64 exec, exec, s[28:29]
	s_cbranch_execz .LBB148_162
; %bb.161:                              ;   in Loop: Header=BB148_2 Depth=1
	s_waitcnt lgkmcnt(0)
	v_lshlrev_b32_e32 v32, 3, v36
	ds_read_b64 v[34:35], v32 offset:8
	v_mov_b64_e32 v[32:33], v[28:29]
.LBB148_162:                            ;   in Loop: Header=BB148_2 Depth=1
	s_or_b64 exec, exec, s[28:29]
	v_cndmask_b32_e64 v29, v29, v31, s[26:27]
	v_add_u32_e32 v31, 1, v37
	v_cndmask_b32_e64 v28, v28, v30, s[26:27]
	v_add_u32_e32 v30, 1, v36
	v_cndmask_b32_e64 v31, v31, v37, s[26:27]
	v_cndmask_b32_e64 v30, v36, v30, s[26:27]
	;; [unrolled: 1-line block ×6, first 2 shown]
	v_cmp_ge_i32_e64 s[16:17], v31, v77
	s_waitcnt lgkmcnt(0)
	v_cmp_lt_i64_e64 s[18:19], v[34:35], v[32:33]
	v_cndmask_b32_e64 v5, v5, v7, s[14:15]
	v_cndmask_b32_e64 v4, v4, v6, s[14:15]
	v_cmp_lt_i32_e64 s[14:15], v30, v78
	s_or_b64 s[16:17], s[16:17], s[18:19]
	s_and_b64 s[14:15], s[14:15], s[16:17]
	v_cndmask_b32_e64 v25, v25, v27, s[24:25]
	v_cndmask_b32_e64 v24, v24, v26, s[24:25]
	;; [unrolled: 1-line block ×8, first 2 shown]
	s_barrier
	ds_write2_b64 v1, v[4:5], v[8:9] offset1:1
	ds_write2_b64 v1, v[12:13], v[16:17] offset0:2 offset1:3
	ds_write2_b64 v1, v[20:21], v[24:25] offset0:4 offset1:5
	ds_write2_b64 v1, v[28:29], v[6:7] offset0:6 offset1:7
	v_mov_b32_e32 v8, v90
	s_waitcnt lgkmcnt(0)
	s_barrier
	s_and_saveexec_b64 s[16:17], s[8:9]
	s_cbranch_execz .LBB148_166
; %bb.163:                              ;   in Loop: Header=BB148_2 Depth=1
	s_mov_b64 s[18:19], 0
	v_mov_b32_e32 v8, v90
	v_mov_b32_e32 v4, v91
.LBB148_164:                            ;   Parent Loop BB148_2 Depth=1
                                        ; =>  This Inner Loop Header: Depth=2
	v_sub_u32_e32 v5, v4, v8
	v_lshrrev_b32_e32 v6, 31, v5
	v_add_u32_e32 v5, v5, v6
	v_ashrrev_i32_e32 v5, 1, v5
	v_add_u32_e32 v5, v5, v8
	v_lshl_add_u32 v6, v5, 3, v88
	v_xad_u32 v7, v5, -1, v85
	v_lshl_add_u32 v9, v7, 3, v89
	ds_read_b64 v[6:7], v6
	ds_read_b64 v[10:11], v9
	v_add_u32_e32 v9, 1, v5
	s_waitcnt lgkmcnt(0)
	v_cmp_lt_i64_e64 s[14:15], v[10:11], v[6:7]
	s_nop 1
	v_cndmask_b32_e64 v4, v4, v5, s[14:15]
	v_cndmask_b32_e64 v8, v9, v8, s[14:15]
	v_cmp_ge_i32_e64 s[14:15], v8, v4
	s_or_b64 s[18:19], s[14:15], s[18:19]
	s_andn2_b64 exec, exec, s[18:19]
	s_cbranch_execnz .LBB148_164
; %bb.165:                              ;   in Loop: Header=BB148_2 Depth=1
	s_or_b64 exec, exec, s[18:19]
.LBB148_166:                            ;   in Loop: Header=BB148_2 Depth=1
	s_or_b64 exec, exec, s[16:17]
	v_sub_u32_e32 v12, v92, v8
	v_lshl_add_u32 v10, v8, 3, v88
	v_lshlrev_b32_e32 v14, 3, v12
	ds_read_b64 v[4:5], v10
	ds_read_b64 v[6:7], v14
	v_add_u32_e32 v13, v8, v84
	v_cmp_le_i32_e64 s[16:17], v86, v13
	v_cmp_gt_i32_e64 s[14:15], v87, v12
                                        ; implicit-def: $vgpr8_vgpr9
	s_waitcnt lgkmcnt(0)
	v_cmp_lt_i64_e64 s[18:19], v[6:7], v[4:5]
	s_or_b64 s[16:17], s[16:17], s[18:19]
	s_and_b64 s[14:15], s[14:15], s[16:17]
	s_xor_b64 s[16:17], s[14:15], -1
	s_and_saveexec_b64 s[18:19], s[16:17]
	s_xor_b64 s[16:17], exec, s[18:19]
	s_cbranch_execz .LBB148_168
; %bb.167:                              ;   in Loop: Header=BB148_2 Depth=1
	ds_read_b64 v[8:9], v10 offset:8
                                        ; implicit-def: $vgpr14
.LBB148_168:                            ;   in Loop: Header=BB148_2 Depth=1
	s_or_saveexec_b64 s[16:17], s[16:17]
	v_mov_b64_e32 v[10:11], v[6:7]
	s_xor_b64 exec, exec, s[16:17]
	s_cbranch_execz .LBB148_170
; %bb.169:                              ;   in Loop: Header=BB148_2 Depth=1
	ds_read_b64 v[10:11], v14 offset:8
	s_waitcnt lgkmcnt(1)
	v_mov_b64_e32 v[8:9], v[4:5]
.LBB148_170:                            ;   in Loop: Header=BB148_2 Depth=1
	s_or_b64 exec, exec, s[16:17]
	v_add_u32_e32 v15, 1, v13
	v_add_u32_e32 v14, 1, v12
	v_cndmask_b32_e64 v17, v15, v13, s[14:15]
	v_cndmask_b32_e64 v16, v12, v14, s[14:15]
	v_cmp_ge_i32_e64 s[18:19], v17, v86
	s_waitcnt lgkmcnt(0)
	v_cmp_lt_i64_e64 s[20:21], v[10:11], v[8:9]
	v_cmp_lt_i32_e64 s[16:17], v16, v87
	s_or_b64 s[18:19], s[18:19], s[20:21]
	s_and_b64 s[16:17], s[16:17], s[18:19]
	s_xor_b64 s[18:19], s[16:17], -1
                                        ; implicit-def: $vgpr12_vgpr13
	s_and_saveexec_b64 s[20:21], s[18:19]
	s_xor_b64 s[18:19], exec, s[20:21]
	s_cbranch_execz .LBB148_172
; %bb.171:                              ;   in Loop: Header=BB148_2 Depth=1
	v_lshlrev_b32_e32 v12, 3, v17
	ds_read_b64 v[12:13], v12 offset:8
.LBB148_172:                            ;   in Loop: Header=BB148_2 Depth=1
	s_or_saveexec_b64 s[18:19], s[18:19]
	v_mov_b64_e32 v[14:15], v[10:11]
	s_xor_b64 exec, exec, s[18:19]
	s_cbranch_execz .LBB148_174
; %bb.173:                              ;   in Loop: Header=BB148_2 Depth=1
	s_waitcnt lgkmcnt(0)
	v_lshlrev_b32_e32 v12, 3, v16
	ds_read_b64 v[14:15], v12 offset:8
	v_mov_b64_e32 v[12:13], v[8:9]
.LBB148_174:                            ;   in Loop: Header=BB148_2 Depth=1
	s_or_b64 exec, exec, s[18:19]
	v_add_u32_e32 v19, 1, v17
	v_add_u32_e32 v18, 1, v16
	v_cndmask_b32_e64 v21, v19, v17, s[16:17]
	v_cndmask_b32_e64 v20, v16, v18, s[16:17]
	v_cmp_ge_i32_e64 s[20:21], v21, v86
	s_waitcnt lgkmcnt(0)
	v_cmp_lt_i64_e64 s[22:23], v[14:15], v[12:13]
	v_cmp_lt_i32_e64 s[18:19], v20, v87
	s_or_b64 s[20:21], s[20:21], s[22:23]
	s_and_b64 s[18:19], s[18:19], s[20:21]
	s_xor_b64 s[20:21], s[18:19], -1
                                        ; implicit-def: $vgpr16_vgpr17
	s_and_saveexec_b64 s[22:23], s[20:21]
	s_xor_b64 s[20:21], exec, s[22:23]
	s_cbranch_execz .LBB148_176
; %bb.175:                              ;   in Loop: Header=BB148_2 Depth=1
	v_lshlrev_b32_e32 v16, 3, v21
	ds_read_b64 v[16:17], v16 offset:8
.LBB148_176:                            ;   in Loop: Header=BB148_2 Depth=1
	s_or_saveexec_b64 s[20:21], s[20:21]
	v_mov_b64_e32 v[18:19], v[14:15]
	s_xor_b64 exec, exec, s[20:21]
	s_cbranch_execz .LBB148_178
; %bb.177:                              ;   in Loop: Header=BB148_2 Depth=1
	s_waitcnt lgkmcnt(0)
	v_lshlrev_b32_e32 v16, 3, v20
	ds_read_b64 v[18:19], v16 offset:8
	v_mov_b64_e32 v[16:17], v[12:13]
.LBB148_178:                            ;   in Loop: Header=BB148_2 Depth=1
	s_or_b64 exec, exec, s[20:21]
	v_add_u32_e32 v23, 1, v21
	v_add_u32_e32 v22, 1, v20
	v_cndmask_b32_e64 v25, v23, v21, s[18:19]
	v_cndmask_b32_e64 v24, v20, v22, s[18:19]
	v_cmp_ge_i32_e64 s[22:23], v25, v86
	s_waitcnt lgkmcnt(0)
	v_cmp_lt_i64_e64 s[24:25], v[18:19], v[16:17]
	v_cmp_lt_i32_e64 s[20:21], v24, v87
	s_or_b64 s[22:23], s[22:23], s[24:25]
	s_and_b64 s[20:21], s[20:21], s[22:23]
	s_xor_b64 s[22:23], s[20:21], -1
                                        ; implicit-def: $vgpr20_vgpr21
	s_and_saveexec_b64 s[24:25], s[22:23]
	s_xor_b64 s[22:23], exec, s[24:25]
	s_cbranch_execz .LBB148_180
; %bb.179:                              ;   in Loop: Header=BB148_2 Depth=1
	v_lshlrev_b32_e32 v20, 3, v25
	ds_read_b64 v[20:21], v20 offset:8
.LBB148_180:                            ;   in Loop: Header=BB148_2 Depth=1
	s_or_saveexec_b64 s[22:23], s[22:23]
	v_mov_b64_e32 v[22:23], v[18:19]
	s_xor_b64 exec, exec, s[22:23]
	s_cbranch_execz .LBB148_182
; %bb.181:                              ;   in Loop: Header=BB148_2 Depth=1
	s_waitcnt lgkmcnt(0)
	v_lshlrev_b32_e32 v20, 3, v24
	ds_read_b64 v[22:23], v20 offset:8
	v_mov_b64_e32 v[20:21], v[16:17]
.LBB148_182:                            ;   in Loop: Header=BB148_2 Depth=1
	s_or_b64 exec, exec, s[22:23]
	v_add_u32_e32 v27, 1, v25
	v_add_u32_e32 v26, 1, v24
	v_cndmask_b32_e64 v29, v27, v25, s[20:21]
	v_cndmask_b32_e64 v28, v24, v26, s[20:21]
	v_cmp_ge_i32_e64 s[24:25], v29, v86
	s_waitcnt lgkmcnt(0)
	v_cmp_lt_i64_e64 s[26:27], v[22:23], v[20:21]
	v_cmp_lt_i32_e64 s[22:23], v28, v87
	s_or_b64 s[24:25], s[24:25], s[26:27]
	s_and_b64 s[22:23], s[22:23], s[24:25]
	s_xor_b64 s[24:25], s[22:23], -1
                                        ; implicit-def: $vgpr24_vgpr25
	s_and_saveexec_b64 s[26:27], s[24:25]
	s_xor_b64 s[24:25], exec, s[26:27]
	s_cbranch_execz .LBB148_184
; %bb.183:                              ;   in Loop: Header=BB148_2 Depth=1
	v_lshlrev_b32_e32 v24, 3, v29
	ds_read_b64 v[24:25], v24 offset:8
.LBB148_184:                            ;   in Loop: Header=BB148_2 Depth=1
	s_or_saveexec_b64 s[24:25], s[24:25]
	v_mov_b64_e32 v[26:27], v[22:23]
	s_xor_b64 exec, exec, s[24:25]
	s_cbranch_execz .LBB148_186
; %bb.185:                              ;   in Loop: Header=BB148_2 Depth=1
	s_waitcnt lgkmcnt(0)
	v_lshlrev_b32_e32 v24, 3, v28
	ds_read_b64 v[26:27], v24 offset:8
	v_mov_b64_e32 v[24:25], v[20:21]
.LBB148_186:                            ;   in Loop: Header=BB148_2 Depth=1
	s_or_b64 exec, exec, s[24:25]
	v_add_u32_e32 v31, 1, v29
	v_add_u32_e32 v30, 1, v28
	v_cndmask_b32_e64 v33, v31, v29, s[22:23]
	v_cndmask_b32_e64 v32, v28, v30, s[22:23]
	v_cmp_ge_i32_e64 s[26:27], v33, v86
	s_waitcnt lgkmcnt(0)
	v_cmp_lt_i64_e64 s[28:29], v[26:27], v[24:25]
	v_cmp_lt_i32_e64 s[24:25], v32, v87
	s_or_b64 s[26:27], s[26:27], s[28:29]
	s_and_b64 s[24:25], s[24:25], s[26:27]
	s_xor_b64 s[26:27], s[24:25], -1
                                        ; implicit-def: $vgpr28_vgpr29
	s_and_saveexec_b64 s[28:29], s[26:27]
	s_xor_b64 s[26:27], exec, s[28:29]
	s_cbranch_execz .LBB148_188
; %bb.187:                              ;   in Loop: Header=BB148_2 Depth=1
	v_lshlrev_b32_e32 v28, 3, v33
	ds_read_b64 v[28:29], v28 offset:8
.LBB148_188:                            ;   in Loop: Header=BB148_2 Depth=1
	s_or_saveexec_b64 s[26:27], s[26:27]
	v_mov_b64_e32 v[30:31], v[26:27]
	s_xor_b64 exec, exec, s[26:27]
	s_cbranch_execz .LBB148_190
; %bb.189:                              ;   in Loop: Header=BB148_2 Depth=1
	s_waitcnt lgkmcnt(0)
	v_lshlrev_b32_e32 v28, 3, v32
	ds_read_b64 v[30:31], v28 offset:8
	v_mov_b64_e32 v[28:29], v[24:25]
.LBB148_190:                            ;   in Loop: Header=BB148_2 Depth=1
	s_or_b64 exec, exec, s[26:27]
	v_add_u32_e32 v35, 1, v33
	v_add_u32_e32 v34, 1, v32
	v_cndmask_b32_e64 v37, v35, v33, s[24:25]
	v_cndmask_b32_e64 v36, v32, v34, s[24:25]
	v_cmp_ge_i32_e64 s[28:29], v37, v86
	s_waitcnt lgkmcnt(0)
	v_cmp_lt_i64_e64 s[30:31], v[30:31], v[28:29]
	v_cmp_lt_i32_e64 s[26:27], v36, v87
	s_or_b64 s[28:29], s[28:29], s[30:31]
	s_and_b64 s[26:27], s[26:27], s[28:29]
	s_xor_b64 s[28:29], s[26:27], -1
                                        ; implicit-def: $vgpr32_vgpr33
	s_and_saveexec_b64 s[30:31], s[28:29]
	s_xor_b64 s[28:29], exec, s[30:31]
	s_cbranch_execz .LBB148_192
; %bb.191:                              ;   in Loop: Header=BB148_2 Depth=1
	v_lshlrev_b32_e32 v32, 3, v37
	ds_read_b64 v[32:33], v32 offset:8
.LBB148_192:                            ;   in Loop: Header=BB148_2 Depth=1
	s_or_saveexec_b64 s[28:29], s[28:29]
	v_mov_b64_e32 v[34:35], v[30:31]
	s_xor_b64 exec, exec, s[28:29]
	s_cbranch_execz .LBB148_194
; %bb.193:                              ;   in Loop: Header=BB148_2 Depth=1
	s_waitcnt lgkmcnt(0)
	v_lshlrev_b32_e32 v32, 3, v36
	ds_read_b64 v[34:35], v32 offset:8
	v_mov_b64_e32 v[32:33], v[28:29]
.LBB148_194:                            ;   in Loop: Header=BB148_2 Depth=1
	s_or_b64 exec, exec, s[28:29]
	v_cndmask_b32_e64 v29, v29, v31, s[26:27]
	v_add_u32_e32 v31, 1, v37
	v_cndmask_b32_e64 v28, v28, v30, s[26:27]
	v_add_u32_e32 v30, 1, v36
	v_cndmask_b32_e64 v31, v31, v37, s[26:27]
	v_cndmask_b32_e64 v30, v36, v30, s[26:27]
	;; [unrolled: 1-line block ×6, first 2 shown]
	v_cmp_ge_i32_e64 s[16:17], v31, v86
	s_waitcnt lgkmcnt(0)
	v_cmp_lt_i64_e64 s[18:19], v[34:35], v[32:33]
	v_cndmask_b32_e64 v5, v5, v7, s[14:15]
	v_cndmask_b32_e64 v4, v4, v6, s[14:15]
	v_cmp_lt_i32_e64 s[14:15], v30, v87
	s_or_b64 s[16:17], s[16:17], s[18:19]
	s_and_b64 s[14:15], s[14:15], s[16:17]
	v_cndmask_b32_e64 v25, v25, v27, s[24:25]
	v_cndmask_b32_e64 v24, v24, v26, s[24:25]
	;; [unrolled: 1-line block ×8, first 2 shown]
	s_barrier
	ds_write2_b64 v1, v[4:5], v[8:9] offset1:1
	ds_write2_b64 v1, v[12:13], v[16:17] offset0:2 offset1:3
	ds_write2_b64 v1, v[20:21], v[24:25] offset0:4 offset1:5
	;; [unrolled: 1-line block ×3, first 2 shown]
	v_mov_b32_e32 v8, v100
	s_waitcnt lgkmcnt(0)
	s_barrier
	s_and_saveexec_b64 s[16:17], s[10:11]
	s_cbranch_execz .LBB148_198
; %bb.195:                              ;   in Loop: Header=BB148_2 Depth=1
	s_mov_b64 s[18:19], 0
	v_mov_b32_e32 v8, v100
	v_mov_b32_e32 v4, v101
.LBB148_196:                            ;   Parent Loop BB148_2 Depth=1
                                        ; =>  This Inner Loop Header: Depth=2
	v_sub_u32_e32 v5, v4, v8
	v_lshrrev_b32_e32 v6, 31, v5
	v_add_u32_e32 v5, v5, v6
	v_ashrrev_i32_e32 v5, 1, v5
	v_add_u32_e32 v5, v5, v8
	v_lshl_add_u32 v6, v5, 3, v98
	v_xad_u32 v7, v5, -1, v95
	v_lshl_add_u32 v9, v7, 3, v99
	ds_read_b64 v[6:7], v6
	ds_read_b64 v[10:11], v9
	v_add_u32_e32 v9, 1, v5
	s_waitcnt lgkmcnt(0)
	v_cmp_lt_i64_e64 s[14:15], v[10:11], v[6:7]
	s_nop 1
	v_cndmask_b32_e64 v4, v4, v5, s[14:15]
	v_cndmask_b32_e64 v8, v9, v8, s[14:15]
	v_cmp_ge_i32_e64 s[14:15], v8, v4
	s_or_b64 s[18:19], s[14:15], s[18:19]
	s_andn2_b64 exec, exec, s[18:19]
	s_cbranch_execnz .LBB148_196
; %bb.197:                              ;   in Loop: Header=BB148_2 Depth=1
	s_or_b64 exec, exec, s[18:19]
.LBB148_198:                            ;   in Loop: Header=BB148_2 Depth=1
	s_or_b64 exec, exec, s[16:17]
	v_sub_u32_e32 v12, v102, v8
	v_lshl_add_u32 v10, v8, 3, v98
	v_lshlrev_b32_e32 v14, 3, v12
	ds_read_b64 v[4:5], v10
	ds_read_b64 v[6:7], v14
	v_add_u32_e32 v13, v8, v94
	v_cmp_le_i32_e64 s[16:17], v96, v13
	v_cmp_gt_i32_e64 s[14:15], v97, v12
                                        ; implicit-def: $vgpr8_vgpr9
	s_waitcnt lgkmcnt(0)
	v_cmp_lt_i64_e64 s[18:19], v[6:7], v[4:5]
	s_or_b64 s[16:17], s[16:17], s[18:19]
	s_and_b64 s[14:15], s[14:15], s[16:17]
	s_xor_b64 s[16:17], s[14:15], -1
	s_and_saveexec_b64 s[18:19], s[16:17]
	s_xor_b64 s[16:17], exec, s[18:19]
	s_cbranch_execz .LBB148_200
; %bb.199:                              ;   in Loop: Header=BB148_2 Depth=1
	ds_read_b64 v[8:9], v10 offset:8
                                        ; implicit-def: $vgpr14
.LBB148_200:                            ;   in Loop: Header=BB148_2 Depth=1
	s_or_saveexec_b64 s[16:17], s[16:17]
	v_mov_b64_e32 v[10:11], v[6:7]
	s_xor_b64 exec, exec, s[16:17]
	s_cbranch_execz .LBB148_202
; %bb.201:                              ;   in Loop: Header=BB148_2 Depth=1
	ds_read_b64 v[10:11], v14 offset:8
	s_waitcnt lgkmcnt(1)
	v_mov_b64_e32 v[8:9], v[4:5]
.LBB148_202:                            ;   in Loop: Header=BB148_2 Depth=1
	s_or_b64 exec, exec, s[16:17]
	v_add_u32_e32 v15, 1, v13
	v_add_u32_e32 v14, 1, v12
	v_cndmask_b32_e64 v17, v15, v13, s[14:15]
	v_cndmask_b32_e64 v16, v12, v14, s[14:15]
	v_cmp_ge_i32_e64 s[18:19], v17, v96
	s_waitcnt lgkmcnt(0)
	v_cmp_lt_i64_e64 s[20:21], v[10:11], v[8:9]
	v_cmp_lt_i32_e64 s[16:17], v16, v97
	s_or_b64 s[18:19], s[18:19], s[20:21]
	s_and_b64 s[16:17], s[16:17], s[18:19]
	s_xor_b64 s[18:19], s[16:17], -1
                                        ; implicit-def: $vgpr12_vgpr13
	s_and_saveexec_b64 s[20:21], s[18:19]
	s_xor_b64 s[18:19], exec, s[20:21]
	s_cbranch_execz .LBB148_204
; %bb.203:                              ;   in Loop: Header=BB148_2 Depth=1
	v_lshlrev_b32_e32 v12, 3, v17
	ds_read_b64 v[12:13], v12 offset:8
.LBB148_204:                            ;   in Loop: Header=BB148_2 Depth=1
	s_or_saveexec_b64 s[18:19], s[18:19]
	v_mov_b64_e32 v[14:15], v[10:11]
	s_xor_b64 exec, exec, s[18:19]
	s_cbranch_execz .LBB148_206
; %bb.205:                              ;   in Loop: Header=BB148_2 Depth=1
	s_waitcnt lgkmcnt(0)
	v_lshlrev_b32_e32 v12, 3, v16
	ds_read_b64 v[14:15], v12 offset:8
	v_mov_b64_e32 v[12:13], v[8:9]
.LBB148_206:                            ;   in Loop: Header=BB148_2 Depth=1
	s_or_b64 exec, exec, s[18:19]
	v_add_u32_e32 v19, 1, v17
	v_add_u32_e32 v18, 1, v16
	v_cndmask_b32_e64 v21, v19, v17, s[16:17]
	v_cndmask_b32_e64 v20, v16, v18, s[16:17]
	v_cmp_ge_i32_e64 s[20:21], v21, v96
	s_waitcnt lgkmcnt(0)
	v_cmp_lt_i64_e64 s[22:23], v[14:15], v[12:13]
	v_cmp_lt_i32_e64 s[18:19], v20, v97
	s_or_b64 s[20:21], s[20:21], s[22:23]
	s_and_b64 s[18:19], s[18:19], s[20:21]
	s_xor_b64 s[20:21], s[18:19], -1
                                        ; implicit-def: $vgpr16_vgpr17
	s_and_saveexec_b64 s[22:23], s[20:21]
	s_xor_b64 s[20:21], exec, s[22:23]
	s_cbranch_execz .LBB148_208
; %bb.207:                              ;   in Loop: Header=BB148_2 Depth=1
	v_lshlrev_b32_e32 v16, 3, v21
	ds_read_b64 v[16:17], v16 offset:8
.LBB148_208:                            ;   in Loop: Header=BB148_2 Depth=1
	s_or_saveexec_b64 s[20:21], s[20:21]
	v_mov_b64_e32 v[18:19], v[14:15]
	s_xor_b64 exec, exec, s[20:21]
	s_cbranch_execz .LBB148_210
; %bb.209:                              ;   in Loop: Header=BB148_2 Depth=1
	s_waitcnt lgkmcnt(0)
	v_lshlrev_b32_e32 v16, 3, v20
	ds_read_b64 v[18:19], v16 offset:8
	v_mov_b64_e32 v[16:17], v[12:13]
.LBB148_210:                            ;   in Loop: Header=BB148_2 Depth=1
	s_or_b64 exec, exec, s[20:21]
	v_add_u32_e32 v23, 1, v21
	v_add_u32_e32 v22, 1, v20
	v_cndmask_b32_e64 v25, v23, v21, s[18:19]
	v_cndmask_b32_e64 v24, v20, v22, s[18:19]
	v_cmp_ge_i32_e64 s[22:23], v25, v96
	s_waitcnt lgkmcnt(0)
	v_cmp_lt_i64_e64 s[24:25], v[18:19], v[16:17]
	v_cmp_lt_i32_e64 s[20:21], v24, v97
	s_or_b64 s[22:23], s[22:23], s[24:25]
	s_and_b64 s[20:21], s[20:21], s[22:23]
	s_xor_b64 s[22:23], s[20:21], -1
                                        ; implicit-def: $vgpr20_vgpr21
	s_and_saveexec_b64 s[24:25], s[22:23]
	s_xor_b64 s[22:23], exec, s[24:25]
	s_cbranch_execz .LBB148_212
; %bb.211:                              ;   in Loop: Header=BB148_2 Depth=1
	v_lshlrev_b32_e32 v20, 3, v25
	ds_read_b64 v[20:21], v20 offset:8
.LBB148_212:                            ;   in Loop: Header=BB148_2 Depth=1
	s_or_saveexec_b64 s[22:23], s[22:23]
	v_mov_b64_e32 v[22:23], v[18:19]
	s_xor_b64 exec, exec, s[22:23]
	s_cbranch_execz .LBB148_214
; %bb.213:                              ;   in Loop: Header=BB148_2 Depth=1
	s_waitcnt lgkmcnt(0)
	v_lshlrev_b32_e32 v20, 3, v24
	ds_read_b64 v[22:23], v20 offset:8
	v_mov_b64_e32 v[20:21], v[16:17]
.LBB148_214:                            ;   in Loop: Header=BB148_2 Depth=1
	s_or_b64 exec, exec, s[22:23]
	v_add_u32_e32 v27, 1, v25
	v_add_u32_e32 v26, 1, v24
	v_cndmask_b32_e64 v29, v27, v25, s[20:21]
	v_cndmask_b32_e64 v28, v24, v26, s[20:21]
	v_cmp_ge_i32_e64 s[24:25], v29, v96
	s_waitcnt lgkmcnt(0)
	v_cmp_lt_i64_e64 s[26:27], v[22:23], v[20:21]
	v_cmp_lt_i32_e64 s[22:23], v28, v97
	s_or_b64 s[24:25], s[24:25], s[26:27]
	s_and_b64 s[22:23], s[22:23], s[24:25]
	s_xor_b64 s[24:25], s[22:23], -1
                                        ; implicit-def: $vgpr24_vgpr25
	s_and_saveexec_b64 s[26:27], s[24:25]
	s_xor_b64 s[24:25], exec, s[26:27]
	s_cbranch_execz .LBB148_216
; %bb.215:                              ;   in Loop: Header=BB148_2 Depth=1
	v_lshlrev_b32_e32 v24, 3, v29
	ds_read_b64 v[24:25], v24 offset:8
.LBB148_216:                            ;   in Loop: Header=BB148_2 Depth=1
	s_or_saveexec_b64 s[24:25], s[24:25]
	v_mov_b64_e32 v[26:27], v[22:23]
	s_xor_b64 exec, exec, s[24:25]
	s_cbranch_execz .LBB148_218
; %bb.217:                              ;   in Loop: Header=BB148_2 Depth=1
	s_waitcnt lgkmcnt(0)
	v_lshlrev_b32_e32 v24, 3, v28
	ds_read_b64 v[26:27], v24 offset:8
	v_mov_b64_e32 v[24:25], v[20:21]
.LBB148_218:                            ;   in Loop: Header=BB148_2 Depth=1
	s_or_b64 exec, exec, s[24:25]
	v_add_u32_e32 v31, 1, v29
	v_add_u32_e32 v30, 1, v28
	v_cndmask_b32_e64 v33, v31, v29, s[22:23]
	v_cndmask_b32_e64 v32, v28, v30, s[22:23]
	v_cmp_ge_i32_e64 s[26:27], v33, v96
	s_waitcnt lgkmcnt(0)
	v_cmp_lt_i64_e64 s[28:29], v[26:27], v[24:25]
	v_cmp_lt_i32_e64 s[24:25], v32, v97
	s_or_b64 s[26:27], s[26:27], s[28:29]
	s_and_b64 s[24:25], s[24:25], s[26:27]
	s_xor_b64 s[26:27], s[24:25], -1
                                        ; implicit-def: $vgpr28_vgpr29
	s_and_saveexec_b64 s[28:29], s[26:27]
	s_xor_b64 s[26:27], exec, s[28:29]
	s_cbranch_execz .LBB148_220
; %bb.219:                              ;   in Loop: Header=BB148_2 Depth=1
	v_lshlrev_b32_e32 v28, 3, v33
	ds_read_b64 v[28:29], v28 offset:8
.LBB148_220:                            ;   in Loop: Header=BB148_2 Depth=1
	s_or_saveexec_b64 s[26:27], s[26:27]
	v_mov_b64_e32 v[30:31], v[26:27]
	s_xor_b64 exec, exec, s[26:27]
	s_cbranch_execz .LBB148_222
; %bb.221:                              ;   in Loop: Header=BB148_2 Depth=1
	s_waitcnt lgkmcnt(0)
	v_lshlrev_b32_e32 v28, 3, v32
	ds_read_b64 v[30:31], v28 offset:8
	v_mov_b64_e32 v[28:29], v[24:25]
.LBB148_222:                            ;   in Loop: Header=BB148_2 Depth=1
	s_or_b64 exec, exec, s[26:27]
	v_add_u32_e32 v35, 1, v33
	v_add_u32_e32 v34, 1, v32
	v_cndmask_b32_e64 v37, v35, v33, s[24:25]
	v_cndmask_b32_e64 v36, v32, v34, s[24:25]
	v_cmp_ge_i32_e64 s[28:29], v37, v96
	s_waitcnt lgkmcnt(0)
	v_cmp_lt_i64_e64 s[30:31], v[30:31], v[28:29]
	v_cmp_lt_i32_e64 s[26:27], v36, v97
	s_or_b64 s[28:29], s[28:29], s[30:31]
	s_and_b64 s[26:27], s[26:27], s[28:29]
	s_xor_b64 s[28:29], s[26:27], -1
                                        ; implicit-def: $vgpr32_vgpr33
	s_and_saveexec_b64 s[30:31], s[28:29]
	s_xor_b64 s[28:29], exec, s[30:31]
	s_cbranch_execz .LBB148_224
; %bb.223:                              ;   in Loop: Header=BB148_2 Depth=1
	v_lshlrev_b32_e32 v32, 3, v37
	ds_read_b64 v[32:33], v32 offset:8
.LBB148_224:                            ;   in Loop: Header=BB148_2 Depth=1
	s_or_saveexec_b64 s[28:29], s[28:29]
	v_mov_b64_e32 v[34:35], v[30:31]
	s_xor_b64 exec, exec, s[28:29]
	s_cbranch_execz .LBB148_226
; %bb.225:                              ;   in Loop: Header=BB148_2 Depth=1
	s_waitcnt lgkmcnt(0)
	v_lshlrev_b32_e32 v32, 3, v36
	ds_read_b64 v[34:35], v32 offset:8
	v_mov_b64_e32 v[32:33], v[28:29]
.LBB148_226:                            ;   in Loop: Header=BB148_2 Depth=1
	s_or_b64 exec, exec, s[28:29]
	v_cndmask_b32_e64 v29, v29, v31, s[26:27]
	v_add_u32_e32 v31, 1, v37
	v_cndmask_b32_e64 v28, v28, v30, s[26:27]
	v_add_u32_e32 v30, 1, v36
	v_cndmask_b32_e64 v31, v31, v37, s[26:27]
	v_cndmask_b32_e64 v30, v36, v30, s[26:27]
	v_cndmask_b32_e64 v13, v13, v15, s[18:19]
	v_cndmask_b32_e64 v12, v12, v14, s[18:19]
	v_cndmask_b32_e64 v9, v9, v11, s[16:17]
	v_cndmask_b32_e64 v8, v8, v10, s[16:17]
	v_cmp_ge_i32_e64 s[16:17], v31, v96
	s_waitcnt lgkmcnt(0)
	v_cmp_lt_i64_e64 s[18:19], v[34:35], v[32:33]
	v_cndmask_b32_e64 v5, v5, v7, s[14:15]
	v_cndmask_b32_e64 v4, v4, v6, s[14:15]
	v_cmp_lt_i32_e64 s[14:15], v30, v97
	s_or_b64 s[16:17], s[16:17], s[18:19]
	s_and_b64 s[14:15], s[14:15], s[16:17]
	v_cndmask_b32_e64 v25, v25, v27, s[24:25]
	v_cndmask_b32_e64 v24, v24, v26, s[24:25]
	;; [unrolled: 1-line block ×8, first 2 shown]
	s_barrier
	ds_write2_b64 v1, v[4:5], v[8:9] offset1:1
	ds_write2_b64 v1, v[12:13], v[16:17] offset0:2 offset1:3
	ds_write2_b64 v1, v[20:21], v[24:25] offset0:4 offset1:5
	;; [unrolled: 1-line block ×3, first 2 shown]
	v_mov_b32_e32 v12, v104
	s_waitcnt lgkmcnt(0)
	s_barrier
	s_and_saveexec_b64 s[16:17], s[12:13]
	s_cbranch_execz .LBB148_230
; %bb.227:                              ;   in Loop: Header=BB148_2 Depth=1
	s_mov_b64 s[18:19], 0
	v_mov_b32_e32 v12, v104
	v_mov_b32_e32 v4, v105
.LBB148_228:                            ;   Parent Loop BB148_2 Depth=1
                                        ; =>  This Inner Loop Header: Depth=2
	v_sub_u32_e32 v5, v4, v12
	v_lshrrev_b32_e32 v6, 31, v5
	v_add_u32_e32 v5, v5, v6
	v_ashrrev_i32_e32 v5, 1, v5
	v_add_u32_e32 v5, v5, v12
	v_xad_u32 v7, v5, -1, v2
	v_lshlrev_b32_e32 v6, 3, v5
	v_lshl_add_u32 v8, v7, 3, v103
	ds_read_b64 v[6:7], v6
	ds_read_b64 v[8:9], v8
	v_add_u32_e32 v10, 1, v5
	s_waitcnt lgkmcnt(0)
	v_cmp_lt_i64_e64 s[14:15], v[8:9], v[6:7]
	s_nop 1
	v_cndmask_b32_e64 v4, v4, v5, s[14:15]
	v_cndmask_b32_e64 v12, v10, v12, s[14:15]
	v_cmp_ge_i32_e64 s[14:15], v12, v4
	s_or_b64 s[18:19], s[14:15], s[18:19]
	s_andn2_b64 exec, exec, s[18:19]
	s_cbranch_execnz .LBB148_228
; %bb.229:                              ;   in Loop: Header=BB148_2 Depth=1
	s_or_b64 exec, exec, s[18:19]
.LBB148_230:                            ;   in Loop: Header=BB148_2 Depth=1
	s_or_b64 exec, exec, s[16:17]
	v_sub_u32_e32 v13, v106, v12
	v_lshlrev_b32_e32 v10, 3, v12
	v_lshlrev_b32_e32 v14, 3, v13
	ds_read_b64 v[4:5], v10
	ds_read_b64 v[6:7], v14
	v_cmp_le_i32_e64 s[16:17], v93, v12
	v_cmp_gt_i32_e64 s[14:15], s33, v13
                                        ; implicit-def: $vgpr8_vgpr9
	s_waitcnt lgkmcnt(0)
	v_cmp_lt_i64_e64 s[18:19], v[6:7], v[4:5]
	s_or_b64 s[16:17], s[16:17], s[18:19]
	s_and_b64 s[14:15], s[14:15], s[16:17]
	s_xor_b64 s[16:17], s[14:15], -1
	s_and_saveexec_b64 s[18:19], s[16:17]
	s_xor_b64 s[16:17], exec, s[18:19]
	s_cbranch_execz .LBB148_232
; %bb.231:                              ;   in Loop: Header=BB148_2 Depth=1
	ds_read_b64 v[8:9], v10 offset:8
                                        ; implicit-def: $vgpr14
.LBB148_232:                            ;   in Loop: Header=BB148_2 Depth=1
	s_or_saveexec_b64 s[16:17], s[16:17]
	v_mov_b64_e32 v[10:11], v[6:7]
	s_xor_b64 exec, exec, s[16:17]
	s_cbranch_execz .LBB148_234
; %bb.233:                              ;   in Loop: Header=BB148_2 Depth=1
	ds_read_b64 v[10:11], v14 offset:8
	s_waitcnt lgkmcnt(1)
	v_mov_b64_e32 v[8:9], v[4:5]
.LBB148_234:                            ;   in Loop: Header=BB148_2 Depth=1
	s_or_b64 exec, exec, s[16:17]
	v_add_u32_e32 v15, 1, v12
	v_add_u32_e32 v14, 1, v13
	v_cndmask_b32_e64 v17, v15, v12, s[14:15]
	v_cndmask_b32_e64 v16, v13, v14, s[14:15]
	v_cmp_ge_i32_e64 s[18:19], v17, v93
	s_waitcnt lgkmcnt(0)
	v_cmp_lt_i64_e64 s[20:21], v[10:11], v[8:9]
	v_cmp_gt_i32_e64 s[16:17], s33, v16
	s_or_b64 s[18:19], s[18:19], s[20:21]
	s_and_b64 s[16:17], s[16:17], s[18:19]
	s_xor_b64 s[18:19], s[16:17], -1
                                        ; implicit-def: $vgpr12_vgpr13
	s_and_saveexec_b64 s[20:21], s[18:19]
	s_xor_b64 s[18:19], exec, s[20:21]
	s_cbranch_execz .LBB148_236
; %bb.235:                              ;   in Loop: Header=BB148_2 Depth=1
	v_lshlrev_b32_e32 v12, 3, v17
	ds_read_b64 v[12:13], v12 offset:8
.LBB148_236:                            ;   in Loop: Header=BB148_2 Depth=1
	s_or_saveexec_b64 s[18:19], s[18:19]
	v_mov_b64_e32 v[14:15], v[10:11]
	s_xor_b64 exec, exec, s[18:19]
	s_cbranch_execz .LBB148_238
; %bb.237:                              ;   in Loop: Header=BB148_2 Depth=1
	s_waitcnt lgkmcnt(0)
	v_lshlrev_b32_e32 v12, 3, v16
	ds_read_b64 v[14:15], v12 offset:8
	v_mov_b64_e32 v[12:13], v[8:9]
.LBB148_238:                            ;   in Loop: Header=BB148_2 Depth=1
	s_or_b64 exec, exec, s[18:19]
	v_add_u32_e32 v19, 1, v17
	v_add_u32_e32 v18, 1, v16
	v_cndmask_b32_e64 v19, v19, v17, s[16:17]
	v_cndmask_b32_e64 v18, v16, v18, s[16:17]
	v_cmp_ge_i32_e64 s[20:21], v19, v93
	s_waitcnt lgkmcnt(0)
	v_cmp_lt_i64_e64 s[22:23], v[14:15], v[12:13]
	v_cmp_gt_i32_e64 s[18:19], s33, v18
	s_or_b64 s[20:21], s[20:21], s[22:23]
	s_and_b64 s[18:19], s[18:19], s[20:21]
	s_xor_b64 s[20:21], s[18:19], -1
                                        ; implicit-def: $vgpr16_vgpr17
	s_and_saveexec_b64 s[22:23], s[20:21]
	s_xor_b64 s[20:21], exec, s[22:23]
	s_cbranch_execz .LBB148_240
; %bb.239:                              ;   in Loop: Header=BB148_2 Depth=1
	v_lshlrev_b32_e32 v16, 3, v19
	ds_read_b64 v[16:17], v16 offset:8
.LBB148_240:                            ;   in Loop: Header=BB148_2 Depth=1
	s_or_saveexec_b64 s[20:21], s[20:21]
	v_mov_b64_e32 v[20:21], v[14:15]
	s_xor_b64 exec, exec, s[20:21]
	s_cbranch_execz .LBB148_242
; %bb.241:                              ;   in Loop: Header=BB148_2 Depth=1
	s_waitcnt lgkmcnt(0)
	v_lshlrev_b32_e32 v16, 3, v18
	ds_read_b64 v[20:21], v16 offset:8
	v_mov_b64_e32 v[16:17], v[12:13]
.LBB148_242:                            ;   in Loop: Header=BB148_2 Depth=1
	s_or_b64 exec, exec, s[20:21]
	v_add_u32_e32 v23, 1, v19
	v_add_u32_e32 v22, 1, v18
	v_cndmask_b32_e64 v19, v23, v19, s[18:19]
	v_cndmask_b32_e64 v18, v18, v22, s[18:19]
	v_cmp_ge_i32_e64 s[22:23], v19, v93
	s_waitcnt lgkmcnt(0)
	v_cmp_lt_i64_e64 s[24:25], v[20:21], v[16:17]
	v_cmp_gt_i32_e64 s[20:21], s33, v18
	s_or_b64 s[22:23], s[22:23], s[24:25]
	s_and_b64 s[20:21], s[20:21], s[22:23]
	s_xor_b64 s[22:23], s[20:21], -1
                                        ; implicit-def: $vgpr24_vgpr25
	s_and_saveexec_b64 s[24:25], s[22:23]
	s_xor_b64 s[22:23], exec, s[24:25]
	s_cbranch_execz .LBB148_244
; %bb.243:                              ;   in Loop: Header=BB148_2 Depth=1
	v_lshlrev_b32_e32 v22, 3, v19
	ds_read_b64 v[24:25], v22 offset:8
.LBB148_244:                            ;   in Loop: Header=BB148_2 Depth=1
	s_or_saveexec_b64 s[22:23], s[22:23]
	v_mov_b64_e32 v[26:27], v[20:21]
	s_xor_b64 exec, exec, s[22:23]
	s_cbranch_execz .LBB148_246
; %bb.245:                              ;   in Loop: Header=BB148_2 Depth=1
	v_lshlrev_b32_e32 v22, 3, v18
	ds_read_b64 v[26:27], v22 offset:8
	s_waitcnt lgkmcnt(1)
	v_mov_b64_e32 v[24:25], v[16:17]
.LBB148_246:                            ;   in Loop: Header=BB148_2 Depth=1
	s_or_b64 exec, exec, s[22:23]
	v_add_u32_e32 v23, 1, v19
	v_add_u32_e32 v22, 1, v18
	v_cndmask_b32_e64 v19, v23, v19, s[20:21]
	v_cndmask_b32_e64 v18, v18, v22, s[20:21]
	v_cmp_ge_i32_e64 s[24:25], v19, v93
	s_waitcnt lgkmcnt(0)
	v_cmp_lt_i64_e64 s[26:27], v[26:27], v[24:25]
	v_cmp_gt_i32_e64 s[22:23], s33, v18
	s_or_b64 s[24:25], s[24:25], s[26:27]
	s_and_b64 s[22:23], s[22:23], s[24:25]
	s_xor_b64 s[24:25], s[22:23], -1
                                        ; implicit-def: $vgpr28_vgpr29
	s_and_saveexec_b64 s[26:27], s[24:25]
	s_xor_b64 s[24:25], exec, s[26:27]
	s_cbranch_execz .LBB148_248
; %bb.247:                              ;   in Loop: Header=BB148_2 Depth=1
	v_lshlrev_b32_e32 v22, 3, v19
	ds_read_b64 v[28:29], v22 offset:8
.LBB148_248:                            ;   in Loop: Header=BB148_2 Depth=1
	s_or_saveexec_b64 s[24:25], s[24:25]
	v_mov_b64_e32 v[30:31], v[26:27]
	s_xor_b64 exec, exec, s[24:25]
	s_cbranch_execz .LBB148_250
; %bb.249:                              ;   in Loop: Header=BB148_2 Depth=1
	v_lshlrev_b32_e32 v22, 3, v18
	ds_read_b64 v[30:31], v22 offset:8
	s_waitcnt lgkmcnt(1)
	v_mov_b64_e32 v[28:29], v[24:25]
.LBB148_250:                            ;   in Loop: Header=BB148_2 Depth=1
	s_or_b64 exec, exec, s[24:25]
	v_add_u32_e32 v23, 1, v19
	v_add_u32_e32 v22, 1, v18
	v_cndmask_b32_e64 v19, v23, v19, s[22:23]
	v_cndmask_b32_e64 v18, v18, v22, s[22:23]
	v_cmp_ge_i32_e64 s[26:27], v19, v93
	s_waitcnt lgkmcnt(0)
	v_cmp_lt_i64_e64 s[28:29], v[30:31], v[28:29]
	v_cmp_gt_i32_e64 s[24:25], s33, v18
	s_or_b64 s[26:27], s[26:27], s[28:29]
	s_and_b64 s[24:25], s[24:25], s[26:27]
	s_xor_b64 s[26:27], s[24:25], -1
                                        ; implicit-def: $vgpr32_vgpr33
	s_and_saveexec_b64 s[28:29], s[26:27]
	s_xor_b64 s[26:27], exec, s[28:29]
	s_cbranch_execz .LBB148_252
; %bb.251:                              ;   in Loop: Header=BB148_2 Depth=1
	v_lshlrev_b32_e32 v22, 3, v19
	ds_read_b64 v[32:33], v22 offset:8
.LBB148_252:                            ;   in Loop: Header=BB148_2 Depth=1
	s_or_saveexec_b64 s[26:27], s[26:27]
	v_mov_b64_e32 v[34:35], v[30:31]
	s_xor_b64 exec, exec, s[26:27]
	s_cbranch_execz .LBB148_254
; %bb.253:                              ;   in Loop: Header=BB148_2 Depth=1
	v_lshlrev_b32_e32 v22, 3, v18
	ds_read_b64 v[34:35], v22 offset:8
	s_waitcnt lgkmcnt(1)
	v_mov_b64_e32 v[32:33], v[28:29]
.LBB148_254:                            ;   in Loop: Header=BB148_2 Depth=1
	s_or_b64 exec, exec, s[26:27]
	v_add_u32_e32 v22, 1, v18
	v_add_u32_e32 v23, 1, v19
	v_cndmask_b32_e64 v107, v18, v22, s[24:25]
	v_cndmask_b32_e64 v18, v23, v19, s[24:25]
	v_cmp_ge_i32_e64 s[28:29], v18, v93
	s_waitcnt lgkmcnt(0)
	v_cmp_lt_i64_e64 s[30:31], v[34:35], v[32:33]
	v_cmp_gt_i32_e64 s[26:27], s33, v107
	s_or_b64 s[28:29], s[28:29], s[30:31]
	s_and_b64 s[26:27], s[26:27], s[28:29]
	s_xor_b64 s[28:29], s[26:27], -1
                                        ; implicit-def: $vgpr36_vgpr37
                                        ; implicit-def: $vgpr108
	s_and_saveexec_b64 s[30:31], s[28:29]
	s_xor_b64 s[28:29], exec, s[30:31]
	s_cbranch_execz .LBB148_256
; %bb.255:                              ;   in Loop: Header=BB148_2 Depth=1
	v_lshlrev_b32_e32 v19, 3, v18
	ds_read_b64 v[36:37], v19 offset:8
	v_add_u32_e32 v108, 1, v18
                                        ; implicit-def: $vgpr18
.LBB148_256:                            ;   in Loop: Header=BB148_2 Depth=1
	s_or_saveexec_b64 s[28:29], s[28:29]
	v_mov_b64_e32 v[38:39], v[34:35]
	s_xor_b64 exec, exec, s[28:29]
	s_cbranch_execz .LBB148_1
; %bb.257:                              ;   in Loop: Header=BB148_2 Depth=1
	v_lshlrev_b32_e32 v19, 3, v107
	ds_read_b64 v[38:39], v19 offset:8
	v_add_u32_e32 v107, 1, v107
	v_mov_b32_e32 v108, v18
	s_waitcnt lgkmcnt(1)
	v_mov_b64_e32 v[36:37], v[32:33]
	s_branch .LBB148_1
.LBB148_258:
	s_add_u32 s0, s38, s40
	s_addc_u32 s1, s39, s41
	v_lshlrev_b32_e32 v0, 3, v0
	v_mov_b32_e32 v1, 0
	v_lshl_add_u64 v[2:3], s[0:1], 0, v[0:1]
	global_store_dwordx2 v0, v[22:23], s[0:1]
	global_store_dwordx2 v0, v[18:19], s[0:1] offset:2048
	v_add_co_u32_e32 v0, vcc, 0x1000, v2
	s_nop 1
	v_addc_co_u32_e32 v1, vcc, 0, v3, vcc
	global_store_dwordx2 v[0:1], v[10:11], off
	global_store_dwordx2 v[0:1], v[14:15], off offset:2048
	v_add_co_u32_e32 v0, vcc, 0x2000, v2
	s_nop 1
	v_addc_co_u32_e32 v1, vcc, 0, v3, vcc
	global_store_dwordx2 v[0:1], v[6:7], off
	global_store_dwordx2 v[0:1], v[8:9], off offset:2048
	;; [unrolled: 5-line block ×3, first 2 shown]
	s_endpgm
	.section	.rodata,"a",@progbits
	.p2align	6, 0x0
	.amdhsa_kernel _Z16sort_keys_kernelIxLj256ELj8EN10test_utils4lessELj10EEvPKT_PS2_T2_
		.amdhsa_group_segment_fixed_size 16392
		.amdhsa_private_segment_fixed_size 0
		.amdhsa_kernarg_size 20
		.amdhsa_user_sgpr_count 2
		.amdhsa_user_sgpr_dispatch_ptr 0
		.amdhsa_user_sgpr_queue_ptr 0
		.amdhsa_user_sgpr_kernarg_segment_ptr 1
		.amdhsa_user_sgpr_dispatch_id 0
		.amdhsa_user_sgpr_kernarg_preload_length 0
		.amdhsa_user_sgpr_kernarg_preload_offset 0
		.amdhsa_user_sgpr_private_segment_size 0
		.amdhsa_uses_dynamic_stack 0
		.amdhsa_enable_private_segment 0
		.amdhsa_system_sgpr_workgroup_id_x 1
		.amdhsa_system_sgpr_workgroup_id_y 0
		.amdhsa_system_sgpr_workgroup_id_z 0
		.amdhsa_system_sgpr_workgroup_info 0
		.amdhsa_system_vgpr_workitem_id 0
		.amdhsa_next_free_vgpr 109
		.amdhsa_next_free_sgpr 42
		.amdhsa_accum_offset 112
		.amdhsa_reserve_vcc 1
		.amdhsa_float_round_mode_32 0
		.amdhsa_float_round_mode_16_64 0
		.amdhsa_float_denorm_mode_32 3
		.amdhsa_float_denorm_mode_16_64 3
		.amdhsa_dx10_clamp 1
		.amdhsa_ieee_mode 1
		.amdhsa_fp16_overflow 0
		.amdhsa_tg_split 0
		.amdhsa_exception_fp_ieee_invalid_op 0
		.amdhsa_exception_fp_denorm_src 0
		.amdhsa_exception_fp_ieee_div_zero 0
		.amdhsa_exception_fp_ieee_overflow 0
		.amdhsa_exception_fp_ieee_underflow 0
		.amdhsa_exception_fp_ieee_inexact 0
		.amdhsa_exception_int_div_zero 0
	.end_amdhsa_kernel
	.section	.text._Z16sort_keys_kernelIxLj256ELj8EN10test_utils4lessELj10EEvPKT_PS2_T2_,"axG",@progbits,_Z16sort_keys_kernelIxLj256ELj8EN10test_utils4lessELj10EEvPKT_PS2_T2_,comdat
.Lfunc_end148:
	.size	_Z16sort_keys_kernelIxLj256ELj8EN10test_utils4lessELj10EEvPKT_PS2_T2_, .Lfunc_end148-_Z16sort_keys_kernelIxLj256ELj8EN10test_utils4lessELj10EEvPKT_PS2_T2_
                                        ; -- End function
	.section	.AMDGPU.csdata,"",@progbits
; Kernel info:
; codeLenInByte = 13204
; NumSgprs: 48
; NumVgprs: 109
; NumAgprs: 0
; TotalNumVgprs: 109
; ScratchSize: 0
; MemoryBound: 0
; FloatMode: 240
; IeeeMode: 1
; LDSByteSize: 16392 bytes/workgroup (compile time only)
; SGPRBlocks: 5
; VGPRBlocks: 13
; NumSGPRsForWavesPerEU: 48
; NumVGPRsForWavesPerEU: 109
; AccumOffset: 112
; Occupancy: 3
; WaveLimiterHint : 1
; COMPUTE_PGM_RSRC2:SCRATCH_EN: 0
; COMPUTE_PGM_RSRC2:USER_SGPR: 2
; COMPUTE_PGM_RSRC2:TRAP_HANDLER: 0
; COMPUTE_PGM_RSRC2:TGID_X_EN: 1
; COMPUTE_PGM_RSRC2:TGID_Y_EN: 0
; COMPUTE_PGM_RSRC2:TGID_Z_EN: 0
; COMPUTE_PGM_RSRC2:TIDIG_COMP_CNT: 0
; COMPUTE_PGM_RSRC3_GFX90A:ACCUM_OFFSET: 27
; COMPUTE_PGM_RSRC3_GFX90A:TG_SPLIT: 0
	.section	.text._Z17sort_pairs_kernelIxLj256ELj8EN10test_utils4lessELj10EEvPKT_PS2_T2_,"axG",@progbits,_Z17sort_pairs_kernelIxLj256ELj8EN10test_utils4lessELj10EEvPKT_PS2_T2_,comdat
	.protected	_Z17sort_pairs_kernelIxLj256ELj8EN10test_utils4lessELj10EEvPKT_PS2_T2_ ; -- Begin function _Z17sort_pairs_kernelIxLj256ELj8EN10test_utils4lessELj10EEvPKT_PS2_T2_
	.globl	_Z17sort_pairs_kernelIxLj256ELj8EN10test_utils4lessELj10EEvPKT_PS2_T2_
	.p2align	8
	.type	_Z17sort_pairs_kernelIxLj256ELj8EN10test_utils4lessELj10EEvPKT_PS2_T2_,@function
_Z17sort_pairs_kernelIxLj256ELj8EN10test_utils4lessELj10EEvPKT_PS2_T2_: ; @_Z17sort_pairs_kernelIxLj256ELj8EN10test_utils4lessELj10EEvPKT_PS2_T2_
; %bb.0:
	s_load_dwordx4 s[88:91], s[0:1], 0x0
	s_lshl_b32 s94, s2, 11
	s_mov_b32 s95, 0
	s_lshl_b64 s[92:93], s[94:95], 3
	v_mov_b32_e32 v3, 0
	s_waitcnt lgkmcnt(0)
	s_add_u32 s0, s88, s92
	s_addc_u32 s1, s89, s93
	v_lshlrev_b32_e32 v2, 3, v0
	v_lshl_add_u64 v[4:5], s[0:1], 0, v[2:3]
	s_movk_i32 s2, 0x1000
	v_add_co_u32_e32 v6, vcc, s2, v4
	s_movk_i32 s2, 0x2000
	s_nop 0
	v_addc_co_u32_e32 v7, vcc, 0, v5, vcc
	v_add_co_u32_e32 v8, vcc, s2, v4
	global_load_dwordx2 v[20:21], v2, s[0:1]
	s_nop 0
	v_addc_co_u32_e32 v9, vcc, 0, v5, vcc
	global_load_dwordx2 v[26:27], v[6:7], off offset:2048
	global_load_dwordx2 v[28:29], v2, s[0:1] offset:2048
	global_load_dwordx2 v[22:23], v[8:9], off offset:-4096
	global_load_dwordx2 v[24:25], v[8:9], off
	global_load_dwordx2 v[30:31], v[8:9], off offset:2048
	s_movk_i32 s0, 0x3000
	v_add_co_u32_e32 v4, vcc, s0, v4
	v_and_b32_e32 v59, 0x780, v2
	s_nop 0
	v_addc_co_u32_e32 v5, vcc, 0, v5, vcc
	global_load_dwordx2 v[32:33], v[4:5], off
	global_load_dwordx2 v[34:35], v[4:5], off offset:2048
	v_and_b32_e32 v3, 0x7f0, v2
	v_or_b32_e32 v70, 64, v59
	v_add_u32_e32 v71, 0x80, v59
	v_and_b32_e32 v89, 0x700, v2
	v_and_b32_e32 v55, 0x7e0, v2
	v_and_b32_e32 v60, 0x78, v2
	v_or_b32_e32 v61, 8, v3
	v_add_u32_e32 v62, 16, v3
	v_sub_u32_e32 v37, v71, v70
	v_or_b32_e32 v91, 0x80, v89
	v_add_u32_e32 v92, 0x100, v89
	v_and_b32_e32 v98, 0x600, v2
	v_and_b32_e32 v54, 8, v2
	;; [unrolled: 1-line block ×3, first 2 shown]
	v_or_b32_e32 v64, 16, v55
	v_add_u32_e32 v65, 32, v55
	v_sub_u32_e32 v5, v62, v61
	v_sub_u32_e32 v36, v70, v59
	;; [unrolled: 1-line block ×3, first 2 shown]
	v_cmp_ge_i32_e64 s[4:5], v60, v37
	v_and_b32_e32 v90, 0xf8, v2
	v_sub_u32_e32 v37, v92, v91
	v_or_b32_e32 v100, 0x100, v98
	v_add_u32_e32 v101, 0x200, v98
	v_and_b32_e32 v108, 0x400, v2
	v_and_b32_e32 v56, 24, v2
	v_or_b32_e32 v67, 32, v57
	v_add_u32_e32 v68, 64, v57
	v_sub_u32_e32 v4, v61, v3
	v_sub_u32_e32 v7, v65, v64
	;; [unrolled: 1-line block ×3, first 2 shown]
	v_cmp_ge_i32_e32 vcc, v54, v5
	v_cndmask_b32_e64 v86, 0, v38, s[4:5]
	v_min_i32_e32 v87, v60, v36
	v_sub_u32_e32 v36, v91, v89
	v_sub_u32_e32 v38, v90, v37
	v_cmp_ge_i32_e64 s[6:7], v90, v37
	v_and_b32_e32 v99, 0x1f8, v2
	v_sub_u32_e32 v37, v101, v100
	v_or_b32_e32 v110, 0x200, v108
	v_add_u32_e32 v111, 0x400, v108
	v_and_b32_e32 v58, 56, v2
	v_sub_u32_e32 v6, v64, v55
	v_sub_u32_e32 v9, v68, v67
	v_min_i32_e32 v78, v54, v4
	v_sub_u32_e32 v4, v56, v7
	v_cndmask_b32_e32 v81, 0, v10, vcc
	v_cmp_ge_i32_e32 vcc, v56, v7
	v_cndmask_b32_e64 v95, 0, v38, s[6:7]
	v_min_i32_e32 v96, v90, v36
	v_sub_u32_e32 v36, v100, v98
	v_sub_u32_e32 v38, v99, v37
	v_cmp_ge_i32_e64 s[8:9], v99, v37
	v_and_b32_e32 v109, 0x3f8, v2
	v_sub_u32_e32 v37, v111, v110
	v_sub_u32_e32 v8, v67, v57
	v_min_i32_e32 v79, v56, v6
	v_sub_u32_e32 v6, v58, v9
	v_cndmask_b32_e32 v82, 0, v4, vcc
	v_cmp_ge_i32_e32 vcc, v58, v9
	v_cndmask_b32_e64 v104, 0, v38, s[8:9]
	v_min_i32_e32 v105, v99, v36
	v_mov_b32_e32 v107, 0x400
	v_sub_u32_e32 v36, v110, v108
	v_sub_u32_e32 v38, v109, v37
	v_cmp_ge_i32_e64 s[10:11], v109, v37
	v_min_i32_e32 v80, v58, v8
	v_cndmask_b32_e32 v83, 0, v6, vcc
	v_cndmask_b32_e64 v114, 0, v38, s[10:11]
	v_min_i32_e32 v115, v109, v36
	v_sub_u32_e64 v118, v2, v107 clamp
	v_min_i32_e32 v119, 0x400, v2
	v_lshlrev_b32_e32 v1, 6, v0
	v_lshlrev_b32_e32 v63, 3, v3
	;; [unrolled: 1-line block ×5, first 2 shown]
	v_add_u32_e32 v73, v61, v54
	v_lshlrev_b32_e32 v74, 3, v64
	v_add_u32_e32 v75, v64, v56
	v_lshlrev_b32_e32 v76, 3, v67
	v_add_u32_e32 v77, v67, v58
	v_cmp_lt_i32_e32 vcc, v81, v78
	v_cmp_lt_i32_e64 s[0:1], v82, v79
	v_cmp_lt_i32_e64 s[2:3], v83, v80
	s_waitcnt vmcnt(7)
	v_lshl_add_u64 v[8:9], v[20:21], 0, 1
	s_waitcnt vmcnt(5)
	v_lshl_add_u64 v[10:11], v[28:29], 0, 1
	;; [unrolled: 2-line block ×3, first 2 shown]
	v_lshl_add_u64 v[6:7], v[26:27], 0, 1
	s_waitcnt vmcnt(3)
	v_lshl_add_u64 v[16:17], v[24:25], 0, 1
	s_waitcnt vmcnt(2)
	;; [unrolled: 2-line block ×4, first 2 shown]
	v_lshl_add_u64 v[14:15], v[34:35], 0, 1
	v_lshlrev_b32_e32 v84, 3, v59
	v_lshlrev_b32_e32 v85, 3, v70
	v_cmp_lt_i32_e64 s[4:5], v86, v87
	v_add_u32_e32 v88, v70, v60
	v_lshlrev_b32_e32 v93, 3, v89
	v_lshlrev_b32_e32 v94, 3, v91
	v_cmp_lt_i32_e64 s[6:7], v95, v96
	v_add_u32_e32 v97, v91, v90
	;; [unrolled: 4-line block ×4, first 2 shown]
	v_mov_b32_e32 v117, 0x2000
	v_cmp_lt_i32_e64 s[12:13], v118, v119
	v_add_u32_e32 v120, 0x400, v2
	s_movk_i32 s33, 0x800
	s_branch .LBB149_2
.LBB149_1:                              ;   in Loop: Header=BB149_2 Depth=1
	s_or_b64 exec, exec, s[28:29]
	v_cndmask_b32_e64 v21, v21, v23, s[14:15]
	v_cndmask_b32_e64 v20, v20, v22, s[14:15]
	v_cndmask_b32_e64 v29, v25, v27, s[16:17]
	v_cndmask_b32_e64 v28, v24, v26, s[16:17]
	v_cndmask_b32_e64 v23, v31, v33, s[18:19]
	v_cndmask_b32_e64 v22, v30, v32, s[18:19]
	v_cndmask_b32_e64 v27, v35, v37, s[20:21]
	v_cndmask_b32_e64 v33, v39, v43, s[24:25]
	v_cndmask_b32_e64 v37, v126, v125, s[18:19]
	v_cndmask_b32_e64 v39, v124, v123, s[16:17]
	v_cmp_ge_i32_e64 s[16:17], v135, v107
	s_waitcnt lgkmcnt(0)
	v_cmp_lt_i64_e64 s[18:19], v[52:53], v[46:47]
	v_cndmask_b32_e64 v24, v40, v44, s[22:23]
	v_cndmask_b32_e64 v40, v121, v122, s[14:15]
	v_cmp_gt_i32_e64 s[14:15], s33, v134
	s_or_b64 s[16:17], s[16:17], s[18:19]
	s_and_b64 s[14:15], s[14:15], s[16:17]
	v_cndmask_b32_e64 v26, v34, v36, s[20:21]
	v_cndmask_b32_e64 v25, v41, v45, s[22:23]
	;; [unrolled: 1-line block ×6, first 2 shown]
	s_barrier
	ds_write2_b64 v1, v[16:17], v[18:19] offset1:1
	ds_write2_b64 v1, v[10:11], v[14:15] offset0:2 offset1:3
	ds_write2_b64 v1, v[8:9], v[12:13] offset0:4 offset1:5
	ds_write2_b64 v1, v[4:5], v[6:7] offset0:6 offset1:7
	v_lshlrev_b32_e32 v4, 3, v40
	v_lshlrev_b32_e32 v5, 3, v39
	;; [unrolled: 1-line block ×8, first 2 shown]
	s_waitcnt lgkmcnt(0)
	s_barrier
	ds_read_b64 v[8:9], v4
	ds_read_b64 v[10:11], v5
	;; [unrolled: 1-line block ×8, first 2 shown]
	s_add_i32 s95, s95, 1
	v_cndmask_b32_e64 v31, v49, v51, s[26:27]
	v_cndmask_b32_e64 v30, v48, v50, s[26:27]
	;; [unrolled: 1-line block ×4, first 2 shown]
	s_cmp_eq_u32 s95, 10
	v_cndmask_b32_e64 v34, v46, v52, s[14:15]
	s_cbranch_scc1 .LBB149_258
.LBB149_2:                              ; =>This Loop Header: Depth=1
                                        ;     Child Loop BB149_4 Depth 2
                                        ;     Child Loop BB149_36 Depth 2
	;; [unrolled: 1-line block ×8, first 2 shown]
	v_cmp_lt_i64_e64 s[14:15], v[28:29], v[20:21]
	v_cmp_lt_i64_e64 s[16:17], v[26:27], v[22:23]
	;; [unrolled: 1-line block ×4, first 2 shown]
	v_cndmask_b32_e64 v37, v21, v29, s[14:15]
	v_cndmask_b32_e64 v36, v20, v28, s[14:15]
	;; [unrolled: 1-line block ×16, first 2 shown]
	v_cmp_lt_i64_e64 s[22:23], v[22:23], v[20:21]
	v_cmp_lt_i64_e64 s[24:25], v[24:25], v[28:29]
	;; [unrolled: 1-line block ×3, first 2 shown]
	v_cndmask_b32_e64 v35, v23, v21, s[22:23]
	v_cndmask_b32_e64 v34, v22, v20, s[22:23]
	;; [unrolled: 1-line block ×12, first 2 shown]
	v_cmp_lt_i64_e64 s[28:29], v[20:21], v[36:37]
	v_cmp_lt_i64_e64 s[30:31], v[24:25], v[34:35]
	;; [unrolled: 1-line block ×4, first 2 shown]
	v_cndmask_b32_e64 v33, v37, v21, s[28:29]
	v_cndmask_b32_e64 v32, v36, v20, s[28:29]
	;; [unrolled: 1-line block ×16, first 2 shown]
	v_cmp_lt_i64_e64 s[38:39], v[24:25], v[20:21]
	v_cmp_lt_i64_e64 s[40:41], v[22:23], v[36:37]
	v_cmp_lt_i64_e64 s[42:43], v[28:29], v[34:35]
	v_cndmask_b32_e64 v31, v25, v21, s[38:39]
	v_cndmask_b32_e64 v30, v24, v20, s[38:39]
	v_cndmask_b32_e64 v21, v21, v25, s[38:39]
	v_cndmask_b32_e64 v20, v20, v24, s[38:39]
	v_cndmask_b32_e64 v25, v23, v37, s[40:41]
	v_cndmask_b32_e64 v24, v22, v36, s[40:41]
	v_cndmask_b32_e64 v23, v37, v23, s[40:41]
	v_cndmask_b32_e64 v22, v36, v22, s[40:41]
	v_cndmask_b32_e64 v37, v29, v35, s[42:43]
	v_cndmask_b32_e64 v36, v28, v34, s[42:43]
	v_cndmask_b32_e64 v29, v35, v29, s[42:43]
	v_cndmask_b32_e64 v28, v34, v28, s[42:43]
	v_cmp_lt_i64_e64 s[44:45], v[20:21], v[32:33]
	v_cmp_lt_i64_e64 s[46:47], v[22:23], v[30:31]
	v_cmp_lt_i64_e64 s[48:49], v[28:29], v[24:25]
	v_cndmask_b32_e64 v35, v33, v21, s[44:45]
	v_cndmask_b32_e64 v34, v32, v20, s[44:45]
	v_cndmask_b32_e64 v21, v21, v33, s[44:45]
	v_cndmask_b32_e64 v20, v20, v32, s[44:45]
	v_cndmask_b32_e64 v33, v23, v31, s[46:47]
	v_cndmask_b32_e64 v32, v22, v30, s[46:47]
	v_cndmask_b32_e64 v23, v31, v23, s[46:47]
	v_cndmask_b32_e64 v22, v30, v22, s[46:47]
	v_cndmask_b32_e64 v31, v29, v25, s[48:49]
	v_cndmask_b32_e64 v30, v28, v24, s[48:49]
	v_cndmask_b32_e64 v25, v25, v29, s[48:49]
	v_cndmask_b32_e64 v24, v24, v28, s[48:49]
	;; [unrolled: 15-line block ×5, first 2 shown]
	v_cmp_lt_i64_e64 s[68:69], v[22:23], v[34:35]
	v_cmp_lt_i64_e64 s[70:71], v[26:27], v[36:37]
	s_nop 0
	v_cndmask_b32_e64 v31, v23, v35, s[68:69]
	v_cndmask_b32_e64 v30, v22, v34, s[68:69]
	;; [unrolled: 1-line block ×8, first 2 shown]
	s_barrier
	ds_write2_b64 v1, v[20:21], v[24:25] offset1:1
	ds_write2_b64 v1, v[32:33], v[22:23] offset0:2 offset1:3
	ds_write2_b64 v1, v[30:31], v[26:27] offset0:4 offset1:5
	;; [unrolled: 1-line block ×3, first 2 shown]
	v_mov_b32_e32 v24, v81
	s_waitcnt lgkmcnt(0)
	s_barrier
	s_and_saveexec_b64 s[74:75], vcc
	s_cbranch_execz .LBB149_6
; %bb.3:                                ;   in Loop: Header=BB149_2 Depth=1
	s_mov_b64 s[76:77], 0
	v_mov_b32_e32 v24, v81
	v_mov_b32_e32 v20, v78
.LBB149_4:                              ;   Parent Loop BB149_2 Depth=1
                                        ; =>  This Inner Loop Header: Depth=2
	v_sub_u32_e32 v21, v20, v24
	v_lshrrev_b32_e32 v22, 31, v21
	v_add_u32_e32 v21, v21, v22
	v_ashrrev_i32_e32 v21, 1, v21
	v_add_u32_e32 v21, v21, v24
	v_lshl_add_u32 v22, v21, 3, v63
	v_xad_u32 v23, v21, -1, v54
	v_lshl_add_u32 v25, v23, 3, v72
	ds_read_b64 v[22:23], v22
	ds_read_b64 v[26:27], v25
	v_add_u32_e32 v25, 1, v21
	s_waitcnt lgkmcnt(0)
	v_cmp_lt_i64_e64 s[72:73], v[26:27], v[22:23]
	s_nop 1
	v_cndmask_b32_e64 v20, v20, v21, s[72:73]
	v_cndmask_b32_e64 v24, v25, v24, s[72:73]
	v_cmp_ge_i32_e64 s[72:73], v24, v20
	s_or_b64 s[76:77], s[72:73], s[76:77]
	s_andn2_b64 exec, exec, s[76:77]
	s_cbranch_execnz .LBB149_4
; %bb.5:                                ;   in Loop: Header=BB149_2 Depth=1
	s_or_b64 exec, exec, s[76:77]
.LBB149_6:                              ;   in Loop: Header=BB149_2 Depth=1
	s_or_b64 exec, exec, s[74:75]
	v_sub_u32_e32 v52, v73, v24
	v_lshl_add_u32 v26, v24, 3, v63
	v_lshlrev_b32_e32 v28, 3, v52
	ds_read_b64 v[20:21], v26
	ds_read_b64 v[22:23], v28
	v_add_u32_e32 v53, v24, v3
	v_cmp_le_i32_e64 s[74:75], v61, v53
	v_cmp_gt_i32_e64 s[72:73], v62, v52
                                        ; implicit-def: $vgpr24_vgpr25
	s_waitcnt lgkmcnt(0)
	v_cmp_lt_i64_e64 s[76:77], v[22:23], v[20:21]
	s_or_b64 s[74:75], s[74:75], s[76:77]
	s_and_b64 s[72:73], s[72:73], s[74:75]
	s_xor_b64 s[74:75], s[72:73], -1
	s_and_saveexec_b64 s[76:77], s[74:75]
	s_xor_b64 s[74:75], exec, s[76:77]
	s_cbranch_execz .LBB149_8
; %bb.7:                                ;   in Loop: Header=BB149_2 Depth=1
	ds_read_b64 v[24:25], v26 offset:8
                                        ; implicit-def: $vgpr28
.LBB149_8:                              ;   in Loop: Header=BB149_2 Depth=1
	s_or_saveexec_b64 s[74:75], s[74:75]
	v_mov_b64_e32 v[26:27], v[22:23]
	s_xor_b64 exec, exec, s[74:75]
	s_cbranch_execz .LBB149_10
; %bb.9:                                ;   in Loop: Header=BB149_2 Depth=1
	ds_read_b64 v[26:27], v28 offset:8
	s_waitcnt lgkmcnt(1)
	v_mov_b64_e32 v[24:25], v[20:21]
.LBB149_10:                             ;   in Loop: Header=BB149_2 Depth=1
	s_or_b64 exec, exec, s[74:75]
	v_add_u32_e32 v29, 1, v53
	v_add_u32_e32 v28, 1, v52
	v_cndmask_b32_e64 v122, v29, v53, s[72:73]
	v_cndmask_b32_e64 v121, v52, v28, s[72:73]
	v_cmp_ge_i32_e64 s[76:77], v122, v61
	s_waitcnt lgkmcnt(0)
	v_cmp_lt_i64_e64 s[78:79], v[26:27], v[24:25]
	v_cmp_lt_i32_e64 s[74:75], v121, v62
	s_or_b64 s[76:77], s[76:77], s[78:79]
	s_and_b64 s[74:75], s[74:75], s[76:77]
	s_xor_b64 s[76:77], s[74:75], -1
                                        ; implicit-def: $vgpr28_vgpr29
	s_and_saveexec_b64 s[78:79], s[76:77]
	s_xor_b64 s[76:77], exec, s[78:79]
	s_cbranch_execz .LBB149_12
; %bb.11:                               ;   in Loop: Header=BB149_2 Depth=1
	v_lshlrev_b32_e32 v28, 3, v122
	ds_read_b64 v[28:29], v28 offset:8
.LBB149_12:                             ;   in Loop: Header=BB149_2 Depth=1
	s_or_saveexec_b64 s[76:77], s[76:77]
	v_mov_b64_e32 v[30:31], v[26:27]
	s_xor_b64 exec, exec, s[76:77]
	s_cbranch_execz .LBB149_14
; %bb.13:                               ;   in Loop: Header=BB149_2 Depth=1
	s_waitcnt lgkmcnt(0)
	v_lshlrev_b32_e32 v28, 3, v121
	ds_read_b64 v[30:31], v28 offset:8
	v_mov_b64_e32 v[28:29], v[24:25]
.LBB149_14:                             ;   in Loop: Header=BB149_2 Depth=1
	s_or_b64 exec, exec, s[76:77]
	v_add_u32_e32 v33, 1, v122
	v_add_u32_e32 v32, 1, v121
	v_cndmask_b32_e64 v124, v33, v122, s[74:75]
	v_cndmask_b32_e64 v123, v121, v32, s[74:75]
	v_cmp_ge_i32_e64 s[78:79], v124, v61
	s_waitcnt lgkmcnt(0)
	v_cmp_lt_i64_e64 s[80:81], v[30:31], v[28:29]
	v_cmp_lt_i32_e64 s[76:77], v123, v62
	s_or_b64 s[78:79], s[78:79], s[80:81]
	s_and_b64 s[76:77], s[76:77], s[78:79]
	s_xor_b64 s[78:79], s[76:77], -1
                                        ; implicit-def: $vgpr32_vgpr33
	s_and_saveexec_b64 s[80:81], s[78:79]
	s_xor_b64 s[78:79], exec, s[80:81]
	s_cbranch_execz .LBB149_16
; %bb.15:                               ;   in Loop: Header=BB149_2 Depth=1
	v_lshlrev_b32_e32 v32, 3, v124
	ds_read_b64 v[32:33], v32 offset:8
.LBB149_16:                             ;   in Loop: Header=BB149_2 Depth=1
	s_or_saveexec_b64 s[78:79], s[78:79]
	v_mov_b64_e32 v[34:35], v[30:31]
	s_xor_b64 exec, exec, s[78:79]
	s_cbranch_execz .LBB149_18
; %bb.17:                               ;   in Loop: Header=BB149_2 Depth=1
	s_waitcnt lgkmcnt(0)
	v_lshlrev_b32_e32 v32, 3, v123
	ds_read_b64 v[34:35], v32 offset:8
	v_mov_b64_e32 v[32:33], v[28:29]
.LBB149_18:                             ;   in Loop: Header=BB149_2 Depth=1
	s_or_b64 exec, exec, s[78:79]
	v_add_u32_e32 v37, 1, v124
	v_add_u32_e32 v36, 1, v123
	v_cndmask_b32_e64 v126, v37, v124, s[76:77]
	v_cndmask_b32_e64 v125, v123, v36, s[76:77]
	v_cmp_ge_i32_e64 s[80:81], v126, v61
	s_waitcnt lgkmcnt(0)
	v_cmp_lt_i64_e64 s[82:83], v[34:35], v[32:33]
	v_cmp_lt_i32_e64 s[78:79], v125, v62
	s_or_b64 s[80:81], s[80:81], s[82:83]
	s_and_b64 s[78:79], s[78:79], s[80:81]
	s_xor_b64 s[80:81], s[78:79], -1
                                        ; implicit-def: $vgpr38_vgpr39
	s_and_saveexec_b64 s[82:83], s[80:81]
	s_xor_b64 s[80:81], exec, s[82:83]
	s_cbranch_execz .LBB149_20
; %bb.19:                               ;   in Loop: Header=BB149_2 Depth=1
	v_lshlrev_b32_e32 v36, 3, v126
	ds_read_b64 v[38:39], v36 offset:8
.LBB149_20:                             ;   in Loop: Header=BB149_2 Depth=1
	s_or_saveexec_b64 s[80:81], s[80:81]
	v_mov_b64_e32 v[42:43], v[34:35]
	s_xor_b64 exec, exec, s[80:81]
	s_cbranch_execz .LBB149_22
; %bb.21:                               ;   in Loop: Header=BB149_2 Depth=1
	v_lshlrev_b32_e32 v36, 3, v125
	ds_read_b64 v[42:43], v36 offset:8
	s_waitcnt lgkmcnt(1)
	v_mov_b64_e32 v[38:39], v[32:33]
.LBB149_22:                             ;   in Loop: Header=BB149_2 Depth=1
	s_or_b64 exec, exec, s[80:81]
	v_add_u32_e32 v37, 1, v126
	v_add_u32_e32 v36, 1, v125
	v_cndmask_b32_e64 v128, v37, v126, s[78:79]
	v_cndmask_b32_e64 v127, v125, v36, s[78:79]
	v_cmp_ge_i32_e64 s[82:83], v128, v61
	s_waitcnt lgkmcnt(0)
	v_cmp_lt_i64_e64 s[84:85], v[42:43], v[38:39]
	v_cmp_lt_i32_e64 s[80:81], v127, v62
	s_or_b64 s[82:83], s[82:83], s[84:85]
	s_and_b64 s[80:81], s[80:81], s[82:83]
	s_xor_b64 s[82:83], s[80:81], -1
                                        ; implicit-def: $vgpr44_vgpr45
	s_and_saveexec_b64 s[84:85], s[82:83]
	s_xor_b64 s[82:83], exec, s[84:85]
	s_cbranch_execz .LBB149_24
; %bb.23:                               ;   in Loop: Header=BB149_2 Depth=1
	v_lshlrev_b32_e32 v36, 3, v128
	ds_read_b64 v[44:45], v36 offset:8
.LBB149_24:                             ;   in Loop: Header=BB149_2 Depth=1
	s_or_saveexec_b64 s[82:83], s[82:83]
	v_mov_b64_e32 v[46:47], v[42:43]
	s_xor_b64 exec, exec, s[82:83]
	s_cbranch_execz .LBB149_26
; %bb.25:                               ;   in Loop: Header=BB149_2 Depth=1
	v_lshlrev_b32_e32 v36, 3, v127
	ds_read_b64 v[46:47], v36 offset:8
	s_waitcnt lgkmcnt(1)
	v_mov_b64_e32 v[44:45], v[38:39]
.LBB149_26:                             ;   in Loop: Header=BB149_2 Depth=1
	s_or_b64 exec, exec, s[82:83]
	v_add_u32_e32 v37, 1, v128
	v_add_u32_e32 v36, 1, v127
	v_cndmask_b32_e64 v130, v37, v128, s[80:81]
	v_cndmask_b32_e64 v129, v127, v36, s[80:81]
	v_cmp_ge_i32_e64 s[84:85], v130, v61
	s_waitcnt lgkmcnt(0)
	v_cmp_lt_i64_e64 s[86:87], v[46:47], v[44:45]
	v_cmp_lt_i32_e64 s[82:83], v129, v62
	s_or_b64 s[84:85], s[84:85], s[86:87]
	s_and_b64 s[82:83], s[82:83], s[84:85]
	s_xor_b64 s[84:85], s[82:83], -1
                                        ; implicit-def: $vgpr48_vgpr49
	s_and_saveexec_b64 s[86:87], s[84:85]
	s_xor_b64 s[84:85], exec, s[86:87]
	s_cbranch_execz .LBB149_28
; %bb.27:                               ;   in Loop: Header=BB149_2 Depth=1
	v_lshlrev_b32_e32 v36, 3, v130
	ds_read_b64 v[48:49], v36 offset:8
.LBB149_28:                             ;   in Loop: Header=BB149_2 Depth=1
	s_or_saveexec_b64 s[84:85], s[84:85]
	v_mov_b64_e32 v[50:51], v[46:47]
	s_xor_b64 exec, exec, s[84:85]
	s_cbranch_execz .LBB149_30
; %bb.29:                               ;   in Loop: Header=BB149_2 Depth=1
	v_lshlrev_b32_e32 v36, 3, v129
	ds_read_b64 v[50:51], v36 offset:8
	s_waitcnt lgkmcnt(1)
	v_mov_b64_e32 v[48:49], v[44:45]
.LBB149_30:                             ;   in Loop: Header=BB149_2 Depth=1
	s_or_b64 exec, exec, s[84:85]
	v_add_u32_e32 v37, 1, v130
	v_add_u32_e32 v36, 1, v129
	v_cndmask_b32_e64 v132, v37, v130, s[82:83]
	v_cndmask_b32_e64 v131, v129, v36, s[82:83]
	v_cmp_ge_i32_e64 s[86:87], v132, v61
	s_waitcnt lgkmcnt(0)
	v_cmp_lt_i64_e64 s[88:89], v[50:51], v[48:49]
	v_cmp_lt_i32_e64 s[84:85], v131, v62
	s_or_b64 s[86:87], s[86:87], s[88:89]
	s_and_b64 s[84:85], s[84:85], s[86:87]
	s_xor_b64 s[86:87], s[84:85], -1
                                        ; implicit-def: $vgpr36_vgpr37
	s_and_saveexec_b64 s[88:89], s[86:87]
	s_xor_b64 s[86:87], exec, s[88:89]
	s_cbranch_execz .LBB149_32
; %bb.31:                               ;   in Loop: Header=BB149_2 Depth=1
	v_lshlrev_b32_e32 v36, 3, v132
	ds_read_b64 v[36:37], v36 offset:8
.LBB149_32:                             ;   in Loop: Header=BB149_2 Depth=1
	s_or_saveexec_b64 s[86:87], s[86:87]
	v_mov_b64_e32 v[40:41], v[50:51]
	s_xor_b64 exec, exec, s[86:87]
	s_cbranch_execz .LBB149_34
; %bb.33:                               ;   in Loop: Header=BB149_2 Depth=1
	s_waitcnt lgkmcnt(0)
	v_lshlrev_b32_e32 v36, 3, v131
	ds_read_b64 v[40:41], v36 offset:8
	v_mov_b64_e32 v[36:37], v[48:49]
.LBB149_34:                             ;   in Loop: Header=BB149_2 Depth=1
	s_or_b64 exec, exec, s[86:87]
	v_cndmask_b32_e64 v21, v21, v23, s[72:73]
	v_cndmask_b32_e64 v20, v20, v22, s[72:73]
	;; [unrolled: 1-line block ×47, first 2 shown]
	v_add_u32_e32 v51, 1, v132
	v_cndmask_b32_e64 v18, v11, v5, s[38:39]
	v_cndmask_b32_e64 v19, v10, v4, s[38:39]
	;; [unrolled: 1-line block ×13, first 2 shown]
	v_add_u32_e32 v50, 1, v131
	v_cndmask_b32_e64 v51, v51, v132, s[84:85]
	v_cndmask_b32_e64 v16, v13, v4, s[44:45]
	;; [unrolled: 1-line block ×28, first 2 shown]
	v_cmp_ge_i32_e64 s[16:17], v51, v61
	s_waitcnt lgkmcnt(0)
	v_cmp_lt_i64_e64 s[18:19], v[40:41], v[36:37]
	v_cndmask_b32_e64 v12, v9, v19, s[56:57]
	v_cndmask_b32_e64 v13, v8, v18, s[56:57]
	;; [unrolled: 1-line block ×12, first 2 shown]
	v_cmp_lt_i32_e64 s[14:15], v50, v62
	s_or_b64 s[16:17], s[16:17], s[18:19]
	v_cndmask_b32_e64 v45, v45, v47, s[82:83]
	v_cndmask_b32_e64 v39, v39, v43, s[80:81]
	;; [unrolled: 1-line block ×22, first 2 shown]
	s_and_b64 s[14:15], s[14:15], s[16:17]
	v_cndmask_b32_e64 v131, v132, v131, s[84:85]
	v_cndmask_b32_e64 v44, v44, v46, s[82:83]
	;; [unrolled: 1-line block ×14, first 2 shown]
	s_barrier
	ds_write2_b64 v1, v[4:5], v[10:11] offset1:1
	ds_write2_b64 v1, v[8:9], v[14:15] offset0:2 offset1:3
	ds_write2_b64 v1, v[12:13], v[18:19] offset0:4 offset1:5
	;; [unrolled: 1-line block ×3, first 2 shown]
	v_lshlrev_b32_e32 v4, 3, v27
	v_lshlrev_b32_e32 v5, 3, v26
	;; [unrolled: 1-line block ×4, first 2 shown]
	s_waitcnt lgkmcnt(0)
	s_barrier
	ds_read_b64 v[16:17], v4
	ds_read_b64 v[18:19], v5
	;; [unrolled: 1-line block ×4, first 2 shown]
	v_lshlrev_b32_e32 v4, 3, v42
	v_lshlrev_b32_e32 v5, 3, v46
	;; [unrolled: 1-line block ×4, first 2 shown]
	ds_read_b64 v[8:9], v4
	ds_read_b64 v[12:13], v5
	;; [unrolled: 1-line block ×4, first 2 shown]
	v_cndmask_b32_e64 v23, v37, v41, s[14:15]
	v_cndmask_b32_e64 v22, v36, v40, s[14:15]
	s_waitcnt lgkmcnt(0)
	s_barrier
	ds_write2_b64 v1, v[20:21], v[24:25] offset1:1
	ds_write2_b64 v1, v[28:29], v[32:33] offset0:2 offset1:3
	ds_write2_b64 v1, v[38:39], v[44:45] offset0:4 offset1:5
	;; [unrolled: 1-line block ×3, first 2 shown]
	v_mov_b32_e32 v24, v82
	s_waitcnt lgkmcnt(0)
	s_barrier
	s_and_saveexec_b64 s[16:17], s[0:1]
	s_cbranch_execz .LBB149_38
; %bb.35:                               ;   in Loop: Header=BB149_2 Depth=1
	s_mov_b64 s[18:19], 0
	v_mov_b32_e32 v24, v82
	v_mov_b32_e32 v20, v79
.LBB149_36:                             ;   Parent Loop BB149_2 Depth=1
                                        ; =>  This Inner Loop Header: Depth=2
	v_sub_u32_e32 v21, v20, v24
	v_lshrrev_b32_e32 v22, 31, v21
	v_add_u32_e32 v21, v21, v22
	v_ashrrev_i32_e32 v21, 1, v21
	v_add_u32_e32 v21, v21, v24
	v_lshl_add_u32 v22, v21, 3, v66
	v_xad_u32 v23, v21, -1, v56
	v_lshl_add_u32 v25, v23, 3, v74
	ds_read_b64 v[22:23], v22
	ds_read_b64 v[26:27], v25
	v_add_u32_e32 v25, 1, v21
	s_waitcnt lgkmcnt(0)
	v_cmp_lt_i64_e64 s[14:15], v[26:27], v[22:23]
	s_nop 1
	v_cndmask_b32_e64 v20, v20, v21, s[14:15]
	v_cndmask_b32_e64 v24, v25, v24, s[14:15]
	v_cmp_ge_i32_e64 s[14:15], v24, v20
	s_or_b64 s[18:19], s[14:15], s[18:19]
	s_andn2_b64 exec, exec, s[18:19]
	s_cbranch_execnz .LBB149_36
; %bb.37:                               ;   in Loop: Header=BB149_2 Depth=1
	s_or_b64 exec, exec, s[18:19]
.LBB149_38:                             ;   in Loop: Header=BB149_2 Depth=1
	s_or_b64 exec, exec, s[16:17]
	v_sub_u32_e32 v52, v75, v24
	v_lshl_add_u32 v26, v24, 3, v66
	v_lshlrev_b32_e32 v28, 3, v52
	ds_read_b64 v[20:21], v26
	ds_read_b64 v[22:23], v28
	v_add_u32_e32 v53, v24, v55
	v_cmp_le_i32_e64 s[16:17], v64, v53
	v_cmp_gt_i32_e64 s[14:15], v65, v52
                                        ; implicit-def: $vgpr24_vgpr25
	s_waitcnt lgkmcnt(0)
	v_cmp_lt_i64_e64 s[18:19], v[22:23], v[20:21]
	s_or_b64 s[16:17], s[16:17], s[18:19]
	s_and_b64 s[14:15], s[14:15], s[16:17]
	s_xor_b64 s[16:17], s[14:15], -1
	s_and_saveexec_b64 s[18:19], s[16:17]
	s_xor_b64 s[16:17], exec, s[18:19]
	s_cbranch_execz .LBB149_40
; %bb.39:                               ;   in Loop: Header=BB149_2 Depth=1
	ds_read_b64 v[24:25], v26 offset:8
                                        ; implicit-def: $vgpr28
.LBB149_40:                             ;   in Loop: Header=BB149_2 Depth=1
	s_or_saveexec_b64 s[16:17], s[16:17]
	v_mov_b64_e32 v[26:27], v[22:23]
	s_xor_b64 exec, exec, s[16:17]
	s_cbranch_execz .LBB149_42
; %bb.41:                               ;   in Loop: Header=BB149_2 Depth=1
	ds_read_b64 v[26:27], v28 offset:8
	s_waitcnt lgkmcnt(1)
	v_mov_b64_e32 v[24:25], v[20:21]
.LBB149_42:                             ;   in Loop: Header=BB149_2 Depth=1
	s_or_b64 exec, exec, s[16:17]
	v_add_u32_e32 v29, 1, v53
	v_add_u32_e32 v28, 1, v52
	v_cndmask_b32_e64 v122, v29, v53, s[14:15]
	v_cndmask_b32_e64 v121, v52, v28, s[14:15]
	v_cmp_ge_i32_e64 s[18:19], v122, v64
	s_waitcnt lgkmcnt(0)
	v_cmp_lt_i64_e64 s[20:21], v[26:27], v[24:25]
	v_cmp_lt_i32_e64 s[16:17], v121, v65
	s_or_b64 s[18:19], s[18:19], s[20:21]
	s_and_b64 s[16:17], s[16:17], s[18:19]
	s_xor_b64 s[18:19], s[16:17], -1
                                        ; implicit-def: $vgpr28_vgpr29
	s_and_saveexec_b64 s[20:21], s[18:19]
	s_xor_b64 s[18:19], exec, s[20:21]
	s_cbranch_execz .LBB149_44
; %bb.43:                               ;   in Loop: Header=BB149_2 Depth=1
	v_lshlrev_b32_e32 v28, 3, v122
	ds_read_b64 v[28:29], v28 offset:8
.LBB149_44:                             ;   in Loop: Header=BB149_2 Depth=1
	s_or_saveexec_b64 s[18:19], s[18:19]
	v_mov_b64_e32 v[30:31], v[26:27]
	s_xor_b64 exec, exec, s[18:19]
	s_cbranch_execz .LBB149_46
; %bb.45:                               ;   in Loop: Header=BB149_2 Depth=1
	s_waitcnt lgkmcnt(0)
	v_lshlrev_b32_e32 v28, 3, v121
	ds_read_b64 v[30:31], v28 offset:8
	v_mov_b64_e32 v[28:29], v[24:25]
.LBB149_46:                             ;   in Loop: Header=BB149_2 Depth=1
	s_or_b64 exec, exec, s[18:19]
	v_add_u32_e32 v33, 1, v122
	v_add_u32_e32 v32, 1, v121
	v_cndmask_b32_e64 v124, v33, v122, s[16:17]
	v_cndmask_b32_e64 v123, v121, v32, s[16:17]
	v_cmp_ge_i32_e64 s[20:21], v124, v64
	s_waitcnt lgkmcnt(0)
	v_cmp_lt_i64_e64 s[22:23], v[30:31], v[28:29]
	v_cmp_lt_i32_e64 s[18:19], v123, v65
	s_or_b64 s[20:21], s[20:21], s[22:23]
	s_and_b64 s[18:19], s[18:19], s[20:21]
	s_xor_b64 s[20:21], s[18:19], -1
                                        ; implicit-def: $vgpr32_vgpr33
	s_and_saveexec_b64 s[22:23], s[20:21]
	s_xor_b64 s[20:21], exec, s[22:23]
	s_cbranch_execz .LBB149_48
; %bb.47:                               ;   in Loop: Header=BB149_2 Depth=1
	v_lshlrev_b32_e32 v32, 3, v124
	ds_read_b64 v[32:33], v32 offset:8
.LBB149_48:                             ;   in Loop: Header=BB149_2 Depth=1
	s_or_saveexec_b64 s[20:21], s[20:21]
	v_mov_b64_e32 v[34:35], v[30:31]
	s_xor_b64 exec, exec, s[20:21]
	s_cbranch_execz .LBB149_50
; %bb.49:                               ;   in Loop: Header=BB149_2 Depth=1
	s_waitcnt lgkmcnt(0)
	v_lshlrev_b32_e32 v32, 3, v123
	ds_read_b64 v[34:35], v32 offset:8
	v_mov_b64_e32 v[32:33], v[28:29]
.LBB149_50:                             ;   in Loop: Header=BB149_2 Depth=1
	s_or_b64 exec, exec, s[20:21]
	v_add_u32_e32 v37, 1, v124
	v_add_u32_e32 v36, 1, v123
	v_cndmask_b32_e64 v126, v37, v124, s[18:19]
	v_cndmask_b32_e64 v125, v123, v36, s[18:19]
	v_cmp_ge_i32_e64 s[22:23], v126, v64
	s_waitcnt lgkmcnt(0)
	v_cmp_lt_i64_e64 s[24:25], v[34:35], v[32:33]
	v_cmp_lt_i32_e64 s[20:21], v125, v65
	s_or_b64 s[22:23], s[22:23], s[24:25]
	s_and_b64 s[20:21], s[20:21], s[22:23]
	s_xor_b64 s[22:23], s[20:21], -1
                                        ; implicit-def: $vgpr36_vgpr37
	s_and_saveexec_b64 s[24:25], s[22:23]
	s_xor_b64 s[22:23], exec, s[24:25]
	s_cbranch_execz .LBB149_52
; %bb.51:                               ;   in Loop: Header=BB149_2 Depth=1
	v_lshlrev_b32_e32 v36, 3, v126
	ds_read_b64 v[36:37], v36 offset:8
.LBB149_52:                             ;   in Loop: Header=BB149_2 Depth=1
	s_or_saveexec_b64 s[22:23], s[22:23]
	v_mov_b64_e32 v[38:39], v[34:35]
	s_xor_b64 exec, exec, s[22:23]
	s_cbranch_execz .LBB149_54
; %bb.53:                               ;   in Loop: Header=BB149_2 Depth=1
	s_waitcnt lgkmcnt(0)
	v_lshlrev_b32_e32 v36, 3, v125
	ds_read_b64 v[38:39], v36 offset:8
	v_mov_b64_e32 v[36:37], v[32:33]
.LBB149_54:                             ;   in Loop: Header=BB149_2 Depth=1
	s_or_b64 exec, exec, s[22:23]
	v_add_u32_e32 v41, 1, v126
	v_add_u32_e32 v40, 1, v125
	v_cndmask_b32_e64 v128, v41, v126, s[20:21]
	v_cndmask_b32_e64 v127, v125, v40, s[20:21]
	v_cmp_ge_i32_e64 s[24:25], v128, v64
	s_waitcnt lgkmcnt(0)
	v_cmp_lt_i64_e64 s[26:27], v[38:39], v[36:37]
	v_cmp_lt_i32_e64 s[22:23], v127, v65
	s_or_b64 s[24:25], s[24:25], s[26:27]
	s_and_b64 s[22:23], s[22:23], s[24:25]
	s_xor_b64 s[24:25], s[22:23], -1
                                        ; implicit-def: $vgpr40_vgpr41
	s_and_saveexec_b64 s[26:27], s[24:25]
	s_xor_b64 s[24:25], exec, s[26:27]
	s_cbranch_execz .LBB149_56
; %bb.55:                               ;   in Loop: Header=BB149_2 Depth=1
	v_lshlrev_b32_e32 v40, 3, v128
	ds_read_b64 v[40:41], v40 offset:8
.LBB149_56:                             ;   in Loop: Header=BB149_2 Depth=1
	s_or_saveexec_b64 s[24:25], s[24:25]
	v_mov_b64_e32 v[42:43], v[38:39]
	s_xor_b64 exec, exec, s[24:25]
	s_cbranch_execz .LBB149_58
; %bb.57:                               ;   in Loop: Header=BB149_2 Depth=1
	s_waitcnt lgkmcnt(0)
	v_lshlrev_b32_e32 v40, 3, v127
	ds_read_b64 v[42:43], v40 offset:8
	v_mov_b64_e32 v[40:41], v[36:37]
.LBB149_58:                             ;   in Loop: Header=BB149_2 Depth=1
	s_or_b64 exec, exec, s[24:25]
	v_add_u32_e32 v45, 1, v128
	v_add_u32_e32 v44, 1, v127
	v_cndmask_b32_e64 v130, v45, v128, s[22:23]
	v_cndmask_b32_e64 v129, v127, v44, s[22:23]
	v_cmp_ge_i32_e64 s[26:27], v130, v64
	s_waitcnt lgkmcnt(0)
	v_cmp_lt_i64_e64 s[28:29], v[42:43], v[40:41]
	v_cmp_lt_i32_e64 s[24:25], v129, v65
	s_or_b64 s[26:27], s[26:27], s[28:29]
	s_and_b64 s[24:25], s[24:25], s[26:27]
	s_xor_b64 s[26:27], s[24:25], -1
                                        ; implicit-def: $vgpr44_vgpr45
	s_and_saveexec_b64 s[28:29], s[26:27]
	s_xor_b64 s[26:27], exec, s[28:29]
	s_cbranch_execz .LBB149_60
; %bb.59:                               ;   in Loop: Header=BB149_2 Depth=1
	v_lshlrev_b32_e32 v44, 3, v130
	ds_read_b64 v[44:45], v44 offset:8
.LBB149_60:                             ;   in Loop: Header=BB149_2 Depth=1
	s_or_saveexec_b64 s[26:27], s[26:27]
	v_mov_b64_e32 v[48:49], v[42:43]
	s_xor_b64 exec, exec, s[26:27]
	s_cbranch_execz .LBB149_62
; %bb.61:                               ;   in Loop: Header=BB149_2 Depth=1
	s_waitcnt lgkmcnt(0)
	v_lshlrev_b32_e32 v44, 3, v129
	ds_read_b64 v[48:49], v44 offset:8
	v_mov_b64_e32 v[44:45], v[40:41]
.LBB149_62:                             ;   in Loop: Header=BB149_2 Depth=1
	s_or_b64 exec, exec, s[26:27]
	v_add_u32_e32 v47, 1, v130
	v_add_u32_e32 v46, 1, v129
	v_cndmask_b32_e64 v132, v47, v130, s[24:25]
	v_cndmask_b32_e64 v131, v129, v46, s[24:25]
	v_cmp_ge_i32_e64 s[28:29], v132, v64
	s_waitcnt lgkmcnt(0)
	v_cmp_lt_i64_e64 s[30:31], v[48:49], v[44:45]
	v_cmp_lt_i32_e64 s[26:27], v131, v65
	s_or_b64 s[28:29], s[28:29], s[30:31]
	s_and_b64 s[26:27], s[26:27], s[28:29]
	s_xor_b64 s[28:29], s[26:27], -1
                                        ; implicit-def: $vgpr46_vgpr47
	s_and_saveexec_b64 s[30:31], s[28:29]
	s_xor_b64 s[28:29], exec, s[30:31]
	s_cbranch_execz .LBB149_64
; %bb.63:                               ;   in Loop: Header=BB149_2 Depth=1
	v_lshlrev_b32_e32 v46, 3, v132
	ds_read_b64 v[46:47], v46 offset:8
.LBB149_64:                             ;   in Loop: Header=BB149_2 Depth=1
	s_or_saveexec_b64 s[28:29], s[28:29]
	v_mov_b64_e32 v[50:51], v[48:49]
	s_xor_b64 exec, exec, s[28:29]
	s_cbranch_execz .LBB149_66
; %bb.65:                               ;   in Loop: Header=BB149_2 Depth=1
	s_waitcnt lgkmcnt(0)
	v_lshlrev_b32_e32 v46, 3, v131
	ds_read_b64 v[50:51], v46 offset:8
	v_mov_b64_e32 v[46:47], v[44:45]
.LBB149_66:                             ;   in Loop: Header=BB149_2 Depth=1
	s_or_b64 exec, exec, s[28:29]
	v_cndmask_b32_e64 v45, v45, v49, s[26:27]
	v_add_u32_e32 v49, 1, v132
	v_cndmask_b32_e64 v44, v44, v48, s[26:27]
	v_add_u32_e32 v48, 1, v131
	v_cndmask_b32_e64 v49, v49, v132, s[26:27]
	v_cndmask_b32_e64 v48, v131, v48, s[26:27]
	;; [unrolled: 1-line block ×8, first 2 shown]
	v_cmp_ge_i32_e64 s[16:17], v49, v64
	s_waitcnt lgkmcnt(0)
	v_cmp_lt_i64_e64 s[18:19], v[50:51], v[46:47]
	v_cndmask_b32_e64 v21, v21, v23, s[14:15]
	v_cndmask_b32_e64 v20, v20, v22, s[14:15]
	;; [unrolled: 1-line block ×3, first 2 shown]
	v_cmp_lt_i32_e64 s[14:15], v48, v65
	s_or_b64 s[16:17], s[16:17], s[18:19]
	v_cndmask_b32_e64 v32, v32, v34, s[20:21]
	v_cndmask_b32_e64 v34, v126, v125, s[20:21]
	s_and_b64 s[14:15], s[14:15], s[16:17]
	v_cndmask_b32_e64 v131, v132, v131, s[26:27]
	v_cndmask_b32_e64 v40, v40, v42, s[24:25]
	;; [unrolled: 1-line block ×6, first 2 shown]
	s_barrier
	ds_write2_b64 v1, v[16:17], v[18:19] offset1:1
	ds_write2_b64 v1, v[10:11], v[14:15] offset0:2 offset1:3
	ds_write2_b64 v1, v[8:9], v[12:13] offset0:4 offset1:5
	;; [unrolled: 1-line block ×3, first 2 shown]
	v_lshlrev_b32_e32 v4, 3, v27
	v_lshlrev_b32_e32 v5, 3, v26
	;; [unrolled: 1-line block ×4, first 2 shown]
	s_waitcnt lgkmcnt(0)
	s_barrier
	ds_read_b64 v[16:17], v4
	ds_read_b64 v[18:19], v5
	;; [unrolled: 1-line block ×4, first 2 shown]
	v_lshlrev_b32_e32 v4, 3, v38
	v_lshlrev_b32_e32 v5, 3, v42
	;; [unrolled: 1-line block ×4, first 2 shown]
	ds_read_b64 v[8:9], v4
	ds_read_b64 v[12:13], v5
	ds_read_b64 v[4:5], v6
	ds_read_b64 v[6:7], v7
	v_cndmask_b32_e64 v41, v41, v43, s[24:25]
	v_cndmask_b32_e64 v37, v37, v39, s[22:23]
	;; [unrolled: 1-line block ×5, first 2 shown]
	s_waitcnt lgkmcnt(0)
	s_barrier
	ds_write2_b64 v1, v[20:21], v[24:25] offset1:1
	ds_write2_b64 v1, v[28:29], v[32:33] offset0:2 offset1:3
	ds_write2_b64 v1, v[36:37], v[40:41] offset0:4 offset1:5
	;; [unrolled: 1-line block ×3, first 2 shown]
	v_mov_b32_e32 v24, v83
	s_waitcnt lgkmcnt(0)
	s_barrier
	s_and_saveexec_b64 s[16:17], s[2:3]
	s_cbranch_execz .LBB149_70
; %bb.67:                               ;   in Loop: Header=BB149_2 Depth=1
	s_mov_b64 s[18:19], 0
	v_mov_b32_e32 v24, v83
	v_mov_b32_e32 v20, v80
.LBB149_68:                             ;   Parent Loop BB149_2 Depth=1
                                        ; =>  This Inner Loop Header: Depth=2
	v_sub_u32_e32 v21, v20, v24
	v_lshrrev_b32_e32 v22, 31, v21
	v_add_u32_e32 v21, v21, v22
	v_ashrrev_i32_e32 v21, 1, v21
	v_add_u32_e32 v21, v21, v24
	v_lshl_add_u32 v22, v21, 3, v69
	v_xad_u32 v23, v21, -1, v58
	v_lshl_add_u32 v25, v23, 3, v76
	ds_read_b64 v[22:23], v22
	ds_read_b64 v[26:27], v25
	v_add_u32_e32 v25, 1, v21
	s_waitcnt lgkmcnt(0)
	v_cmp_lt_i64_e64 s[14:15], v[26:27], v[22:23]
	s_nop 1
	v_cndmask_b32_e64 v20, v20, v21, s[14:15]
	v_cndmask_b32_e64 v24, v25, v24, s[14:15]
	v_cmp_ge_i32_e64 s[14:15], v24, v20
	s_or_b64 s[18:19], s[14:15], s[18:19]
	s_andn2_b64 exec, exec, s[18:19]
	s_cbranch_execnz .LBB149_68
; %bb.69:                               ;   in Loop: Header=BB149_2 Depth=1
	s_or_b64 exec, exec, s[18:19]
.LBB149_70:                             ;   in Loop: Header=BB149_2 Depth=1
	s_or_b64 exec, exec, s[16:17]
	v_sub_u32_e32 v52, v77, v24
	v_lshl_add_u32 v26, v24, 3, v69
	v_lshlrev_b32_e32 v28, 3, v52
	ds_read_b64 v[20:21], v26
	ds_read_b64 v[22:23], v28
	v_add_u32_e32 v53, v24, v57
	v_cmp_le_i32_e64 s[16:17], v67, v53
	v_cmp_gt_i32_e64 s[14:15], v68, v52
                                        ; implicit-def: $vgpr24_vgpr25
	s_waitcnt lgkmcnt(0)
	v_cmp_lt_i64_e64 s[18:19], v[22:23], v[20:21]
	s_or_b64 s[16:17], s[16:17], s[18:19]
	s_and_b64 s[14:15], s[14:15], s[16:17]
	s_xor_b64 s[16:17], s[14:15], -1
	s_and_saveexec_b64 s[18:19], s[16:17]
	s_xor_b64 s[16:17], exec, s[18:19]
	s_cbranch_execz .LBB149_72
; %bb.71:                               ;   in Loop: Header=BB149_2 Depth=1
	ds_read_b64 v[24:25], v26 offset:8
                                        ; implicit-def: $vgpr28
.LBB149_72:                             ;   in Loop: Header=BB149_2 Depth=1
	s_or_saveexec_b64 s[16:17], s[16:17]
	v_mov_b64_e32 v[26:27], v[22:23]
	s_xor_b64 exec, exec, s[16:17]
	s_cbranch_execz .LBB149_74
; %bb.73:                               ;   in Loop: Header=BB149_2 Depth=1
	ds_read_b64 v[26:27], v28 offset:8
	s_waitcnt lgkmcnt(1)
	v_mov_b64_e32 v[24:25], v[20:21]
.LBB149_74:                             ;   in Loop: Header=BB149_2 Depth=1
	s_or_b64 exec, exec, s[16:17]
	v_add_u32_e32 v29, 1, v53
	v_add_u32_e32 v28, 1, v52
	v_cndmask_b32_e64 v122, v29, v53, s[14:15]
	v_cndmask_b32_e64 v121, v52, v28, s[14:15]
	v_cmp_ge_i32_e64 s[18:19], v122, v67
	s_waitcnt lgkmcnt(0)
	v_cmp_lt_i64_e64 s[20:21], v[26:27], v[24:25]
	v_cmp_lt_i32_e64 s[16:17], v121, v68
	s_or_b64 s[18:19], s[18:19], s[20:21]
	s_and_b64 s[16:17], s[16:17], s[18:19]
	s_xor_b64 s[18:19], s[16:17], -1
                                        ; implicit-def: $vgpr28_vgpr29
	s_and_saveexec_b64 s[20:21], s[18:19]
	s_xor_b64 s[18:19], exec, s[20:21]
	s_cbranch_execz .LBB149_76
; %bb.75:                               ;   in Loop: Header=BB149_2 Depth=1
	v_lshlrev_b32_e32 v28, 3, v122
	ds_read_b64 v[28:29], v28 offset:8
.LBB149_76:                             ;   in Loop: Header=BB149_2 Depth=1
	s_or_saveexec_b64 s[18:19], s[18:19]
	v_mov_b64_e32 v[30:31], v[26:27]
	s_xor_b64 exec, exec, s[18:19]
	s_cbranch_execz .LBB149_78
; %bb.77:                               ;   in Loop: Header=BB149_2 Depth=1
	s_waitcnt lgkmcnt(0)
	v_lshlrev_b32_e32 v28, 3, v121
	ds_read_b64 v[30:31], v28 offset:8
	v_mov_b64_e32 v[28:29], v[24:25]
.LBB149_78:                             ;   in Loop: Header=BB149_2 Depth=1
	s_or_b64 exec, exec, s[18:19]
	v_add_u32_e32 v33, 1, v122
	v_add_u32_e32 v32, 1, v121
	v_cndmask_b32_e64 v124, v33, v122, s[16:17]
	v_cndmask_b32_e64 v123, v121, v32, s[16:17]
	v_cmp_ge_i32_e64 s[20:21], v124, v67
	s_waitcnt lgkmcnt(0)
	v_cmp_lt_i64_e64 s[22:23], v[30:31], v[28:29]
	v_cmp_lt_i32_e64 s[18:19], v123, v68
	s_or_b64 s[20:21], s[20:21], s[22:23]
	s_and_b64 s[18:19], s[18:19], s[20:21]
	s_xor_b64 s[20:21], s[18:19], -1
                                        ; implicit-def: $vgpr32_vgpr33
	s_and_saveexec_b64 s[22:23], s[20:21]
	s_xor_b64 s[20:21], exec, s[22:23]
	s_cbranch_execz .LBB149_80
; %bb.79:                               ;   in Loop: Header=BB149_2 Depth=1
	v_lshlrev_b32_e32 v32, 3, v124
	ds_read_b64 v[32:33], v32 offset:8
.LBB149_80:                             ;   in Loop: Header=BB149_2 Depth=1
	s_or_saveexec_b64 s[20:21], s[20:21]
	v_mov_b64_e32 v[34:35], v[30:31]
	s_xor_b64 exec, exec, s[20:21]
	s_cbranch_execz .LBB149_82
; %bb.81:                               ;   in Loop: Header=BB149_2 Depth=1
	s_waitcnt lgkmcnt(0)
	v_lshlrev_b32_e32 v32, 3, v123
	ds_read_b64 v[34:35], v32 offset:8
	v_mov_b64_e32 v[32:33], v[28:29]
.LBB149_82:                             ;   in Loop: Header=BB149_2 Depth=1
	s_or_b64 exec, exec, s[20:21]
	v_add_u32_e32 v37, 1, v124
	v_add_u32_e32 v36, 1, v123
	v_cndmask_b32_e64 v126, v37, v124, s[18:19]
	v_cndmask_b32_e64 v125, v123, v36, s[18:19]
	v_cmp_ge_i32_e64 s[22:23], v126, v67
	s_waitcnt lgkmcnt(0)
	v_cmp_lt_i64_e64 s[24:25], v[34:35], v[32:33]
	v_cmp_lt_i32_e64 s[20:21], v125, v68
	s_or_b64 s[22:23], s[22:23], s[24:25]
	s_and_b64 s[20:21], s[20:21], s[22:23]
	s_xor_b64 s[22:23], s[20:21], -1
                                        ; implicit-def: $vgpr36_vgpr37
	s_and_saveexec_b64 s[24:25], s[22:23]
	s_xor_b64 s[22:23], exec, s[24:25]
	s_cbranch_execz .LBB149_84
; %bb.83:                               ;   in Loop: Header=BB149_2 Depth=1
	v_lshlrev_b32_e32 v36, 3, v126
	ds_read_b64 v[36:37], v36 offset:8
.LBB149_84:                             ;   in Loop: Header=BB149_2 Depth=1
	s_or_saveexec_b64 s[22:23], s[22:23]
	v_mov_b64_e32 v[38:39], v[34:35]
	s_xor_b64 exec, exec, s[22:23]
	s_cbranch_execz .LBB149_86
; %bb.85:                               ;   in Loop: Header=BB149_2 Depth=1
	s_waitcnt lgkmcnt(0)
	v_lshlrev_b32_e32 v36, 3, v125
	ds_read_b64 v[38:39], v36 offset:8
	v_mov_b64_e32 v[36:37], v[32:33]
.LBB149_86:                             ;   in Loop: Header=BB149_2 Depth=1
	s_or_b64 exec, exec, s[22:23]
	v_add_u32_e32 v41, 1, v126
	v_add_u32_e32 v40, 1, v125
	v_cndmask_b32_e64 v128, v41, v126, s[20:21]
	v_cndmask_b32_e64 v127, v125, v40, s[20:21]
	v_cmp_ge_i32_e64 s[24:25], v128, v67
	s_waitcnt lgkmcnt(0)
	v_cmp_lt_i64_e64 s[26:27], v[38:39], v[36:37]
	v_cmp_lt_i32_e64 s[22:23], v127, v68
	s_or_b64 s[24:25], s[24:25], s[26:27]
	s_and_b64 s[22:23], s[22:23], s[24:25]
	s_xor_b64 s[24:25], s[22:23], -1
                                        ; implicit-def: $vgpr40_vgpr41
	s_and_saveexec_b64 s[26:27], s[24:25]
	s_xor_b64 s[24:25], exec, s[26:27]
	s_cbranch_execz .LBB149_88
; %bb.87:                               ;   in Loop: Header=BB149_2 Depth=1
	v_lshlrev_b32_e32 v40, 3, v128
	ds_read_b64 v[40:41], v40 offset:8
.LBB149_88:                             ;   in Loop: Header=BB149_2 Depth=1
	s_or_saveexec_b64 s[24:25], s[24:25]
	v_mov_b64_e32 v[42:43], v[38:39]
	s_xor_b64 exec, exec, s[24:25]
	s_cbranch_execz .LBB149_90
; %bb.89:                               ;   in Loop: Header=BB149_2 Depth=1
	s_waitcnt lgkmcnt(0)
	v_lshlrev_b32_e32 v40, 3, v127
	ds_read_b64 v[42:43], v40 offset:8
	v_mov_b64_e32 v[40:41], v[36:37]
.LBB149_90:                             ;   in Loop: Header=BB149_2 Depth=1
	s_or_b64 exec, exec, s[24:25]
	v_add_u32_e32 v45, 1, v128
	v_add_u32_e32 v44, 1, v127
	v_cndmask_b32_e64 v130, v45, v128, s[22:23]
	v_cndmask_b32_e64 v129, v127, v44, s[22:23]
	v_cmp_ge_i32_e64 s[26:27], v130, v67
	s_waitcnt lgkmcnt(0)
	v_cmp_lt_i64_e64 s[28:29], v[42:43], v[40:41]
	v_cmp_lt_i32_e64 s[24:25], v129, v68
	s_or_b64 s[26:27], s[26:27], s[28:29]
	s_and_b64 s[24:25], s[24:25], s[26:27]
	s_xor_b64 s[26:27], s[24:25], -1
                                        ; implicit-def: $vgpr44_vgpr45
	s_and_saveexec_b64 s[28:29], s[26:27]
	s_xor_b64 s[26:27], exec, s[28:29]
	s_cbranch_execz .LBB149_92
; %bb.91:                               ;   in Loop: Header=BB149_2 Depth=1
	v_lshlrev_b32_e32 v44, 3, v130
	ds_read_b64 v[44:45], v44 offset:8
.LBB149_92:                             ;   in Loop: Header=BB149_2 Depth=1
	s_or_saveexec_b64 s[26:27], s[26:27]
	v_mov_b64_e32 v[48:49], v[42:43]
	s_xor_b64 exec, exec, s[26:27]
	s_cbranch_execz .LBB149_94
; %bb.93:                               ;   in Loop: Header=BB149_2 Depth=1
	s_waitcnt lgkmcnt(0)
	v_lshlrev_b32_e32 v44, 3, v129
	ds_read_b64 v[48:49], v44 offset:8
	v_mov_b64_e32 v[44:45], v[40:41]
.LBB149_94:                             ;   in Loop: Header=BB149_2 Depth=1
	s_or_b64 exec, exec, s[26:27]
	v_add_u32_e32 v47, 1, v130
	v_add_u32_e32 v46, 1, v129
	v_cndmask_b32_e64 v132, v47, v130, s[24:25]
	v_cndmask_b32_e64 v131, v129, v46, s[24:25]
	v_cmp_ge_i32_e64 s[28:29], v132, v67
	s_waitcnt lgkmcnt(0)
	v_cmp_lt_i64_e64 s[30:31], v[48:49], v[44:45]
	v_cmp_lt_i32_e64 s[26:27], v131, v68
	s_or_b64 s[28:29], s[28:29], s[30:31]
	s_and_b64 s[26:27], s[26:27], s[28:29]
	s_xor_b64 s[28:29], s[26:27], -1
                                        ; implicit-def: $vgpr46_vgpr47
	s_and_saveexec_b64 s[30:31], s[28:29]
	s_xor_b64 s[28:29], exec, s[30:31]
	s_cbranch_execz .LBB149_96
; %bb.95:                               ;   in Loop: Header=BB149_2 Depth=1
	v_lshlrev_b32_e32 v46, 3, v132
	ds_read_b64 v[46:47], v46 offset:8
.LBB149_96:                             ;   in Loop: Header=BB149_2 Depth=1
	s_or_saveexec_b64 s[28:29], s[28:29]
	v_mov_b64_e32 v[50:51], v[48:49]
	s_xor_b64 exec, exec, s[28:29]
	s_cbranch_execz .LBB149_98
; %bb.97:                               ;   in Loop: Header=BB149_2 Depth=1
	s_waitcnt lgkmcnt(0)
	v_lshlrev_b32_e32 v46, 3, v131
	ds_read_b64 v[50:51], v46 offset:8
	v_mov_b64_e32 v[46:47], v[44:45]
.LBB149_98:                             ;   in Loop: Header=BB149_2 Depth=1
	s_or_b64 exec, exec, s[28:29]
	v_cndmask_b32_e64 v45, v45, v49, s[26:27]
	v_add_u32_e32 v49, 1, v132
	v_cndmask_b32_e64 v44, v44, v48, s[26:27]
	v_add_u32_e32 v48, 1, v131
	v_cndmask_b32_e64 v49, v49, v132, s[26:27]
	v_cndmask_b32_e64 v48, v131, v48, s[26:27]
	;; [unrolled: 1-line block ×8, first 2 shown]
	v_cmp_ge_i32_e64 s[16:17], v49, v67
	s_waitcnt lgkmcnt(0)
	v_cmp_lt_i64_e64 s[18:19], v[50:51], v[46:47]
	v_cndmask_b32_e64 v21, v21, v23, s[14:15]
	v_cndmask_b32_e64 v20, v20, v22, s[14:15]
	;; [unrolled: 1-line block ×3, first 2 shown]
	v_cmp_lt_i32_e64 s[14:15], v48, v68
	s_or_b64 s[16:17], s[16:17], s[18:19]
	v_cndmask_b32_e64 v32, v32, v34, s[20:21]
	v_cndmask_b32_e64 v34, v126, v125, s[20:21]
	s_and_b64 s[14:15], s[14:15], s[16:17]
	v_cndmask_b32_e64 v131, v132, v131, s[26:27]
	v_cndmask_b32_e64 v40, v40, v42, s[24:25]
	;; [unrolled: 1-line block ×6, first 2 shown]
	s_barrier
	ds_write2_b64 v1, v[16:17], v[18:19] offset1:1
	ds_write2_b64 v1, v[10:11], v[14:15] offset0:2 offset1:3
	ds_write2_b64 v1, v[8:9], v[12:13] offset0:4 offset1:5
	;; [unrolled: 1-line block ×3, first 2 shown]
	v_lshlrev_b32_e32 v4, 3, v27
	v_lshlrev_b32_e32 v5, 3, v26
	v_lshlrev_b32_e32 v6, 3, v30
	v_lshlrev_b32_e32 v7, 3, v34
	s_waitcnt lgkmcnt(0)
	s_barrier
	ds_read_b64 v[16:17], v4
	ds_read_b64 v[18:19], v5
	;; [unrolled: 1-line block ×4, first 2 shown]
	v_lshlrev_b32_e32 v4, 3, v38
	v_lshlrev_b32_e32 v5, 3, v42
	;; [unrolled: 1-line block ×4, first 2 shown]
	ds_read_b64 v[8:9], v4
	ds_read_b64 v[12:13], v5
	;; [unrolled: 1-line block ×4, first 2 shown]
	v_cndmask_b32_e64 v41, v41, v43, s[24:25]
	v_cndmask_b32_e64 v37, v37, v39, s[22:23]
	;; [unrolled: 1-line block ×5, first 2 shown]
	s_waitcnt lgkmcnt(0)
	s_barrier
	ds_write2_b64 v1, v[20:21], v[24:25] offset1:1
	ds_write2_b64 v1, v[28:29], v[32:33] offset0:2 offset1:3
	ds_write2_b64 v1, v[36:37], v[40:41] offset0:4 offset1:5
	;; [unrolled: 1-line block ×3, first 2 shown]
	v_mov_b32_e32 v24, v86
	s_waitcnt lgkmcnt(0)
	s_barrier
	s_and_saveexec_b64 s[16:17], s[4:5]
	s_cbranch_execz .LBB149_102
; %bb.99:                               ;   in Loop: Header=BB149_2 Depth=1
	s_mov_b64 s[18:19], 0
	v_mov_b32_e32 v24, v86
	v_mov_b32_e32 v20, v87
.LBB149_100:                            ;   Parent Loop BB149_2 Depth=1
                                        ; =>  This Inner Loop Header: Depth=2
	v_sub_u32_e32 v21, v20, v24
	v_lshrrev_b32_e32 v22, 31, v21
	v_add_u32_e32 v21, v21, v22
	v_ashrrev_i32_e32 v21, 1, v21
	v_add_u32_e32 v21, v21, v24
	v_lshl_add_u32 v22, v21, 3, v84
	v_xad_u32 v23, v21, -1, v60
	v_lshl_add_u32 v25, v23, 3, v85
	ds_read_b64 v[22:23], v22
	ds_read_b64 v[26:27], v25
	v_add_u32_e32 v25, 1, v21
	s_waitcnt lgkmcnt(0)
	v_cmp_lt_i64_e64 s[14:15], v[26:27], v[22:23]
	s_nop 1
	v_cndmask_b32_e64 v20, v20, v21, s[14:15]
	v_cndmask_b32_e64 v24, v25, v24, s[14:15]
	v_cmp_ge_i32_e64 s[14:15], v24, v20
	s_or_b64 s[18:19], s[14:15], s[18:19]
	s_andn2_b64 exec, exec, s[18:19]
	s_cbranch_execnz .LBB149_100
; %bb.101:                              ;   in Loop: Header=BB149_2 Depth=1
	s_or_b64 exec, exec, s[18:19]
.LBB149_102:                            ;   in Loop: Header=BB149_2 Depth=1
	s_or_b64 exec, exec, s[16:17]
	v_sub_u32_e32 v52, v88, v24
	v_lshl_add_u32 v26, v24, 3, v84
	v_lshlrev_b32_e32 v28, 3, v52
	ds_read_b64 v[20:21], v26
	ds_read_b64 v[22:23], v28
	v_add_u32_e32 v53, v24, v59
	v_cmp_le_i32_e64 s[16:17], v70, v53
	v_cmp_gt_i32_e64 s[14:15], v71, v52
                                        ; implicit-def: $vgpr24_vgpr25
	s_waitcnt lgkmcnt(0)
	v_cmp_lt_i64_e64 s[18:19], v[22:23], v[20:21]
	s_or_b64 s[16:17], s[16:17], s[18:19]
	s_and_b64 s[14:15], s[14:15], s[16:17]
	s_xor_b64 s[16:17], s[14:15], -1
	s_and_saveexec_b64 s[18:19], s[16:17]
	s_xor_b64 s[16:17], exec, s[18:19]
	s_cbranch_execz .LBB149_104
; %bb.103:                              ;   in Loop: Header=BB149_2 Depth=1
	ds_read_b64 v[24:25], v26 offset:8
                                        ; implicit-def: $vgpr28
.LBB149_104:                            ;   in Loop: Header=BB149_2 Depth=1
	s_or_saveexec_b64 s[16:17], s[16:17]
	v_mov_b64_e32 v[26:27], v[22:23]
	s_xor_b64 exec, exec, s[16:17]
	s_cbranch_execz .LBB149_106
; %bb.105:                              ;   in Loop: Header=BB149_2 Depth=1
	ds_read_b64 v[26:27], v28 offset:8
	s_waitcnt lgkmcnt(1)
	v_mov_b64_e32 v[24:25], v[20:21]
.LBB149_106:                            ;   in Loop: Header=BB149_2 Depth=1
	s_or_b64 exec, exec, s[16:17]
	v_add_u32_e32 v29, 1, v53
	v_add_u32_e32 v28, 1, v52
	v_cndmask_b32_e64 v122, v29, v53, s[14:15]
	v_cndmask_b32_e64 v121, v52, v28, s[14:15]
	v_cmp_ge_i32_e64 s[18:19], v122, v70
	s_waitcnt lgkmcnt(0)
	v_cmp_lt_i64_e64 s[20:21], v[26:27], v[24:25]
	v_cmp_lt_i32_e64 s[16:17], v121, v71
	s_or_b64 s[18:19], s[18:19], s[20:21]
	s_and_b64 s[16:17], s[16:17], s[18:19]
	s_xor_b64 s[18:19], s[16:17], -1
                                        ; implicit-def: $vgpr28_vgpr29
	s_and_saveexec_b64 s[20:21], s[18:19]
	s_xor_b64 s[18:19], exec, s[20:21]
	s_cbranch_execz .LBB149_108
; %bb.107:                              ;   in Loop: Header=BB149_2 Depth=1
	v_lshlrev_b32_e32 v28, 3, v122
	ds_read_b64 v[28:29], v28 offset:8
.LBB149_108:                            ;   in Loop: Header=BB149_2 Depth=1
	s_or_saveexec_b64 s[18:19], s[18:19]
	v_mov_b64_e32 v[30:31], v[26:27]
	s_xor_b64 exec, exec, s[18:19]
	s_cbranch_execz .LBB149_110
; %bb.109:                              ;   in Loop: Header=BB149_2 Depth=1
	s_waitcnt lgkmcnt(0)
	v_lshlrev_b32_e32 v28, 3, v121
	ds_read_b64 v[30:31], v28 offset:8
	v_mov_b64_e32 v[28:29], v[24:25]
.LBB149_110:                            ;   in Loop: Header=BB149_2 Depth=1
	s_or_b64 exec, exec, s[18:19]
	v_add_u32_e32 v33, 1, v122
	v_add_u32_e32 v32, 1, v121
	v_cndmask_b32_e64 v124, v33, v122, s[16:17]
	v_cndmask_b32_e64 v123, v121, v32, s[16:17]
	v_cmp_ge_i32_e64 s[20:21], v124, v70
	s_waitcnt lgkmcnt(0)
	v_cmp_lt_i64_e64 s[22:23], v[30:31], v[28:29]
	v_cmp_lt_i32_e64 s[18:19], v123, v71
	s_or_b64 s[20:21], s[20:21], s[22:23]
	s_and_b64 s[18:19], s[18:19], s[20:21]
	s_xor_b64 s[20:21], s[18:19], -1
                                        ; implicit-def: $vgpr32_vgpr33
	s_and_saveexec_b64 s[22:23], s[20:21]
	s_xor_b64 s[20:21], exec, s[22:23]
	s_cbranch_execz .LBB149_112
; %bb.111:                              ;   in Loop: Header=BB149_2 Depth=1
	v_lshlrev_b32_e32 v32, 3, v124
	ds_read_b64 v[32:33], v32 offset:8
.LBB149_112:                            ;   in Loop: Header=BB149_2 Depth=1
	s_or_saveexec_b64 s[20:21], s[20:21]
	v_mov_b64_e32 v[34:35], v[30:31]
	s_xor_b64 exec, exec, s[20:21]
	s_cbranch_execz .LBB149_114
; %bb.113:                              ;   in Loop: Header=BB149_2 Depth=1
	s_waitcnt lgkmcnt(0)
	v_lshlrev_b32_e32 v32, 3, v123
	ds_read_b64 v[34:35], v32 offset:8
	v_mov_b64_e32 v[32:33], v[28:29]
.LBB149_114:                            ;   in Loop: Header=BB149_2 Depth=1
	s_or_b64 exec, exec, s[20:21]
	v_add_u32_e32 v37, 1, v124
	v_add_u32_e32 v36, 1, v123
	v_cndmask_b32_e64 v126, v37, v124, s[18:19]
	v_cndmask_b32_e64 v125, v123, v36, s[18:19]
	v_cmp_ge_i32_e64 s[22:23], v126, v70
	s_waitcnt lgkmcnt(0)
	v_cmp_lt_i64_e64 s[24:25], v[34:35], v[32:33]
	v_cmp_lt_i32_e64 s[20:21], v125, v71
	s_or_b64 s[22:23], s[22:23], s[24:25]
	s_and_b64 s[20:21], s[20:21], s[22:23]
	s_xor_b64 s[22:23], s[20:21], -1
                                        ; implicit-def: $vgpr36_vgpr37
	s_and_saveexec_b64 s[24:25], s[22:23]
	s_xor_b64 s[22:23], exec, s[24:25]
	s_cbranch_execz .LBB149_116
; %bb.115:                              ;   in Loop: Header=BB149_2 Depth=1
	v_lshlrev_b32_e32 v36, 3, v126
	ds_read_b64 v[36:37], v36 offset:8
.LBB149_116:                            ;   in Loop: Header=BB149_2 Depth=1
	s_or_saveexec_b64 s[22:23], s[22:23]
	v_mov_b64_e32 v[38:39], v[34:35]
	s_xor_b64 exec, exec, s[22:23]
	s_cbranch_execz .LBB149_118
; %bb.117:                              ;   in Loop: Header=BB149_2 Depth=1
	s_waitcnt lgkmcnt(0)
	v_lshlrev_b32_e32 v36, 3, v125
	ds_read_b64 v[38:39], v36 offset:8
	v_mov_b64_e32 v[36:37], v[32:33]
.LBB149_118:                            ;   in Loop: Header=BB149_2 Depth=1
	s_or_b64 exec, exec, s[22:23]
	v_add_u32_e32 v41, 1, v126
	v_add_u32_e32 v40, 1, v125
	v_cndmask_b32_e64 v128, v41, v126, s[20:21]
	v_cndmask_b32_e64 v127, v125, v40, s[20:21]
	v_cmp_ge_i32_e64 s[24:25], v128, v70
	s_waitcnt lgkmcnt(0)
	v_cmp_lt_i64_e64 s[26:27], v[38:39], v[36:37]
	v_cmp_lt_i32_e64 s[22:23], v127, v71
	s_or_b64 s[24:25], s[24:25], s[26:27]
	s_and_b64 s[22:23], s[22:23], s[24:25]
	s_xor_b64 s[24:25], s[22:23], -1
                                        ; implicit-def: $vgpr40_vgpr41
	s_and_saveexec_b64 s[26:27], s[24:25]
	s_xor_b64 s[24:25], exec, s[26:27]
	s_cbranch_execz .LBB149_120
; %bb.119:                              ;   in Loop: Header=BB149_2 Depth=1
	v_lshlrev_b32_e32 v40, 3, v128
	ds_read_b64 v[40:41], v40 offset:8
.LBB149_120:                            ;   in Loop: Header=BB149_2 Depth=1
	s_or_saveexec_b64 s[24:25], s[24:25]
	v_mov_b64_e32 v[42:43], v[38:39]
	s_xor_b64 exec, exec, s[24:25]
	s_cbranch_execz .LBB149_122
; %bb.121:                              ;   in Loop: Header=BB149_2 Depth=1
	s_waitcnt lgkmcnt(0)
	v_lshlrev_b32_e32 v40, 3, v127
	ds_read_b64 v[42:43], v40 offset:8
	v_mov_b64_e32 v[40:41], v[36:37]
.LBB149_122:                            ;   in Loop: Header=BB149_2 Depth=1
	s_or_b64 exec, exec, s[24:25]
	v_add_u32_e32 v45, 1, v128
	v_add_u32_e32 v44, 1, v127
	v_cndmask_b32_e64 v130, v45, v128, s[22:23]
	v_cndmask_b32_e64 v129, v127, v44, s[22:23]
	v_cmp_ge_i32_e64 s[26:27], v130, v70
	s_waitcnt lgkmcnt(0)
	v_cmp_lt_i64_e64 s[28:29], v[42:43], v[40:41]
	v_cmp_lt_i32_e64 s[24:25], v129, v71
	s_or_b64 s[26:27], s[26:27], s[28:29]
	s_and_b64 s[24:25], s[24:25], s[26:27]
	s_xor_b64 s[26:27], s[24:25], -1
                                        ; implicit-def: $vgpr44_vgpr45
	s_and_saveexec_b64 s[28:29], s[26:27]
	s_xor_b64 s[26:27], exec, s[28:29]
	s_cbranch_execz .LBB149_124
; %bb.123:                              ;   in Loop: Header=BB149_2 Depth=1
	v_lshlrev_b32_e32 v44, 3, v130
	ds_read_b64 v[44:45], v44 offset:8
.LBB149_124:                            ;   in Loop: Header=BB149_2 Depth=1
	s_or_saveexec_b64 s[26:27], s[26:27]
	v_mov_b64_e32 v[48:49], v[42:43]
	s_xor_b64 exec, exec, s[26:27]
	s_cbranch_execz .LBB149_126
; %bb.125:                              ;   in Loop: Header=BB149_2 Depth=1
	s_waitcnt lgkmcnt(0)
	v_lshlrev_b32_e32 v44, 3, v129
	ds_read_b64 v[48:49], v44 offset:8
	v_mov_b64_e32 v[44:45], v[40:41]
.LBB149_126:                            ;   in Loop: Header=BB149_2 Depth=1
	s_or_b64 exec, exec, s[26:27]
	v_add_u32_e32 v47, 1, v130
	v_add_u32_e32 v46, 1, v129
	v_cndmask_b32_e64 v132, v47, v130, s[24:25]
	v_cndmask_b32_e64 v131, v129, v46, s[24:25]
	v_cmp_ge_i32_e64 s[28:29], v132, v70
	s_waitcnt lgkmcnt(0)
	v_cmp_lt_i64_e64 s[30:31], v[48:49], v[44:45]
	v_cmp_lt_i32_e64 s[26:27], v131, v71
	s_or_b64 s[28:29], s[28:29], s[30:31]
	s_and_b64 s[26:27], s[26:27], s[28:29]
	s_xor_b64 s[28:29], s[26:27], -1
                                        ; implicit-def: $vgpr46_vgpr47
	s_and_saveexec_b64 s[30:31], s[28:29]
	s_xor_b64 s[28:29], exec, s[30:31]
	s_cbranch_execz .LBB149_128
; %bb.127:                              ;   in Loop: Header=BB149_2 Depth=1
	v_lshlrev_b32_e32 v46, 3, v132
	ds_read_b64 v[46:47], v46 offset:8
.LBB149_128:                            ;   in Loop: Header=BB149_2 Depth=1
	s_or_saveexec_b64 s[28:29], s[28:29]
	v_mov_b64_e32 v[50:51], v[48:49]
	s_xor_b64 exec, exec, s[28:29]
	s_cbranch_execz .LBB149_130
; %bb.129:                              ;   in Loop: Header=BB149_2 Depth=1
	s_waitcnt lgkmcnt(0)
	v_lshlrev_b32_e32 v46, 3, v131
	ds_read_b64 v[50:51], v46 offset:8
	v_mov_b64_e32 v[46:47], v[44:45]
.LBB149_130:                            ;   in Loop: Header=BB149_2 Depth=1
	s_or_b64 exec, exec, s[28:29]
	v_cndmask_b32_e64 v45, v45, v49, s[26:27]
	v_add_u32_e32 v49, 1, v132
	v_cndmask_b32_e64 v44, v44, v48, s[26:27]
	v_add_u32_e32 v48, 1, v131
	v_cndmask_b32_e64 v49, v49, v132, s[26:27]
	v_cndmask_b32_e64 v48, v131, v48, s[26:27]
	;; [unrolled: 1-line block ×8, first 2 shown]
	v_cmp_ge_i32_e64 s[16:17], v49, v70
	s_waitcnt lgkmcnt(0)
	v_cmp_lt_i64_e64 s[18:19], v[50:51], v[46:47]
	v_cndmask_b32_e64 v21, v21, v23, s[14:15]
	v_cndmask_b32_e64 v20, v20, v22, s[14:15]
	v_cndmask_b32_e64 v27, v53, v52, s[14:15]
	v_cmp_lt_i32_e64 s[14:15], v48, v71
	s_or_b64 s[16:17], s[16:17], s[18:19]
	v_cndmask_b32_e64 v32, v32, v34, s[20:21]
	v_cndmask_b32_e64 v34, v126, v125, s[20:21]
	s_and_b64 s[14:15], s[14:15], s[16:17]
	v_cndmask_b32_e64 v131, v132, v131, s[26:27]
	v_cndmask_b32_e64 v40, v40, v42, s[24:25]
	;; [unrolled: 1-line block ×6, first 2 shown]
	s_barrier
	ds_write2_b64 v1, v[16:17], v[18:19] offset1:1
	ds_write2_b64 v1, v[10:11], v[14:15] offset0:2 offset1:3
	ds_write2_b64 v1, v[8:9], v[12:13] offset0:4 offset1:5
	;; [unrolled: 1-line block ×3, first 2 shown]
	v_lshlrev_b32_e32 v4, 3, v27
	v_lshlrev_b32_e32 v5, 3, v26
	;; [unrolled: 1-line block ×4, first 2 shown]
	s_waitcnt lgkmcnt(0)
	s_barrier
	ds_read_b64 v[16:17], v4
	ds_read_b64 v[18:19], v5
	ds_read_b64 v[10:11], v6
	ds_read_b64 v[14:15], v7
	v_lshlrev_b32_e32 v4, 3, v38
	v_lshlrev_b32_e32 v5, 3, v42
	;; [unrolled: 1-line block ×4, first 2 shown]
	ds_read_b64 v[8:9], v4
	ds_read_b64 v[12:13], v5
	;; [unrolled: 1-line block ×4, first 2 shown]
	v_cndmask_b32_e64 v41, v41, v43, s[24:25]
	v_cndmask_b32_e64 v37, v37, v39, s[22:23]
	;; [unrolled: 1-line block ×5, first 2 shown]
	s_waitcnt lgkmcnt(0)
	s_barrier
	ds_write2_b64 v1, v[20:21], v[24:25] offset1:1
	ds_write2_b64 v1, v[28:29], v[32:33] offset0:2 offset1:3
	ds_write2_b64 v1, v[36:37], v[40:41] offset0:4 offset1:5
	;; [unrolled: 1-line block ×3, first 2 shown]
	v_mov_b32_e32 v24, v95
	s_waitcnt lgkmcnt(0)
	s_barrier
	s_and_saveexec_b64 s[16:17], s[6:7]
	s_cbranch_execz .LBB149_134
; %bb.131:                              ;   in Loop: Header=BB149_2 Depth=1
	s_mov_b64 s[18:19], 0
	v_mov_b32_e32 v24, v95
	v_mov_b32_e32 v20, v96
.LBB149_132:                            ;   Parent Loop BB149_2 Depth=1
                                        ; =>  This Inner Loop Header: Depth=2
	v_sub_u32_e32 v21, v20, v24
	v_lshrrev_b32_e32 v22, 31, v21
	v_add_u32_e32 v21, v21, v22
	v_ashrrev_i32_e32 v21, 1, v21
	v_add_u32_e32 v21, v21, v24
	v_lshl_add_u32 v22, v21, 3, v93
	v_xad_u32 v23, v21, -1, v90
	v_lshl_add_u32 v25, v23, 3, v94
	ds_read_b64 v[22:23], v22
	ds_read_b64 v[26:27], v25
	v_add_u32_e32 v25, 1, v21
	s_waitcnt lgkmcnt(0)
	v_cmp_lt_i64_e64 s[14:15], v[26:27], v[22:23]
	s_nop 1
	v_cndmask_b32_e64 v20, v20, v21, s[14:15]
	v_cndmask_b32_e64 v24, v25, v24, s[14:15]
	v_cmp_ge_i32_e64 s[14:15], v24, v20
	s_or_b64 s[18:19], s[14:15], s[18:19]
	s_andn2_b64 exec, exec, s[18:19]
	s_cbranch_execnz .LBB149_132
; %bb.133:                              ;   in Loop: Header=BB149_2 Depth=1
	s_or_b64 exec, exec, s[18:19]
.LBB149_134:                            ;   in Loop: Header=BB149_2 Depth=1
	s_or_b64 exec, exec, s[16:17]
	v_sub_u32_e32 v52, v97, v24
	v_lshl_add_u32 v26, v24, 3, v93
	v_lshlrev_b32_e32 v28, 3, v52
	ds_read_b64 v[20:21], v26
	ds_read_b64 v[22:23], v28
	v_add_u32_e32 v53, v24, v89
	v_cmp_le_i32_e64 s[16:17], v91, v53
	v_cmp_gt_i32_e64 s[14:15], v92, v52
                                        ; implicit-def: $vgpr24_vgpr25
	s_waitcnt lgkmcnt(0)
	v_cmp_lt_i64_e64 s[18:19], v[22:23], v[20:21]
	s_or_b64 s[16:17], s[16:17], s[18:19]
	s_and_b64 s[14:15], s[14:15], s[16:17]
	s_xor_b64 s[16:17], s[14:15], -1
	s_and_saveexec_b64 s[18:19], s[16:17]
	s_xor_b64 s[16:17], exec, s[18:19]
	s_cbranch_execz .LBB149_136
; %bb.135:                              ;   in Loop: Header=BB149_2 Depth=1
	ds_read_b64 v[24:25], v26 offset:8
                                        ; implicit-def: $vgpr28
.LBB149_136:                            ;   in Loop: Header=BB149_2 Depth=1
	s_or_saveexec_b64 s[16:17], s[16:17]
	v_mov_b64_e32 v[26:27], v[22:23]
	s_xor_b64 exec, exec, s[16:17]
	s_cbranch_execz .LBB149_138
; %bb.137:                              ;   in Loop: Header=BB149_2 Depth=1
	ds_read_b64 v[26:27], v28 offset:8
	s_waitcnt lgkmcnt(1)
	v_mov_b64_e32 v[24:25], v[20:21]
.LBB149_138:                            ;   in Loop: Header=BB149_2 Depth=1
	s_or_b64 exec, exec, s[16:17]
	v_add_u32_e32 v29, 1, v53
	v_add_u32_e32 v28, 1, v52
	v_cndmask_b32_e64 v122, v29, v53, s[14:15]
	v_cndmask_b32_e64 v121, v52, v28, s[14:15]
	v_cmp_ge_i32_e64 s[18:19], v122, v91
	s_waitcnt lgkmcnt(0)
	v_cmp_lt_i64_e64 s[20:21], v[26:27], v[24:25]
	v_cmp_lt_i32_e64 s[16:17], v121, v92
	s_or_b64 s[18:19], s[18:19], s[20:21]
	s_and_b64 s[16:17], s[16:17], s[18:19]
	s_xor_b64 s[18:19], s[16:17], -1
                                        ; implicit-def: $vgpr28_vgpr29
	s_and_saveexec_b64 s[20:21], s[18:19]
	s_xor_b64 s[18:19], exec, s[20:21]
	s_cbranch_execz .LBB149_140
; %bb.139:                              ;   in Loop: Header=BB149_2 Depth=1
	v_lshlrev_b32_e32 v28, 3, v122
	ds_read_b64 v[28:29], v28 offset:8
.LBB149_140:                            ;   in Loop: Header=BB149_2 Depth=1
	s_or_saveexec_b64 s[18:19], s[18:19]
	v_mov_b64_e32 v[30:31], v[26:27]
	s_xor_b64 exec, exec, s[18:19]
	s_cbranch_execz .LBB149_142
; %bb.141:                              ;   in Loop: Header=BB149_2 Depth=1
	s_waitcnt lgkmcnt(0)
	v_lshlrev_b32_e32 v28, 3, v121
	ds_read_b64 v[30:31], v28 offset:8
	v_mov_b64_e32 v[28:29], v[24:25]
.LBB149_142:                            ;   in Loop: Header=BB149_2 Depth=1
	s_or_b64 exec, exec, s[18:19]
	v_add_u32_e32 v33, 1, v122
	v_add_u32_e32 v32, 1, v121
	v_cndmask_b32_e64 v124, v33, v122, s[16:17]
	v_cndmask_b32_e64 v123, v121, v32, s[16:17]
	v_cmp_ge_i32_e64 s[20:21], v124, v91
	s_waitcnt lgkmcnt(0)
	v_cmp_lt_i64_e64 s[22:23], v[30:31], v[28:29]
	v_cmp_lt_i32_e64 s[18:19], v123, v92
	s_or_b64 s[20:21], s[20:21], s[22:23]
	s_and_b64 s[18:19], s[18:19], s[20:21]
	s_xor_b64 s[20:21], s[18:19], -1
                                        ; implicit-def: $vgpr32_vgpr33
	s_and_saveexec_b64 s[22:23], s[20:21]
	s_xor_b64 s[20:21], exec, s[22:23]
	s_cbranch_execz .LBB149_144
; %bb.143:                              ;   in Loop: Header=BB149_2 Depth=1
	v_lshlrev_b32_e32 v32, 3, v124
	ds_read_b64 v[32:33], v32 offset:8
.LBB149_144:                            ;   in Loop: Header=BB149_2 Depth=1
	s_or_saveexec_b64 s[20:21], s[20:21]
	v_mov_b64_e32 v[34:35], v[30:31]
	s_xor_b64 exec, exec, s[20:21]
	s_cbranch_execz .LBB149_146
; %bb.145:                              ;   in Loop: Header=BB149_2 Depth=1
	s_waitcnt lgkmcnt(0)
	v_lshlrev_b32_e32 v32, 3, v123
	ds_read_b64 v[34:35], v32 offset:8
	v_mov_b64_e32 v[32:33], v[28:29]
.LBB149_146:                            ;   in Loop: Header=BB149_2 Depth=1
	s_or_b64 exec, exec, s[20:21]
	v_add_u32_e32 v37, 1, v124
	v_add_u32_e32 v36, 1, v123
	v_cndmask_b32_e64 v126, v37, v124, s[18:19]
	v_cndmask_b32_e64 v125, v123, v36, s[18:19]
	v_cmp_ge_i32_e64 s[22:23], v126, v91
	s_waitcnt lgkmcnt(0)
	v_cmp_lt_i64_e64 s[24:25], v[34:35], v[32:33]
	v_cmp_lt_i32_e64 s[20:21], v125, v92
	s_or_b64 s[22:23], s[22:23], s[24:25]
	s_and_b64 s[20:21], s[20:21], s[22:23]
	s_xor_b64 s[22:23], s[20:21], -1
                                        ; implicit-def: $vgpr36_vgpr37
	s_and_saveexec_b64 s[24:25], s[22:23]
	s_xor_b64 s[22:23], exec, s[24:25]
	s_cbranch_execz .LBB149_148
; %bb.147:                              ;   in Loop: Header=BB149_2 Depth=1
	v_lshlrev_b32_e32 v36, 3, v126
	ds_read_b64 v[36:37], v36 offset:8
.LBB149_148:                            ;   in Loop: Header=BB149_2 Depth=1
	s_or_saveexec_b64 s[22:23], s[22:23]
	v_mov_b64_e32 v[38:39], v[34:35]
	s_xor_b64 exec, exec, s[22:23]
	s_cbranch_execz .LBB149_150
; %bb.149:                              ;   in Loop: Header=BB149_2 Depth=1
	s_waitcnt lgkmcnt(0)
	v_lshlrev_b32_e32 v36, 3, v125
	ds_read_b64 v[38:39], v36 offset:8
	v_mov_b64_e32 v[36:37], v[32:33]
.LBB149_150:                            ;   in Loop: Header=BB149_2 Depth=1
	s_or_b64 exec, exec, s[22:23]
	v_add_u32_e32 v41, 1, v126
	v_add_u32_e32 v40, 1, v125
	v_cndmask_b32_e64 v128, v41, v126, s[20:21]
	v_cndmask_b32_e64 v127, v125, v40, s[20:21]
	v_cmp_ge_i32_e64 s[24:25], v128, v91
	s_waitcnt lgkmcnt(0)
	v_cmp_lt_i64_e64 s[26:27], v[38:39], v[36:37]
	v_cmp_lt_i32_e64 s[22:23], v127, v92
	s_or_b64 s[24:25], s[24:25], s[26:27]
	s_and_b64 s[22:23], s[22:23], s[24:25]
	s_xor_b64 s[24:25], s[22:23], -1
                                        ; implicit-def: $vgpr40_vgpr41
	s_and_saveexec_b64 s[26:27], s[24:25]
	s_xor_b64 s[24:25], exec, s[26:27]
	s_cbranch_execz .LBB149_152
; %bb.151:                              ;   in Loop: Header=BB149_2 Depth=1
	v_lshlrev_b32_e32 v40, 3, v128
	ds_read_b64 v[40:41], v40 offset:8
.LBB149_152:                            ;   in Loop: Header=BB149_2 Depth=1
	s_or_saveexec_b64 s[24:25], s[24:25]
	v_mov_b64_e32 v[42:43], v[38:39]
	s_xor_b64 exec, exec, s[24:25]
	s_cbranch_execz .LBB149_154
; %bb.153:                              ;   in Loop: Header=BB149_2 Depth=1
	s_waitcnt lgkmcnt(0)
	v_lshlrev_b32_e32 v40, 3, v127
	ds_read_b64 v[42:43], v40 offset:8
	v_mov_b64_e32 v[40:41], v[36:37]
.LBB149_154:                            ;   in Loop: Header=BB149_2 Depth=1
	s_or_b64 exec, exec, s[24:25]
	v_add_u32_e32 v45, 1, v128
	v_add_u32_e32 v44, 1, v127
	v_cndmask_b32_e64 v130, v45, v128, s[22:23]
	v_cndmask_b32_e64 v129, v127, v44, s[22:23]
	v_cmp_ge_i32_e64 s[26:27], v130, v91
	s_waitcnt lgkmcnt(0)
	v_cmp_lt_i64_e64 s[28:29], v[42:43], v[40:41]
	v_cmp_lt_i32_e64 s[24:25], v129, v92
	s_or_b64 s[26:27], s[26:27], s[28:29]
	s_and_b64 s[24:25], s[24:25], s[26:27]
	s_xor_b64 s[26:27], s[24:25], -1
                                        ; implicit-def: $vgpr44_vgpr45
	s_and_saveexec_b64 s[28:29], s[26:27]
	s_xor_b64 s[26:27], exec, s[28:29]
	s_cbranch_execz .LBB149_156
; %bb.155:                              ;   in Loop: Header=BB149_2 Depth=1
	v_lshlrev_b32_e32 v44, 3, v130
	ds_read_b64 v[44:45], v44 offset:8
.LBB149_156:                            ;   in Loop: Header=BB149_2 Depth=1
	s_or_saveexec_b64 s[26:27], s[26:27]
	v_mov_b64_e32 v[48:49], v[42:43]
	s_xor_b64 exec, exec, s[26:27]
	s_cbranch_execz .LBB149_158
; %bb.157:                              ;   in Loop: Header=BB149_2 Depth=1
	s_waitcnt lgkmcnt(0)
	v_lshlrev_b32_e32 v44, 3, v129
	ds_read_b64 v[48:49], v44 offset:8
	v_mov_b64_e32 v[44:45], v[40:41]
.LBB149_158:                            ;   in Loop: Header=BB149_2 Depth=1
	s_or_b64 exec, exec, s[26:27]
	v_add_u32_e32 v47, 1, v130
	v_add_u32_e32 v46, 1, v129
	v_cndmask_b32_e64 v132, v47, v130, s[24:25]
	v_cndmask_b32_e64 v131, v129, v46, s[24:25]
	v_cmp_ge_i32_e64 s[28:29], v132, v91
	s_waitcnt lgkmcnt(0)
	v_cmp_lt_i64_e64 s[30:31], v[48:49], v[44:45]
	v_cmp_lt_i32_e64 s[26:27], v131, v92
	s_or_b64 s[28:29], s[28:29], s[30:31]
	s_and_b64 s[26:27], s[26:27], s[28:29]
	s_xor_b64 s[28:29], s[26:27], -1
                                        ; implicit-def: $vgpr46_vgpr47
	s_and_saveexec_b64 s[30:31], s[28:29]
	s_xor_b64 s[28:29], exec, s[30:31]
	s_cbranch_execz .LBB149_160
; %bb.159:                              ;   in Loop: Header=BB149_2 Depth=1
	v_lshlrev_b32_e32 v46, 3, v132
	ds_read_b64 v[46:47], v46 offset:8
.LBB149_160:                            ;   in Loop: Header=BB149_2 Depth=1
	s_or_saveexec_b64 s[28:29], s[28:29]
	v_mov_b64_e32 v[50:51], v[48:49]
	s_xor_b64 exec, exec, s[28:29]
	s_cbranch_execz .LBB149_162
; %bb.161:                              ;   in Loop: Header=BB149_2 Depth=1
	s_waitcnt lgkmcnt(0)
	v_lshlrev_b32_e32 v46, 3, v131
	ds_read_b64 v[50:51], v46 offset:8
	v_mov_b64_e32 v[46:47], v[44:45]
.LBB149_162:                            ;   in Loop: Header=BB149_2 Depth=1
	s_or_b64 exec, exec, s[28:29]
	v_cndmask_b32_e64 v45, v45, v49, s[26:27]
	v_add_u32_e32 v49, 1, v132
	v_cndmask_b32_e64 v44, v44, v48, s[26:27]
	v_add_u32_e32 v48, 1, v131
	v_cndmask_b32_e64 v49, v49, v132, s[26:27]
	v_cndmask_b32_e64 v48, v131, v48, s[26:27]
	;; [unrolled: 1-line block ×8, first 2 shown]
	v_cmp_ge_i32_e64 s[16:17], v49, v91
	s_waitcnt lgkmcnt(0)
	v_cmp_lt_i64_e64 s[18:19], v[50:51], v[46:47]
	v_cndmask_b32_e64 v21, v21, v23, s[14:15]
	v_cndmask_b32_e64 v20, v20, v22, s[14:15]
	;; [unrolled: 1-line block ×3, first 2 shown]
	v_cmp_lt_i32_e64 s[14:15], v48, v92
	s_or_b64 s[16:17], s[16:17], s[18:19]
	v_cndmask_b32_e64 v32, v32, v34, s[20:21]
	v_cndmask_b32_e64 v34, v126, v125, s[20:21]
	s_and_b64 s[14:15], s[14:15], s[16:17]
	v_cndmask_b32_e64 v131, v132, v131, s[26:27]
	v_cndmask_b32_e64 v40, v40, v42, s[24:25]
	;; [unrolled: 1-line block ×6, first 2 shown]
	s_barrier
	ds_write2_b64 v1, v[16:17], v[18:19] offset1:1
	ds_write2_b64 v1, v[10:11], v[14:15] offset0:2 offset1:3
	ds_write2_b64 v1, v[8:9], v[12:13] offset0:4 offset1:5
	;; [unrolled: 1-line block ×3, first 2 shown]
	v_lshlrev_b32_e32 v4, 3, v27
	v_lshlrev_b32_e32 v5, 3, v26
	;; [unrolled: 1-line block ×4, first 2 shown]
	s_waitcnt lgkmcnt(0)
	s_barrier
	ds_read_b64 v[16:17], v4
	ds_read_b64 v[18:19], v5
	;; [unrolled: 1-line block ×4, first 2 shown]
	v_lshlrev_b32_e32 v4, 3, v38
	v_lshlrev_b32_e32 v5, 3, v42
	;; [unrolled: 1-line block ×4, first 2 shown]
	ds_read_b64 v[8:9], v4
	ds_read_b64 v[12:13], v5
	;; [unrolled: 1-line block ×4, first 2 shown]
	v_cndmask_b32_e64 v41, v41, v43, s[24:25]
	v_cndmask_b32_e64 v37, v37, v39, s[22:23]
	;; [unrolled: 1-line block ×5, first 2 shown]
	s_waitcnt lgkmcnt(0)
	s_barrier
	ds_write2_b64 v1, v[20:21], v[24:25] offset1:1
	ds_write2_b64 v1, v[28:29], v[32:33] offset0:2 offset1:3
	ds_write2_b64 v1, v[36:37], v[40:41] offset0:4 offset1:5
	;; [unrolled: 1-line block ×3, first 2 shown]
	v_mov_b32_e32 v24, v104
	s_waitcnt lgkmcnt(0)
	s_barrier
	s_and_saveexec_b64 s[16:17], s[8:9]
	s_cbranch_execz .LBB149_166
; %bb.163:                              ;   in Loop: Header=BB149_2 Depth=1
	s_mov_b64 s[18:19], 0
	v_mov_b32_e32 v24, v104
	v_mov_b32_e32 v20, v105
.LBB149_164:                            ;   Parent Loop BB149_2 Depth=1
                                        ; =>  This Inner Loop Header: Depth=2
	v_sub_u32_e32 v21, v20, v24
	v_lshrrev_b32_e32 v22, 31, v21
	v_add_u32_e32 v21, v21, v22
	v_ashrrev_i32_e32 v21, 1, v21
	v_add_u32_e32 v21, v21, v24
	v_lshl_add_u32 v22, v21, 3, v102
	v_xad_u32 v23, v21, -1, v99
	v_lshl_add_u32 v25, v23, 3, v103
	ds_read_b64 v[22:23], v22
	ds_read_b64 v[26:27], v25
	v_add_u32_e32 v25, 1, v21
	s_waitcnt lgkmcnt(0)
	v_cmp_lt_i64_e64 s[14:15], v[26:27], v[22:23]
	s_nop 1
	v_cndmask_b32_e64 v20, v20, v21, s[14:15]
	v_cndmask_b32_e64 v24, v25, v24, s[14:15]
	v_cmp_ge_i32_e64 s[14:15], v24, v20
	s_or_b64 s[18:19], s[14:15], s[18:19]
	s_andn2_b64 exec, exec, s[18:19]
	s_cbranch_execnz .LBB149_164
; %bb.165:                              ;   in Loop: Header=BB149_2 Depth=1
	s_or_b64 exec, exec, s[18:19]
.LBB149_166:                            ;   in Loop: Header=BB149_2 Depth=1
	s_or_b64 exec, exec, s[16:17]
	v_sub_u32_e32 v52, v106, v24
	v_lshl_add_u32 v26, v24, 3, v102
	v_lshlrev_b32_e32 v28, 3, v52
	ds_read_b64 v[20:21], v26
	ds_read_b64 v[22:23], v28
	v_add_u32_e32 v53, v24, v98
	v_cmp_le_i32_e64 s[16:17], v100, v53
	v_cmp_gt_i32_e64 s[14:15], v101, v52
                                        ; implicit-def: $vgpr24_vgpr25
	s_waitcnt lgkmcnt(0)
	v_cmp_lt_i64_e64 s[18:19], v[22:23], v[20:21]
	s_or_b64 s[16:17], s[16:17], s[18:19]
	s_and_b64 s[14:15], s[14:15], s[16:17]
	s_xor_b64 s[16:17], s[14:15], -1
	s_and_saveexec_b64 s[18:19], s[16:17]
	s_xor_b64 s[16:17], exec, s[18:19]
	s_cbranch_execz .LBB149_168
; %bb.167:                              ;   in Loop: Header=BB149_2 Depth=1
	ds_read_b64 v[24:25], v26 offset:8
                                        ; implicit-def: $vgpr28
.LBB149_168:                            ;   in Loop: Header=BB149_2 Depth=1
	s_or_saveexec_b64 s[16:17], s[16:17]
	v_mov_b64_e32 v[26:27], v[22:23]
	s_xor_b64 exec, exec, s[16:17]
	s_cbranch_execz .LBB149_170
; %bb.169:                              ;   in Loop: Header=BB149_2 Depth=1
	ds_read_b64 v[26:27], v28 offset:8
	s_waitcnt lgkmcnt(1)
	v_mov_b64_e32 v[24:25], v[20:21]
.LBB149_170:                            ;   in Loop: Header=BB149_2 Depth=1
	s_or_b64 exec, exec, s[16:17]
	v_add_u32_e32 v29, 1, v53
	v_add_u32_e32 v28, 1, v52
	v_cndmask_b32_e64 v122, v29, v53, s[14:15]
	v_cndmask_b32_e64 v121, v52, v28, s[14:15]
	v_cmp_ge_i32_e64 s[18:19], v122, v100
	s_waitcnt lgkmcnt(0)
	v_cmp_lt_i64_e64 s[20:21], v[26:27], v[24:25]
	v_cmp_lt_i32_e64 s[16:17], v121, v101
	s_or_b64 s[18:19], s[18:19], s[20:21]
	s_and_b64 s[16:17], s[16:17], s[18:19]
	s_xor_b64 s[18:19], s[16:17], -1
                                        ; implicit-def: $vgpr28_vgpr29
	s_and_saveexec_b64 s[20:21], s[18:19]
	s_xor_b64 s[18:19], exec, s[20:21]
	s_cbranch_execz .LBB149_172
; %bb.171:                              ;   in Loop: Header=BB149_2 Depth=1
	v_lshlrev_b32_e32 v28, 3, v122
	ds_read_b64 v[28:29], v28 offset:8
.LBB149_172:                            ;   in Loop: Header=BB149_2 Depth=1
	s_or_saveexec_b64 s[18:19], s[18:19]
	v_mov_b64_e32 v[30:31], v[26:27]
	s_xor_b64 exec, exec, s[18:19]
	s_cbranch_execz .LBB149_174
; %bb.173:                              ;   in Loop: Header=BB149_2 Depth=1
	s_waitcnt lgkmcnt(0)
	v_lshlrev_b32_e32 v28, 3, v121
	ds_read_b64 v[30:31], v28 offset:8
	v_mov_b64_e32 v[28:29], v[24:25]
.LBB149_174:                            ;   in Loop: Header=BB149_2 Depth=1
	s_or_b64 exec, exec, s[18:19]
	v_add_u32_e32 v33, 1, v122
	v_add_u32_e32 v32, 1, v121
	v_cndmask_b32_e64 v124, v33, v122, s[16:17]
	v_cndmask_b32_e64 v123, v121, v32, s[16:17]
	v_cmp_ge_i32_e64 s[20:21], v124, v100
	s_waitcnt lgkmcnt(0)
	v_cmp_lt_i64_e64 s[22:23], v[30:31], v[28:29]
	v_cmp_lt_i32_e64 s[18:19], v123, v101
	s_or_b64 s[20:21], s[20:21], s[22:23]
	s_and_b64 s[18:19], s[18:19], s[20:21]
	s_xor_b64 s[20:21], s[18:19], -1
                                        ; implicit-def: $vgpr32_vgpr33
	s_and_saveexec_b64 s[22:23], s[20:21]
	s_xor_b64 s[20:21], exec, s[22:23]
	s_cbranch_execz .LBB149_176
; %bb.175:                              ;   in Loop: Header=BB149_2 Depth=1
	v_lshlrev_b32_e32 v32, 3, v124
	ds_read_b64 v[32:33], v32 offset:8
.LBB149_176:                            ;   in Loop: Header=BB149_2 Depth=1
	s_or_saveexec_b64 s[20:21], s[20:21]
	v_mov_b64_e32 v[34:35], v[30:31]
	s_xor_b64 exec, exec, s[20:21]
	s_cbranch_execz .LBB149_178
; %bb.177:                              ;   in Loop: Header=BB149_2 Depth=1
	s_waitcnt lgkmcnt(0)
	v_lshlrev_b32_e32 v32, 3, v123
	ds_read_b64 v[34:35], v32 offset:8
	v_mov_b64_e32 v[32:33], v[28:29]
.LBB149_178:                            ;   in Loop: Header=BB149_2 Depth=1
	s_or_b64 exec, exec, s[20:21]
	v_add_u32_e32 v37, 1, v124
	v_add_u32_e32 v36, 1, v123
	v_cndmask_b32_e64 v126, v37, v124, s[18:19]
	v_cndmask_b32_e64 v125, v123, v36, s[18:19]
	v_cmp_ge_i32_e64 s[22:23], v126, v100
	s_waitcnt lgkmcnt(0)
	v_cmp_lt_i64_e64 s[24:25], v[34:35], v[32:33]
	v_cmp_lt_i32_e64 s[20:21], v125, v101
	s_or_b64 s[22:23], s[22:23], s[24:25]
	s_and_b64 s[20:21], s[20:21], s[22:23]
	s_xor_b64 s[22:23], s[20:21], -1
                                        ; implicit-def: $vgpr36_vgpr37
	s_and_saveexec_b64 s[24:25], s[22:23]
	s_xor_b64 s[22:23], exec, s[24:25]
	s_cbranch_execz .LBB149_180
; %bb.179:                              ;   in Loop: Header=BB149_2 Depth=1
	v_lshlrev_b32_e32 v36, 3, v126
	ds_read_b64 v[36:37], v36 offset:8
.LBB149_180:                            ;   in Loop: Header=BB149_2 Depth=1
	s_or_saveexec_b64 s[22:23], s[22:23]
	v_mov_b64_e32 v[38:39], v[34:35]
	s_xor_b64 exec, exec, s[22:23]
	s_cbranch_execz .LBB149_182
; %bb.181:                              ;   in Loop: Header=BB149_2 Depth=1
	s_waitcnt lgkmcnt(0)
	v_lshlrev_b32_e32 v36, 3, v125
	ds_read_b64 v[38:39], v36 offset:8
	v_mov_b64_e32 v[36:37], v[32:33]
.LBB149_182:                            ;   in Loop: Header=BB149_2 Depth=1
	s_or_b64 exec, exec, s[22:23]
	v_add_u32_e32 v41, 1, v126
	v_add_u32_e32 v40, 1, v125
	v_cndmask_b32_e64 v128, v41, v126, s[20:21]
	v_cndmask_b32_e64 v127, v125, v40, s[20:21]
	v_cmp_ge_i32_e64 s[24:25], v128, v100
	s_waitcnt lgkmcnt(0)
	v_cmp_lt_i64_e64 s[26:27], v[38:39], v[36:37]
	v_cmp_lt_i32_e64 s[22:23], v127, v101
	s_or_b64 s[24:25], s[24:25], s[26:27]
	s_and_b64 s[22:23], s[22:23], s[24:25]
	s_xor_b64 s[24:25], s[22:23], -1
                                        ; implicit-def: $vgpr40_vgpr41
	s_and_saveexec_b64 s[26:27], s[24:25]
	s_xor_b64 s[24:25], exec, s[26:27]
	s_cbranch_execz .LBB149_184
; %bb.183:                              ;   in Loop: Header=BB149_2 Depth=1
	v_lshlrev_b32_e32 v40, 3, v128
	ds_read_b64 v[40:41], v40 offset:8
.LBB149_184:                            ;   in Loop: Header=BB149_2 Depth=1
	s_or_saveexec_b64 s[24:25], s[24:25]
	v_mov_b64_e32 v[42:43], v[38:39]
	s_xor_b64 exec, exec, s[24:25]
	s_cbranch_execz .LBB149_186
; %bb.185:                              ;   in Loop: Header=BB149_2 Depth=1
	s_waitcnt lgkmcnt(0)
	v_lshlrev_b32_e32 v40, 3, v127
	ds_read_b64 v[42:43], v40 offset:8
	v_mov_b64_e32 v[40:41], v[36:37]
.LBB149_186:                            ;   in Loop: Header=BB149_2 Depth=1
	s_or_b64 exec, exec, s[24:25]
	v_add_u32_e32 v45, 1, v128
	v_add_u32_e32 v44, 1, v127
	v_cndmask_b32_e64 v130, v45, v128, s[22:23]
	v_cndmask_b32_e64 v129, v127, v44, s[22:23]
	v_cmp_ge_i32_e64 s[26:27], v130, v100
	s_waitcnt lgkmcnt(0)
	v_cmp_lt_i64_e64 s[28:29], v[42:43], v[40:41]
	v_cmp_lt_i32_e64 s[24:25], v129, v101
	s_or_b64 s[26:27], s[26:27], s[28:29]
	s_and_b64 s[24:25], s[24:25], s[26:27]
	s_xor_b64 s[26:27], s[24:25], -1
                                        ; implicit-def: $vgpr44_vgpr45
	s_and_saveexec_b64 s[28:29], s[26:27]
	s_xor_b64 s[26:27], exec, s[28:29]
	s_cbranch_execz .LBB149_188
; %bb.187:                              ;   in Loop: Header=BB149_2 Depth=1
	v_lshlrev_b32_e32 v44, 3, v130
	ds_read_b64 v[44:45], v44 offset:8
.LBB149_188:                            ;   in Loop: Header=BB149_2 Depth=1
	s_or_saveexec_b64 s[26:27], s[26:27]
	v_mov_b64_e32 v[48:49], v[42:43]
	s_xor_b64 exec, exec, s[26:27]
	s_cbranch_execz .LBB149_190
; %bb.189:                              ;   in Loop: Header=BB149_2 Depth=1
	s_waitcnt lgkmcnt(0)
	v_lshlrev_b32_e32 v44, 3, v129
	ds_read_b64 v[48:49], v44 offset:8
	v_mov_b64_e32 v[44:45], v[40:41]
.LBB149_190:                            ;   in Loop: Header=BB149_2 Depth=1
	s_or_b64 exec, exec, s[26:27]
	v_add_u32_e32 v47, 1, v130
	v_add_u32_e32 v46, 1, v129
	v_cndmask_b32_e64 v132, v47, v130, s[24:25]
	v_cndmask_b32_e64 v131, v129, v46, s[24:25]
	v_cmp_ge_i32_e64 s[28:29], v132, v100
	s_waitcnt lgkmcnt(0)
	v_cmp_lt_i64_e64 s[30:31], v[48:49], v[44:45]
	v_cmp_lt_i32_e64 s[26:27], v131, v101
	s_or_b64 s[28:29], s[28:29], s[30:31]
	s_and_b64 s[26:27], s[26:27], s[28:29]
	s_xor_b64 s[28:29], s[26:27], -1
                                        ; implicit-def: $vgpr46_vgpr47
	s_and_saveexec_b64 s[30:31], s[28:29]
	s_xor_b64 s[28:29], exec, s[30:31]
	s_cbranch_execz .LBB149_192
; %bb.191:                              ;   in Loop: Header=BB149_2 Depth=1
	v_lshlrev_b32_e32 v46, 3, v132
	ds_read_b64 v[46:47], v46 offset:8
.LBB149_192:                            ;   in Loop: Header=BB149_2 Depth=1
	s_or_saveexec_b64 s[28:29], s[28:29]
	v_mov_b64_e32 v[50:51], v[48:49]
	s_xor_b64 exec, exec, s[28:29]
	s_cbranch_execz .LBB149_194
; %bb.193:                              ;   in Loop: Header=BB149_2 Depth=1
	s_waitcnt lgkmcnt(0)
	v_lshlrev_b32_e32 v46, 3, v131
	ds_read_b64 v[50:51], v46 offset:8
	v_mov_b64_e32 v[46:47], v[44:45]
.LBB149_194:                            ;   in Loop: Header=BB149_2 Depth=1
	s_or_b64 exec, exec, s[28:29]
	v_cndmask_b32_e64 v45, v45, v49, s[26:27]
	v_add_u32_e32 v49, 1, v132
	v_cndmask_b32_e64 v44, v44, v48, s[26:27]
	v_add_u32_e32 v48, 1, v131
	v_cndmask_b32_e64 v49, v49, v132, s[26:27]
	v_cndmask_b32_e64 v48, v131, v48, s[26:27]
	;; [unrolled: 1-line block ×8, first 2 shown]
	v_cmp_ge_i32_e64 s[16:17], v49, v100
	s_waitcnt lgkmcnt(0)
	v_cmp_lt_i64_e64 s[18:19], v[50:51], v[46:47]
	v_cndmask_b32_e64 v21, v21, v23, s[14:15]
	v_cndmask_b32_e64 v20, v20, v22, s[14:15]
	;; [unrolled: 1-line block ×3, first 2 shown]
	v_cmp_lt_i32_e64 s[14:15], v48, v101
	s_or_b64 s[16:17], s[16:17], s[18:19]
	v_cndmask_b32_e64 v32, v32, v34, s[20:21]
	v_cndmask_b32_e64 v34, v126, v125, s[20:21]
	s_and_b64 s[14:15], s[14:15], s[16:17]
	v_cndmask_b32_e64 v131, v132, v131, s[26:27]
	v_cndmask_b32_e64 v40, v40, v42, s[24:25]
	;; [unrolled: 1-line block ×6, first 2 shown]
	s_barrier
	ds_write2_b64 v1, v[16:17], v[18:19] offset1:1
	ds_write2_b64 v1, v[10:11], v[14:15] offset0:2 offset1:3
	ds_write2_b64 v1, v[8:9], v[12:13] offset0:4 offset1:5
	ds_write2_b64 v1, v[4:5], v[6:7] offset0:6 offset1:7
	v_lshlrev_b32_e32 v4, 3, v27
	v_lshlrev_b32_e32 v5, 3, v26
	;; [unrolled: 1-line block ×4, first 2 shown]
	s_waitcnt lgkmcnt(0)
	s_barrier
	ds_read_b64 v[16:17], v4
	ds_read_b64 v[18:19], v5
	;; [unrolled: 1-line block ×4, first 2 shown]
	v_lshlrev_b32_e32 v4, 3, v38
	v_lshlrev_b32_e32 v5, 3, v42
	;; [unrolled: 1-line block ×4, first 2 shown]
	ds_read_b64 v[8:9], v4
	ds_read_b64 v[12:13], v5
	;; [unrolled: 1-line block ×4, first 2 shown]
	v_cndmask_b32_e64 v41, v41, v43, s[24:25]
	v_cndmask_b32_e64 v37, v37, v39, s[22:23]
	;; [unrolled: 1-line block ×5, first 2 shown]
	s_waitcnt lgkmcnt(0)
	s_barrier
	ds_write2_b64 v1, v[20:21], v[24:25] offset1:1
	ds_write2_b64 v1, v[28:29], v[32:33] offset0:2 offset1:3
	ds_write2_b64 v1, v[36:37], v[40:41] offset0:4 offset1:5
	;; [unrolled: 1-line block ×3, first 2 shown]
	v_mov_b32_e32 v24, v114
	s_waitcnt lgkmcnt(0)
	s_barrier
	s_and_saveexec_b64 s[16:17], s[10:11]
	s_cbranch_execz .LBB149_198
; %bb.195:                              ;   in Loop: Header=BB149_2 Depth=1
	s_mov_b64 s[18:19], 0
	v_mov_b32_e32 v24, v114
	v_mov_b32_e32 v20, v115
.LBB149_196:                            ;   Parent Loop BB149_2 Depth=1
                                        ; =>  This Inner Loop Header: Depth=2
	v_sub_u32_e32 v21, v20, v24
	v_lshrrev_b32_e32 v22, 31, v21
	v_add_u32_e32 v21, v21, v22
	v_ashrrev_i32_e32 v21, 1, v21
	v_add_u32_e32 v21, v21, v24
	v_lshl_add_u32 v22, v21, 3, v112
	v_xad_u32 v23, v21, -1, v109
	v_lshl_add_u32 v25, v23, 3, v113
	ds_read_b64 v[22:23], v22
	ds_read_b64 v[26:27], v25
	v_add_u32_e32 v25, 1, v21
	s_waitcnt lgkmcnt(0)
	v_cmp_lt_i64_e64 s[14:15], v[26:27], v[22:23]
	s_nop 1
	v_cndmask_b32_e64 v20, v20, v21, s[14:15]
	v_cndmask_b32_e64 v24, v25, v24, s[14:15]
	v_cmp_ge_i32_e64 s[14:15], v24, v20
	s_or_b64 s[18:19], s[14:15], s[18:19]
	s_andn2_b64 exec, exec, s[18:19]
	s_cbranch_execnz .LBB149_196
; %bb.197:                              ;   in Loop: Header=BB149_2 Depth=1
	s_or_b64 exec, exec, s[18:19]
.LBB149_198:                            ;   in Loop: Header=BB149_2 Depth=1
	s_or_b64 exec, exec, s[16:17]
	v_sub_u32_e32 v52, v116, v24
	v_lshl_add_u32 v26, v24, 3, v112
	v_lshlrev_b32_e32 v28, 3, v52
	ds_read_b64 v[20:21], v26
	ds_read_b64 v[22:23], v28
	v_add_u32_e32 v53, v24, v108
	v_cmp_le_i32_e64 s[16:17], v110, v53
	v_cmp_gt_i32_e64 s[14:15], v111, v52
                                        ; implicit-def: $vgpr24_vgpr25
	s_waitcnt lgkmcnt(0)
	v_cmp_lt_i64_e64 s[18:19], v[22:23], v[20:21]
	s_or_b64 s[16:17], s[16:17], s[18:19]
	s_and_b64 s[14:15], s[14:15], s[16:17]
	s_xor_b64 s[16:17], s[14:15], -1
	s_and_saveexec_b64 s[18:19], s[16:17]
	s_xor_b64 s[16:17], exec, s[18:19]
	s_cbranch_execz .LBB149_200
; %bb.199:                              ;   in Loop: Header=BB149_2 Depth=1
	ds_read_b64 v[24:25], v26 offset:8
                                        ; implicit-def: $vgpr28
.LBB149_200:                            ;   in Loop: Header=BB149_2 Depth=1
	s_or_saveexec_b64 s[16:17], s[16:17]
	v_mov_b64_e32 v[26:27], v[22:23]
	s_xor_b64 exec, exec, s[16:17]
	s_cbranch_execz .LBB149_202
; %bb.201:                              ;   in Loop: Header=BB149_2 Depth=1
	ds_read_b64 v[26:27], v28 offset:8
	s_waitcnt lgkmcnt(1)
	v_mov_b64_e32 v[24:25], v[20:21]
.LBB149_202:                            ;   in Loop: Header=BB149_2 Depth=1
	s_or_b64 exec, exec, s[16:17]
	v_add_u32_e32 v29, 1, v53
	v_add_u32_e32 v28, 1, v52
	v_cndmask_b32_e64 v122, v29, v53, s[14:15]
	v_cndmask_b32_e64 v121, v52, v28, s[14:15]
	v_cmp_ge_i32_e64 s[18:19], v122, v110
	s_waitcnt lgkmcnt(0)
	v_cmp_lt_i64_e64 s[20:21], v[26:27], v[24:25]
	v_cmp_lt_i32_e64 s[16:17], v121, v111
	s_or_b64 s[18:19], s[18:19], s[20:21]
	s_and_b64 s[16:17], s[16:17], s[18:19]
	s_xor_b64 s[18:19], s[16:17], -1
                                        ; implicit-def: $vgpr28_vgpr29
	s_and_saveexec_b64 s[20:21], s[18:19]
	s_xor_b64 s[18:19], exec, s[20:21]
	s_cbranch_execz .LBB149_204
; %bb.203:                              ;   in Loop: Header=BB149_2 Depth=1
	v_lshlrev_b32_e32 v28, 3, v122
	ds_read_b64 v[28:29], v28 offset:8
.LBB149_204:                            ;   in Loop: Header=BB149_2 Depth=1
	s_or_saveexec_b64 s[18:19], s[18:19]
	v_mov_b64_e32 v[30:31], v[26:27]
	s_xor_b64 exec, exec, s[18:19]
	s_cbranch_execz .LBB149_206
; %bb.205:                              ;   in Loop: Header=BB149_2 Depth=1
	s_waitcnt lgkmcnt(0)
	v_lshlrev_b32_e32 v28, 3, v121
	ds_read_b64 v[30:31], v28 offset:8
	v_mov_b64_e32 v[28:29], v[24:25]
.LBB149_206:                            ;   in Loop: Header=BB149_2 Depth=1
	s_or_b64 exec, exec, s[18:19]
	v_add_u32_e32 v33, 1, v122
	v_add_u32_e32 v32, 1, v121
	v_cndmask_b32_e64 v124, v33, v122, s[16:17]
	v_cndmask_b32_e64 v123, v121, v32, s[16:17]
	v_cmp_ge_i32_e64 s[20:21], v124, v110
	s_waitcnt lgkmcnt(0)
	v_cmp_lt_i64_e64 s[22:23], v[30:31], v[28:29]
	v_cmp_lt_i32_e64 s[18:19], v123, v111
	s_or_b64 s[20:21], s[20:21], s[22:23]
	s_and_b64 s[18:19], s[18:19], s[20:21]
	s_xor_b64 s[20:21], s[18:19], -1
                                        ; implicit-def: $vgpr32_vgpr33
	s_and_saveexec_b64 s[22:23], s[20:21]
	s_xor_b64 s[20:21], exec, s[22:23]
	s_cbranch_execz .LBB149_208
; %bb.207:                              ;   in Loop: Header=BB149_2 Depth=1
	v_lshlrev_b32_e32 v32, 3, v124
	ds_read_b64 v[32:33], v32 offset:8
.LBB149_208:                            ;   in Loop: Header=BB149_2 Depth=1
	s_or_saveexec_b64 s[20:21], s[20:21]
	v_mov_b64_e32 v[34:35], v[30:31]
	s_xor_b64 exec, exec, s[20:21]
	s_cbranch_execz .LBB149_210
; %bb.209:                              ;   in Loop: Header=BB149_2 Depth=1
	s_waitcnt lgkmcnt(0)
	v_lshlrev_b32_e32 v32, 3, v123
	ds_read_b64 v[34:35], v32 offset:8
	v_mov_b64_e32 v[32:33], v[28:29]
.LBB149_210:                            ;   in Loop: Header=BB149_2 Depth=1
	s_or_b64 exec, exec, s[20:21]
	v_add_u32_e32 v37, 1, v124
	v_add_u32_e32 v36, 1, v123
	v_cndmask_b32_e64 v126, v37, v124, s[18:19]
	v_cndmask_b32_e64 v125, v123, v36, s[18:19]
	v_cmp_ge_i32_e64 s[22:23], v126, v110
	s_waitcnt lgkmcnt(0)
	v_cmp_lt_i64_e64 s[24:25], v[34:35], v[32:33]
	v_cmp_lt_i32_e64 s[20:21], v125, v111
	s_or_b64 s[22:23], s[22:23], s[24:25]
	s_and_b64 s[20:21], s[20:21], s[22:23]
	s_xor_b64 s[22:23], s[20:21], -1
                                        ; implicit-def: $vgpr36_vgpr37
	s_and_saveexec_b64 s[24:25], s[22:23]
	s_xor_b64 s[22:23], exec, s[24:25]
	s_cbranch_execz .LBB149_212
; %bb.211:                              ;   in Loop: Header=BB149_2 Depth=1
	v_lshlrev_b32_e32 v36, 3, v126
	ds_read_b64 v[36:37], v36 offset:8
.LBB149_212:                            ;   in Loop: Header=BB149_2 Depth=1
	s_or_saveexec_b64 s[22:23], s[22:23]
	v_mov_b64_e32 v[38:39], v[34:35]
	s_xor_b64 exec, exec, s[22:23]
	s_cbranch_execz .LBB149_214
; %bb.213:                              ;   in Loop: Header=BB149_2 Depth=1
	s_waitcnt lgkmcnt(0)
	v_lshlrev_b32_e32 v36, 3, v125
	ds_read_b64 v[38:39], v36 offset:8
	v_mov_b64_e32 v[36:37], v[32:33]
.LBB149_214:                            ;   in Loop: Header=BB149_2 Depth=1
	s_or_b64 exec, exec, s[22:23]
	v_add_u32_e32 v41, 1, v126
	v_add_u32_e32 v40, 1, v125
	v_cndmask_b32_e64 v128, v41, v126, s[20:21]
	v_cndmask_b32_e64 v127, v125, v40, s[20:21]
	v_cmp_ge_i32_e64 s[24:25], v128, v110
	s_waitcnt lgkmcnt(0)
	v_cmp_lt_i64_e64 s[26:27], v[38:39], v[36:37]
	v_cmp_lt_i32_e64 s[22:23], v127, v111
	s_or_b64 s[24:25], s[24:25], s[26:27]
	s_and_b64 s[22:23], s[22:23], s[24:25]
	s_xor_b64 s[24:25], s[22:23], -1
                                        ; implicit-def: $vgpr40_vgpr41
	s_and_saveexec_b64 s[26:27], s[24:25]
	s_xor_b64 s[24:25], exec, s[26:27]
	s_cbranch_execz .LBB149_216
; %bb.215:                              ;   in Loop: Header=BB149_2 Depth=1
	v_lshlrev_b32_e32 v40, 3, v128
	ds_read_b64 v[40:41], v40 offset:8
.LBB149_216:                            ;   in Loop: Header=BB149_2 Depth=1
	s_or_saveexec_b64 s[24:25], s[24:25]
	v_mov_b64_e32 v[42:43], v[38:39]
	s_xor_b64 exec, exec, s[24:25]
	s_cbranch_execz .LBB149_218
; %bb.217:                              ;   in Loop: Header=BB149_2 Depth=1
	s_waitcnt lgkmcnt(0)
	v_lshlrev_b32_e32 v40, 3, v127
	ds_read_b64 v[42:43], v40 offset:8
	v_mov_b64_e32 v[40:41], v[36:37]
.LBB149_218:                            ;   in Loop: Header=BB149_2 Depth=1
	s_or_b64 exec, exec, s[24:25]
	v_add_u32_e32 v45, 1, v128
	v_add_u32_e32 v44, 1, v127
	v_cndmask_b32_e64 v130, v45, v128, s[22:23]
	v_cndmask_b32_e64 v129, v127, v44, s[22:23]
	v_cmp_ge_i32_e64 s[26:27], v130, v110
	s_waitcnt lgkmcnt(0)
	v_cmp_lt_i64_e64 s[28:29], v[42:43], v[40:41]
	v_cmp_lt_i32_e64 s[24:25], v129, v111
	s_or_b64 s[26:27], s[26:27], s[28:29]
	s_and_b64 s[24:25], s[24:25], s[26:27]
	s_xor_b64 s[26:27], s[24:25], -1
                                        ; implicit-def: $vgpr44_vgpr45
	s_and_saveexec_b64 s[28:29], s[26:27]
	s_xor_b64 s[26:27], exec, s[28:29]
	s_cbranch_execz .LBB149_220
; %bb.219:                              ;   in Loop: Header=BB149_2 Depth=1
	v_lshlrev_b32_e32 v44, 3, v130
	ds_read_b64 v[44:45], v44 offset:8
.LBB149_220:                            ;   in Loop: Header=BB149_2 Depth=1
	s_or_saveexec_b64 s[26:27], s[26:27]
	v_mov_b64_e32 v[48:49], v[42:43]
	s_xor_b64 exec, exec, s[26:27]
	s_cbranch_execz .LBB149_222
; %bb.221:                              ;   in Loop: Header=BB149_2 Depth=1
	s_waitcnt lgkmcnt(0)
	v_lshlrev_b32_e32 v44, 3, v129
	ds_read_b64 v[48:49], v44 offset:8
	v_mov_b64_e32 v[44:45], v[40:41]
.LBB149_222:                            ;   in Loop: Header=BB149_2 Depth=1
	s_or_b64 exec, exec, s[26:27]
	v_add_u32_e32 v47, 1, v130
	v_add_u32_e32 v46, 1, v129
	v_cndmask_b32_e64 v132, v47, v130, s[24:25]
	v_cndmask_b32_e64 v131, v129, v46, s[24:25]
	v_cmp_ge_i32_e64 s[28:29], v132, v110
	s_waitcnt lgkmcnt(0)
	v_cmp_lt_i64_e64 s[30:31], v[48:49], v[44:45]
	v_cmp_lt_i32_e64 s[26:27], v131, v111
	s_or_b64 s[28:29], s[28:29], s[30:31]
	s_and_b64 s[26:27], s[26:27], s[28:29]
	s_xor_b64 s[28:29], s[26:27], -1
                                        ; implicit-def: $vgpr46_vgpr47
	s_and_saveexec_b64 s[30:31], s[28:29]
	s_xor_b64 s[28:29], exec, s[30:31]
	s_cbranch_execz .LBB149_224
; %bb.223:                              ;   in Loop: Header=BB149_2 Depth=1
	v_lshlrev_b32_e32 v46, 3, v132
	ds_read_b64 v[46:47], v46 offset:8
.LBB149_224:                            ;   in Loop: Header=BB149_2 Depth=1
	s_or_saveexec_b64 s[28:29], s[28:29]
	v_mov_b64_e32 v[50:51], v[48:49]
	s_xor_b64 exec, exec, s[28:29]
	s_cbranch_execz .LBB149_226
; %bb.225:                              ;   in Loop: Header=BB149_2 Depth=1
	s_waitcnt lgkmcnt(0)
	v_lshlrev_b32_e32 v46, 3, v131
	ds_read_b64 v[50:51], v46 offset:8
	v_mov_b64_e32 v[46:47], v[44:45]
.LBB149_226:                            ;   in Loop: Header=BB149_2 Depth=1
	s_or_b64 exec, exec, s[28:29]
	v_cndmask_b32_e64 v45, v45, v49, s[26:27]
	v_add_u32_e32 v49, 1, v132
	v_cndmask_b32_e64 v44, v44, v48, s[26:27]
	v_add_u32_e32 v48, 1, v131
	v_cndmask_b32_e64 v49, v49, v132, s[26:27]
	v_cndmask_b32_e64 v48, v131, v48, s[26:27]
	;; [unrolled: 1-line block ×8, first 2 shown]
	v_cmp_ge_i32_e64 s[16:17], v49, v110
	s_waitcnt lgkmcnt(0)
	v_cmp_lt_i64_e64 s[18:19], v[50:51], v[46:47]
	v_cndmask_b32_e64 v21, v21, v23, s[14:15]
	v_cndmask_b32_e64 v20, v20, v22, s[14:15]
	;; [unrolled: 1-line block ×3, first 2 shown]
	v_cmp_lt_i32_e64 s[14:15], v48, v111
	s_or_b64 s[16:17], s[16:17], s[18:19]
	v_cndmask_b32_e64 v32, v32, v34, s[20:21]
	v_cndmask_b32_e64 v34, v126, v125, s[20:21]
	s_and_b64 s[14:15], s[14:15], s[16:17]
	v_cndmask_b32_e64 v131, v132, v131, s[26:27]
	v_cndmask_b32_e64 v40, v40, v42, s[24:25]
	;; [unrolled: 1-line block ×6, first 2 shown]
	s_barrier
	ds_write2_b64 v1, v[16:17], v[18:19] offset1:1
	ds_write2_b64 v1, v[10:11], v[14:15] offset0:2 offset1:3
	ds_write2_b64 v1, v[8:9], v[12:13] offset0:4 offset1:5
	;; [unrolled: 1-line block ×3, first 2 shown]
	v_lshlrev_b32_e32 v4, 3, v27
	v_lshlrev_b32_e32 v5, 3, v26
	;; [unrolled: 1-line block ×4, first 2 shown]
	s_waitcnt lgkmcnt(0)
	s_barrier
	ds_read_b64 v[16:17], v4
	ds_read_b64 v[18:19], v5
	ds_read_b64 v[10:11], v6
	ds_read_b64 v[14:15], v7
	v_lshlrev_b32_e32 v4, 3, v38
	v_lshlrev_b32_e32 v5, 3, v42
	;; [unrolled: 1-line block ×4, first 2 shown]
	ds_read_b64 v[8:9], v4
	ds_read_b64 v[12:13], v5
	ds_read_b64 v[4:5], v6
	ds_read_b64 v[6:7], v7
	v_mov_b32_e32 v121, v118
	v_cndmask_b32_e64 v41, v41, v43, s[24:25]
	v_cndmask_b32_e64 v37, v37, v39, s[22:23]
	;; [unrolled: 1-line block ×5, first 2 shown]
	s_waitcnt lgkmcnt(0)
	s_barrier
	ds_write2_b64 v1, v[20:21], v[24:25] offset1:1
	ds_write2_b64 v1, v[28:29], v[32:33] offset0:2 offset1:3
	ds_write2_b64 v1, v[36:37], v[40:41] offset0:4 offset1:5
	;; [unrolled: 1-line block ×3, first 2 shown]
	s_waitcnt lgkmcnt(0)
	s_barrier
	s_and_saveexec_b64 s[16:17], s[12:13]
	s_cbranch_execz .LBB149_230
; %bb.227:                              ;   in Loop: Header=BB149_2 Depth=1
	s_mov_b64 s[18:19], 0
	v_mov_b32_e32 v121, v118
	v_mov_b32_e32 v20, v119
.LBB149_228:                            ;   Parent Loop BB149_2 Depth=1
                                        ; =>  This Inner Loop Header: Depth=2
	v_sub_u32_e32 v21, v20, v121
	v_lshrrev_b32_e32 v22, 31, v21
	v_add_u32_e32 v21, v21, v22
	v_ashrrev_i32_e32 v21, 1, v21
	v_add_u32_e32 v21, v21, v121
	v_xad_u32 v23, v21, -1, v2
	v_lshlrev_b32_e32 v22, 3, v21
	v_lshl_add_u32 v24, v23, 3, v117
	ds_read_b64 v[22:23], v22
	ds_read_b64 v[24:25], v24
	v_add_u32_e32 v26, 1, v21
	s_waitcnt lgkmcnt(0)
	v_cmp_lt_i64_e64 s[14:15], v[24:25], v[22:23]
	s_nop 1
	v_cndmask_b32_e64 v20, v20, v21, s[14:15]
	v_cndmask_b32_e64 v121, v26, v121, s[14:15]
	v_cmp_ge_i32_e64 s[14:15], v121, v20
	s_or_b64 s[18:19], s[14:15], s[18:19]
	s_andn2_b64 exec, exec, s[18:19]
	s_cbranch_execnz .LBB149_228
; %bb.229:                              ;   in Loop: Header=BB149_2 Depth=1
	s_or_b64 exec, exec, s[18:19]
.LBB149_230:                            ;   in Loop: Header=BB149_2 Depth=1
	s_or_b64 exec, exec, s[16:17]
	v_sub_u32_e32 v122, v120, v121
	v_lshlrev_b32_e32 v26, 3, v121
	v_lshlrev_b32_e32 v28, 3, v122
	ds_read_b64 v[20:21], v26
	ds_read_b64 v[22:23], v28
	v_cmp_le_i32_e64 s[16:17], v107, v121
	v_cmp_gt_i32_e64 s[14:15], s33, v122
                                        ; implicit-def: $vgpr24_vgpr25
	s_waitcnt lgkmcnt(0)
	v_cmp_lt_i64_e64 s[18:19], v[22:23], v[20:21]
	s_or_b64 s[16:17], s[16:17], s[18:19]
	s_and_b64 s[14:15], s[14:15], s[16:17]
	s_xor_b64 s[16:17], s[14:15], -1
	s_and_saveexec_b64 s[18:19], s[16:17]
	s_xor_b64 s[16:17], exec, s[18:19]
	s_cbranch_execz .LBB149_232
; %bb.231:                              ;   in Loop: Header=BB149_2 Depth=1
	ds_read_b64 v[24:25], v26 offset:8
                                        ; implicit-def: $vgpr28
.LBB149_232:                            ;   in Loop: Header=BB149_2 Depth=1
	s_or_saveexec_b64 s[16:17], s[16:17]
	v_mov_b64_e32 v[26:27], v[22:23]
	s_xor_b64 exec, exec, s[16:17]
	s_cbranch_execz .LBB149_234
; %bb.233:                              ;   in Loop: Header=BB149_2 Depth=1
	ds_read_b64 v[26:27], v28 offset:8
	s_waitcnt lgkmcnt(1)
	v_mov_b64_e32 v[24:25], v[20:21]
.LBB149_234:                            ;   in Loop: Header=BB149_2 Depth=1
	s_or_b64 exec, exec, s[16:17]
	v_add_u32_e32 v29, 1, v121
	v_add_u32_e32 v28, 1, v122
	v_cndmask_b32_e64 v124, v29, v121, s[14:15]
	v_cndmask_b32_e64 v123, v122, v28, s[14:15]
	v_cmp_ge_i32_e64 s[18:19], v124, v107
	s_waitcnt lgkmcnt(0)
	v_cmp_lt_i64_e64 s[20:21], v[26:27], v[24:25]
	v_cmp_gt_i32_e64 s[16:17], s33, v123
	s_or_b64 s[18:19], s[18:19], s[20:21]
	s_and_b64 s[16:17], s[16:17], s[18:19]
	s_xor_b64 s[18:19], s[16:17], -1
                                        ; implicit-def: $vgpr30_vgpr31
	s_and_saveexec_b64 s[20:21], s[18:19]
	s_xor_b64 s[18:19], exec, s[20:21]
	s_cbranch_execz .LBB149_236
; %bb.235:                              ;   in Loop: Header=BB149_2 Depth=1
	v_lshlrev_b32_e32 v28, 3, v124
	ds_read_b64 v[30:31], v28 offset:8
.LBB149_236:                            ;   in Loop: Header=BB149_2 Depth=1
	s_or_saveexec_b64 s[18:19], s[18:19]
	v_mov_b64_e32 v[32:33], v[26:27]
	s_xor_b64 exec, exec, s[18:19]
	s_cbranch_execz .LBB149_238
; %bb.237:                              ;   in Loop: Header=BB149_2 Depth=1
	v_lshlrev_b32_e32 v28, 3, v123
	ds_read_b64 v[32:33], v28 offset:8
	s_waitcnt lgkmcnt(1)
	v_mov_b64_e32 v[30:31], v[24:25]
.LBB149_238:                            ;   in Loop: Header=BB149_2 Depth=1
	s_or_b64 exec, exec, s[18:19]
	v_add_u32_e32 v29, 1, v124
	v_add_u32_e32 v28, 1, v123
	v_cndmask_b32_e64 v126, v29, v124, s[16:17]
	v_cndmask_b32_e64 v125, v123, v28, s[16:17]
	v_cmp_ge_i32_e64 s[20:21], v126, v107
	s_waitcnt lgkmcnt(0)
	v_cmp_lt_i64_e64 s[22:23], v[32:33], v[30:31]
	v_cmp_gt_i32_e64 s[18:19], s33, v125
	s_or_b64 s[20:21], s[20:21], s[22:23]
	s_and_b64 s[18:19], s[18:19], s[20:21]
	s_xor_b64 s[20:21], s[18:19], -1
                                        ; implicit-def: $vgpr34_vgpr35
	s_and_saveexec_b64 s[22:23], s[20:21]
	s_xor_b64 s[20:21], exec, s[22:23]
	s_cbranch_execz .LBB149_240
; %bb.239:                              ;   in Loop: Header=BB149_2 Depth=1
	v_lshlrev_b32_e32 v28, 3, v126
	ds_read_b64 v[34:35], v28 offset:8
.LBB149_240:                            ;   in Loop: Header=BB149_2 Depth=1
	s_or_saveexec_b64 s[20:21], s[20:21]
	v_mov_b64_e32 v[36:37], v[32:33]
	s_xor_b64 exec, exec, s[20:21]
	s_cbranch_execz .LBB149_242
; %bb.241:                              ;   in Loop: Header=BB149_2 Depth=1
	v_lshlrev_b32_e32 v28, 3, v125
	ds_read_b64 v[36:37], v28 offset:8
	s_waitcnt lgkmcnt(1)
	v_mov_b64_e32 v[34:35], v[30:31]
.LBB149_242:                            ;   in Loop: Header=BB149_2 Depth=1
	s_or_b64 exec, exec, s[20:21]
	v_add_u32_e32 v29, 1, v126
	v_add_u32_e32 v28, 1, v125
	v_cndmask_b32_e64 v128, v29, v126, s[18:19]
	v_cndmask_b32_e64 v127, v125, v28, s[18:19]
	v_cmp_ge_i32_e64 s[22:23], v128, v107
	s_waitcnt lgkmcnt(0)
	v_cmp_lt_i64_e64 s[24:25], v[36:37], v[34:35]
	v_cmp_gt_i32_e64 s[20:21], s33, v127
	s_or_b64 s[22:23], s[22:23], s[24:25]
	s_and_b64 s[20:21], s[20:21], s[22:23]
	s_xor_b64 s[22:23], s[20:21], -1
                                        ; implicit-def: $vgpr40_vgpr41
	s_and_saveexec_b64 s[24:25], s[22:23]
	s_xor_b64 s[22:23], exec, s[24:25]
	s_cbranch_execz .LBB149_244
; %bb.243:                              ;   in Loop: Header=BB149_2 Depth=1
	v_lshlrev_b32_e32 v28, 3, v128
	ds_read_b64 v[40:41], v28 offset:8
.LBB149_244:                            ;   in Loop: Header=BB149_2 Depth=1
	s_or_saveexec_b64 s[22:23], s[22:23]
	v_mov_b64_e32 v[44:45], v[36:37]
	s_xor_b64 exec, exec, s[22:23]
	s_cbranch_execz .LBB149_246
; %bb.245:                              ;   in Loop: Header=BB149_2 Depth=1
	v_lshlrev_b32_e32 v28, 3, v127
	ds_read_b64 v[44:45], v28 offset:8
	s_waitcnt lgkmcnt(1)
	v_mov_b64_e32 v[40:41], v[34:35]
.LBB149_246:                            ;   in Loop: Header=BB149_2 Depth=1
	s_or_b64 exec, exec, s[22:23]
	v_add_u32_e32 v29, 1, v128
	v_add_u32_e32 v28, 1, v127
	v_cndmask_b32_e64 v130, v29, v128, s[20:21]
	v_cndmask_b32_e64 v129, v127, v28, s[20:21]
	v_cmp_ge_i32_e64 s[24:25], v130, v107
	s_waitcnt lgkmcnt(0)
	v_cmp_lt_i64_e64 s[26:27], v[44:45], v[40:41]
	v_cmp_gt_i32_e64 s[22:23], s33, v129
	s_or_b64 s[24:25], s[24:25], s[26:27]
	s_and_b64 s[22:23], s[22:23], s[24:25]
	s_xor_b64 s[24:25], s[22:23], -1
                                        ; implicit-def: $vgpr48_vgpr49
	s_and_saveexec_b64 s[26:27], s[24:25]
	s_xor_b64 s[24:25], exec, s[26:27]
	s_cbranch_execz .LBB149_248
; %bb.247:                              ;   in Loop: Header=BB149_2 Depth=1
	v_lshlrev_b32_e32 v28, 3, v130
	ds_read_b64 v[48:49], v28 offset:8
.LBB149_248:                            ;   in Loop: Header=BB149_2 Depth=1
	s_or_saveexec_b64 s[24:25], s[24:25]
	v_mov_b64_e32 v[50:51], v[44:45]
	s_xor_b64 exec, exec, s[24:25]
	s_cbranch_execz .LBB149_250
; %bb.249:                              ;   in Loop: Header=BB149_2 Depth=1
	v_lshlrev_b32_e32 v28, 3, v129
	ds_read_b64 v[50:51], v28 offset:8
	s_waitcnt lgkmcnt(1)
	v_mov_b64_e32 v[48:49], v[40:41]
.LBB149_250:                            ;   in Loop: Header=BB149_2 Depth=1
	s_or_b64 exec, exec, s[24:25]
	v_add_u32_e32 v29, 1, v130
	v_add_u32_e32 v28, 1, v129
	v_cndmask_b32_e64 v132, v29, v130, s[22:23]
	v_cndmask_b32_e64 v131, v129, v28, s[22:23]
	v_cmp_ge_i32_e64 s[26:27], v132, v107
	s_waitcnt lgkmcnt(0)
	v_cmp_lt_i64_e64 s[28:29], v[50:51], v[48:49]
	v_cmp_gt_i32_e64 s[24:25], s33, v131
	s_or_b64 s[26:27], s[26:27], s[28:29]
	s_and_b64 s[26:27], s[24:25], s[26:27]
	s_xor_b64 s[24:25], s[26:27], -1
                                        ; implicit-def: $vgpr38_vgpr39
	s_and_saveexec_b64 s[28:29], s[24:25]
	s_xor_b64 s[24:25], exec, s[28:29]
	s_cbranch_execz .LBB149_252
; %bb.251:                              ;   in Loop: Header=BB149_2 Depth=1
	v_lshlrev_b32_e32 v28, 3, v132
	ds_read_b64 v[38:39], v28 offset:8
.LBB149_252:                            ;   in Loop: Header=BB149_2 Depth=1
	s_or_saveexec_b64 s[24:25], s[24:25]
	v_mov_b64_e32 v[42:43], v[50:51]
	s_xor_b64 exec, exec, s[24:25]
	s_cbranch_execz .LBB149_254
; %bb.253:                              ;   in Loop: Header=BB149_2 Depth=1
	v_lshlrev_b32_e32 v28, 3, v131
	ds_read_b64 v[42:43], v28 offset:8
	s_waitcnt lgkmcnt(1)
	v_mov_b64_e32 v[38:39], v[48:49]
.LBB149_254:                            ;   in Loop: Header=BB149_2 Depth=1
	s_or_b64 exec, exec, s[24:25]
	v_add_u32_e32 v28, 1, v131
	v_add_u32_e32 v29, 1, v132
	v_cndmask_b32_e64 v134, v131, v28, s[26:27]
	v_cndmask_b32_e64 v28, v29, v132, s[26:27]
	v_cmp_ge_i32_e64 s[28:29], v28, v107
	s_waitcnt lgkmcnt(0)
	v_cmp_lt_i64_e64 s[30:31], v[42:43], v[38:39]
	v_cmp_gt_i32_e64 s[24:25], s33, v134
	s_or_b64 s[28:29], s[28:29], s[30:31]
	s_and_b64 s[24:25], s[24:25], s[28:29]
	s_xor_b64 s[28:29], s[24:25], -1
                                        ; implicit-def: $vgpr46_vgpr47
                                        ; implicit-def: $vgpr135
	s_and_saveexec_b64 s[30:31], s[28:29]
	s_xor_b64 s[28:29], exec, s[30:31]
	s_cbranch_execz .LBB149_256
; %bb.255:                              ;   in Loop: Header=BB149_2 Depth=1
	v_lshlrev_b32_e32 v29, 3, v28
	ds_read_b64 v[46:47], v29 offset:8
	v_add_u32_e32 v135, 1, v28
.LBB149_256:                            ;   in Loop: Header=BB149_2 Depth=1
	s_or_saveexec_b64 s[28:29], s[28:29]
	v_mov_b32_e32 v133, v28
	v_mov_b64_e32 v[52:53], v[42:43]
	s_xor_b64 exec, exec, s[28:29]
	s_cbranch_execz .LBB149_1
; %bb.257:                              ;   in Loop: Header=BB149_2 Depth=1
	s_waitcnt lgkmcnt(0)
	v_lshlrev_b32_e32 v46, 3, v134
	ds_read_b64 v[52:53], v46 offset:8
	v_add_u32_e32 v29, 1, v134
	v_mov_b32_e32 v133, v134
	v_mov_b32_e32 v135, v28
	;; [unrolled: 1-line block ×3, first 2 shown]
	v_mov_b64_e32 v[46:47], v[38:39]
	s_branch .LBB149_1
.LBB149_258:
	s_add_u32 s0, s90, s92
	s_waitcnt lgkmcnt(7)
	v_lshl_add_u64 v[2:3], v[20:21], 0, v[8:9]
	s_addc_u32 s1, s91, s93
	v_lshlrev_b32_e32 v0, 3, v0
	v_mov_b32_e32 v1, 0
	s_waitcnt lgkmcnt(6)
	v_lshl_add_u64 v[8:9], v[28:29], 0, v[10:11]
	s_waitcnt lgkmcnt(3)
	v_lshl_add_u64 v[10:11], v[24:25], 0, v[16:17]
	;; [unrolled: 2-line block ×3, first 2 shown]
	v_lshl_add_u64 v[18:19], s[0:1], 0, v[0:1]
	global_store_dwordx2 v0, v[2:3], s[0:1]
	global_store_dwordx2 v0, v[8:9], s[0:1] offset:2048
	s_movk_i32 s0, 0x1000
	v_add_co_u32_e32 v0, vcc, s0, v18
	v_lshl_add_u64 v[4:5], v[22:23], 0, v[4:5]
	s_nop 0
	v_addc_co_u32_e32 v1, vcc, 0, v19, vcc
	v_lshl_add_u64 v[6:7], v[26:27], 0, v[6:7]
	global_store_dwordx2 v[0:1], v[4:5], off
	global_store_dwordx2 v[0:1], v[6:7], off offset:2048
	v_add_co_u32_e32 v0, vcc, 0x2000, v18
	s_waitcnt lgkmcnt(1)
	v_lshl_add_u64 v[12:13], v[32:33], 0, v[12:13]
	v_addc_co_u32_e32 v1, vcc, 0, v19, vcc
	global_store_dwordx2 v[0:1], v[10:11], off
	global_store_dwordx2 v[0:1], v[16:17], off offset:2048
	v_add_co_u32_e32 v0, vcc, 0x3000, v18
	s_waitcnt lgkmcnt(0)
	v_lshl_add_u64 v[14:15], v[34:35], 0, v[14:15]
	v_addc_co_u32_e32 v1, vcc, 0, v19, vcc
	global_store_dwordx2 v[0:1], v[12:13], off
	global_store_dwordx2 v[0:1], v[14:15], off offset:2048
	s_endpgm
	.section	.rodata,"a",@progbits
	.p2align	6, 0x0
	.amdhsa_kernel _Z17sort_pairs_kernelIxLj256ELj8EN10test_utils4lessELj10EEvPKT_PS2_T2_
		.amdhsa_group_segment_fixed_size 16392
		.amdhsa_private_segment_fixed_size 0
		.amdhsa_kernarg_size 20
		.amdhsa_user_sgpr_count 2
		.amdhsa_user_sgpr_dispatch_ptr 0
		.amdhsa_user_sgpr_queue_ptr 0
		.amdhsa_user_sgpr_kernarg_segment_ptr 1
		.amdhsa_user_sgpr_dispatch_id 0
		.amdhsa_user_sgpr_kernarg_preload_length 0
		.amdhsa_user_sgpr_kernarg_preload_offset 0
		.amdhsa_user_sgpr_private_segment_size 0
		.amdhsa_uses_dynamic_stack 0
		.amdhsa_enable_private_segment 0
		.amdhsa_system_sgpr_workgroup_id_x 1
		.amdhsa_system_sgpr_workgroup_id_y 0
		.amdhsa_system_sgpr_workgroup_id_z 0
		.amdhsa_system_sgpr_workgroup_info 0
		.amdhsa_system_vgpr_workitem_id 0
		.amdhsa_next_free_vgpr 136
		.amdhsa_next_free_sgpr 96
		.amdhsa_accum_offset 136
		.amdhsa_reserve_vcc 1
		.amdhsa_float_round_mode_32 0
		.amdhsa_float_round_mode_16_64 0
		.amdhsa_float_denorm_mode_32 3
		.amdhsa_float_denorm_mode_16_64 3
		.amdhsa_dx10_clamp 1
		.amdhsa_ieee_mode 1
		.amdhsa_fp16_overflow 0
		.amdhsa_tg_split 0
		.amdhsa_exception_fp_ieee_invalid_op 0
		.amdhsa_exception_fp_denorm_src 0
		.amdhsa_exception_fp_ieee_div_zero 0
		.amdhsa_exception_fp_ieee_overflow 0
		.amdhsa_exception_fp_ieee_underflow 0
		.amdhsa_exception_fp_ieee_inexact 0
		.amdhsa_exception_int_div_zero 0
	.end_amdhsa_kernel
	.section	.text._Z17sort_pairs_kernelIxLj256ELj8EN10test_utils4lessELj10EEvPKT_PS2_T2_,"axG",@progbits,_Z17sort_pairs_kernelIxLj256ELj8EN10test_utils4lessELj10EEvPKT_PS2_T2_,comdat
.Lfunc_end149:
	.size	_Z17sort_pairs_kernelIxLj256ELj8EN10test_utils4lessELj10EEvPKT_PS2_T2_, .Lfunc_end149-_Z17sort_pairs_kernelIxLj256ELj8EN10test_utils4lessELj10EEvPKT_PS2_T2_
                                        ; -- End function
	.section	.AMDGPU.csdata,"",@progbits
; Kernel info:
; codeLenInByte = 14968
; NumSgprs: 102
; NumVgprs: 136
; NumAgprs: 0
; TotalNumVgprs: 136
; ScratchSize: 0
; MemoryBound: 0
; FloatMode: 240
; IeeeMode: 1
; LDSByteSize: 16392 bytes/workgroup (compile time only)
; SGPRBlocks: 12
; VGPRBlocks: 16
; NumSGPRsForWavesPerEU: 102
; NumVGPRsForWavesPerEU: 136
; AccumOffset: 136
; Occupancy: 3
; WaveLimiterHint : 1
; COMPUTE_PGM_RSRC2:SCRATCH_EN: 0
; COMPUTE_PGM_RSRC2:USER_SGPR: 2
; COMPUTE_PGM_RSRC2:TRAP_HANDLER: 0
; COMPUTE_PGM_RSRC2:TGID_X_EN: 1
; COMPUTE_PGM_RSRC2:TGID_Y_EN: 0
; COMPUTE_PGM_RSRC2:TGID_Z_EN: 0
; COMPUTE_PGM_RSRC2:TIDIG_COMP_CNT: 0
; COMPUTE_PGM_RSRC3_GFX90A:ACCUM_OFFSET: 33
; COMPUTE_PGM_RSRC3_GFX90A:TG_SPLIT: 0
	.section	.text._Z16sort_keys_kernelIxLj512ELj1EN10test_utils4lessELj10EEvPKT_PS2_T2_,"axG",@progbits,_Z16sort_keys_kernelIxLj512ELj1EN10test_utils4lessELj10EEvPKT_PS2_T2_,comdat
	.protected	_Z16sort_keys_kernelIxLj512ELj1EN10test_utils4lessELj10EEvPKT_PS2_T2_ ; -- Begin function _Z16sort_keys_kernelIxLj512ELj1EN10test_utils4lessELj10EEvPKT_PS2_T2_
	.globl	_Z16sort_keys_kernelIxLj512ELj1EN10test_utils4lessELj10EEvPKT_PS2_T2_
	.p2align	8
	.type	_Z16sort_keys_kernelIxLj512ELj1EN10test_utils4lessELj10EEvPKT_PS2_T2_,@function
_Z16sort_keys_kernelIxLj512ELj1EN10test_utils4lessELj10EEvPKT_PS2_T2_: ; @_Z16sort_keys_kernelIxLj512ELj1EN10test_utils4lessELj10EEvPKT_PS2_T2_
; %bb.0:
	v_and_b32_e32 v2, 0x1fe, v0
	v_and_b32_e32 v1, 1, v0
	v_or_b32_e32 v4, 1, v2
	v_sub_u32_e32 v5, v4, v2
	v_lshlrev_b32_e32 v6, 3, v2
	v_add_u32_e32 v2, -1, v1
	v_cmp_lt_i32_e32 vcc, 0, v1
	s_load_dwordx4 s[20:23], s[0:1], 0x0
	v_and_b32_e32 v9, 3, v0
	v_cndmask_b32_e32 v7, 0, v2, vcc
	v_and_b32_e32 v2, 0x1fc, v0
	v_or_b32_e32 v3, 2, v2
	v_add_u32_e32 v10, 4, v2
	v_sub_u32_e32 v14, v10, v3
	v_sub_u32_e32 v11, v3, v2
	v_lshlrev_b32_e32 v12, 3, v2
	v_sub_u32_e32 v2, v9, v14
	v_cmp_ge_i32_e64 s[0:1], v9, v14
	s_lshl_b32 s24, s2, 9
	s_mov_b32 s25, 0
	v_cndmask_b32_e64 v14, 0, v2, s[0:1]
	v_and_b32_e32 v2, 0x1f8, v0
	s_lshl_b64 s[26:27], s[24:25], 3
	v_lshlrev_b32_e32 v13, 3, v3
	v_add_u32_e32 v16, v3, v9
	v_or_b32_e32 v3, 4, v2
	v_add_u32_e32 v18, 8, v2
	s_waitcnt lgkmcnt(0)
	s_add_u32 s4, s20, s26
	v_and_b32_e32 v17, 7, v0
	v_sub_u32_e32 v22, v18, v3
	s_addc_u32 s5, s21, s27
	v_sub_u32_e32 v19, v3, v2
	v_lshlrev_b32_e32 v20, 3, v2
	v_sub_u32_e32 v2, v17, v22
	v_cmp_ge_i32_e64 s[2:3], v17, v22
	v_lshlrev_b32_e32 v25, 3, v0
	v_lshlrev_b32_e32 v21, 3, v3
	v_cndmask_b32_e64 v22, 0, v2, s[2:3]
	v_add_u32_e32 v24, v3, v17
	global_load_dwordx2 v[2:3], v25, s[4:5]
	v_and_b32_e32 v53, 0x180, v0
	v_or_b32_e32 v59, 64, v53
	v_add_u32_e32 v51, 0x80, v53
	v_and_b32_e32 v29, 0x1f0, v0
	v_and_b32_e32 v37, 0x1e0, v0
	v_and_b32_e32 v45, 0x1c0, v0
	v_and_b32_e32 v50, 0x7f, v0
	v_sub_u32_e32 v54, v51, v59
	v_and_b32_e32 v61, 0x100, v0
	v_or_b32_e32 v33, 8, v29
	v_add_u32_e32 v27, 16, v29
	v_or_b32_e32 v41, 16, v37
	v_add_u32_e32 v35, 32, v37
	;; [unrolled: 2-line block ×3, first 2 shown]
	v_sub_u32_e32 v55, v50, v54
	v_cmp_ge_i32_e64 s[10:11], v50, v54
	v_or_b32_e32 v65, 0x80, v61
	v_add_u32_e32 v56, 0x100, v61
	v_and_b32_e32 v26, 15, v0
	v_sub_u32_e32 v31, v27, v33
	v_and_b32_e32 v34, 31, v0
	v_sub_u32_e32 v39, v35, v41
	;; [unrolled: 2-line block ×3, first 2 shown]
	v_cndmask_b32_e64 v54, 0, v55, s[10:11]
	v_and_b32_e32 v55, 0xff, v0
	v_sub_u32_e32 v62, v56, v65
	v_sub_u32_e32 v28, v33, v29
	;; [unrolled: 1-line block ×3, first 2 shown]
	v_cmp_ge_i32_e64 s[4:5], v26, v31
	v_sub_u32_e32 v36, v41, v37
	v_sub_u32_e32 v40, v34, v39
	v_cmp_ge_i32_e64 s[6:7], v34, v39
	v_sub_u32_e32 v44, v49, v45
	v_sub_u32_e32 v48, v42, v47
	;; [unrolled: 3-line block ×3, first 2 shown]
	v_sub_u32_e32 v60, v65, v61
	v_cmp_ge_i32_e64 s[12:13], v55, v62
	v_mov_b32_e32 v66, 0x100
	v_min_i32_e32 v8, v1, v5
	v_min_i32_e32 v15, v9, v11
	v_min_i32_e32 v23, v17, v19
	v_cndmask_b32_e64 v31, 0, v32, s[4:5]
	v_min_i32_e32 v32, v26, v28
	v_cndmask_b32_e64 v39, 0, v40, s[6:7]
	v_min_i32_e32 v40, v34, v36
	;; [unrolled: 2-line block ×3, first 2 shown]
	v_min_i32_e32 v57, v50, v52
	v_cndmask_b32_e64 v62, 0, v63, s[12:13]
	v_min_i32_e32 v63, v55, v60
	v_sub_u32_e64 v67, v0, v66 clamp
	v_min_i32_e32 v68, 0x100, v0
	v_cmp_lt_i32_e32 vcc, v7, v8
	v_cmp_lt_i32_e64 s[0:1], v14, v15
	v_cmp_lt_i32_e64 s[2:3], v22, v23
	v_lshlrev_b32_e32 v29, 3, v29
	v_lshlrev_b32_e32 v30, 3, v33
	v_cmp_lt_i32_e64 s[4:5], v31, v32
	v_add_u32_e32 v33, v33, v26
	v_lshlrev_b32_e32 v37, 3, v37
	v_lshlrev_b32_e32 v38, 3, v41
	v_cmp_lt_i32_e64 s[6:7], v39, v40
	v_add_u32_e32 v41, v41, v34
	;; [unrolled: 4-line block ×3, first 2 shown]
	v_lshlrev_b32_e32 v53, 3, v53
	v_cmp_lt_i32_e64 s[10:11], v54, v57
	v_lshlrev_b32_e32 v58, 3, v59
	v_add_u32_e32 v59, v59, v50
	v_lshlrev_b32_e32 v61, 3, v61
	v_cmp_lt_i32_e64 s[12:13], v62, v63
	v_lshlrev_b32_e32 v64, 3, v65
	v_add_u32_e32 v65, v65, v55
	v_cmp_lt_i32_e64 s[14:15], v67, v68
	s_movk_i32 s24, 0x200
	v_lshlrev_b32_e32 v69, 3, v4
	v_add_u32_e32 v70, v4, v1
	v_mov_b32_e32 v71, 0x800
	v_add_u32_e32 v72, 0x100, v0
	s_branch .LBB150_2
.LBB150_1:                              ;   in Loop: Header=BB150_2 Depth=1
	s_or_b64 exec, exec, s[18:19]
	v_sub_u32_e32 v3, v72, v2
	v_lshlrev_b32_e32 v73, 3, v2
	v_lshlrev_b32_e32 v76, 3, v3
	ds_read_b64 v[74:75], v73
	ds_read_b64 v[76:77], v76
	v_cmp_ge_i32_e64 s[16:17], v2, v66
	v_cmp_gt_i32_e64 s[18:19], s24, v3
	s_add_i32 s25, s25, 1
	s_waitcnt lgkmcnt(0)
	v_cmp_lt_i64_e64 s[20:21], v[76:77], v[74:75]
	s_or_b64 s[16:17], s[16:17], s[20:21]
	s_and_b64 s[16:17], s[18:19], s[16:17]
	v_cndmask_b32_e64 v3, v75, v77, s[16:17]
	s_cmp_eq_u32 s25, 10
	v_cndmask_b32_e64 v2, v74, v76, s[16:17]
	s_cbranch_scc1 .LBB150_38
.LBB150_2:                              ; =>This Loop Header: Depth=1
                                        ;     Child Loop BB150_4 Depth 2
                                        ;     Child Loop BB150_8 Depth 2
	;; [unrolled: 1-line block ×9, first 2 shown]
	s_barrier
	s_waitcnt vmcnt(0)
	ds_write_b64 v25, v[2:3]
	v_mov_b32_e32 v2, v7
	s_waitcnt lgkmcnt(0)
	s_barrier
	s_and_saveexec_b64 s[18:19], vcc
	s_cbranch_execz .LBB150_6
; %bb.3:                                ;   in Loop: Header=BB150_2 Depth=1
	s_mov_b64 s[20:21], 0
	v_mov_b32_e32 v2, v7
	v_mov_b32_e32 v3, v8
.LBB150_4:                              ;   Parent Loop BB150_2 Depth=1
                                        ; =>  This Inner Loop Header: Depth=2
	v_sub_u32_e32 v73, v3, v2
	v_lshrrev_b32_e32 v74, 31, v73
	v_add_u32_e32 v73, v73, v74
	v_ashrrev_i32_e32 v73, 1, v73
	v_add_u32_e32 v73, v73, v2
	v_xad_u32 v75, v73, -1, v1
	v_lshl_add_u32 v74, v73, 3, v6
	v_lshl_add_u32 v76, v75, 3, v69
	ds_read_b64 v[74:75], v74
	ds_read_b64 v[76:77], v76
	v_add_u32_e32 v78, 1, v73
	s_waitcnt lgkmcnt(0)
	v_cmp_lt_i64_e64 s[16:17], v[76:77], v[74:75]
	s_nop 1
	v_cndmask_b32_e64 v3, v3, v73, s[16:17]
	v_cndmask_b32_e64 v2, v78, v2, s[16:17]
	v_cmp_ge_i32_e64 s[16:17], v2, v3
	s_or_b64 s[20:21], s[16:17], s[20:21]
	s_andn2_b64 exec, exec, s[20:21]
	s_cbranch_execnz .LBB150_4
; %bb.5:                                ;   in Loop: Header=BB150_2 Depth=1
	s_or_b64 exec, exec, s[20:21]
.LBB150_6:                              ;   in Loop: Header=BB150_2 Depth=1
	s_or_b64 exec, exec, s[18:19]
	v_sub_u32_e32 v3, v70, v2
	v_lshl_add_u32 v73, v2, 3, v6
	v_lshlrev_b32_e32 v76, 3, v3
	ds_read_b64 v[74:75], v73
	ds_read_b64 v[76:77], v76
	v_cmp_ge_i32_e64 s[16:17], v2, v5
	v_cmp_ge_i32_e64 s[18:19], v4, v3
	s_waitcnt lgkmcnt(0)
	s_barrier
	v_cmp_lt_i64_e64 s[20:21], v[76:77], v[74:75]
	s_or_b64 s[16:17], s[16:17], s[20:21]
	s_and_b64 s[16:17], s[18:19], s[16:17]
	v_cndmask_b32_e64 v3, v75, v77, s[16:17]
	v_cndmask_b32_e64 v2, v74, v76, s[16:17]
	ds_write_b64 v25, v[2:3]
	v_mov_b32_e32 v2, v14
	s_waitcnt lgkmcnt(0)
	s_barrier
	s_and_saveexec_b64 s[18:19], s[0:1]
	s_cbranch_execz .LBB150_10
; %bb.7:                                ;   in Loop: Header=BB150_2 Depth=1
	s_mov_b64 s[20:21], 0
	v_mov_b32_e32 v2, v14
	v_mov_b32_e32 v3, v15
.LBB150_8:                              ;   Parent Loop BB150_2 Depth=1
                                        ; =>  This Inner Loop Header: Depth=2
	v_sub_u32_e32 v73, v3, v2
	v_lshrrev_b32_e32 v74, 31, v73
	v_add_u32_e32 v73, v73, v74
	v_ashrrev_i32_e32 v73, 1, v73
	v_add_u32_e32 v73, v73, v2
	v_xad_u32 v75, v73, -1, v9
	v_lshl_add_u32 v74, v73, 3, v12
	v_lshl_add_u32 v76, v75, 3, v13
	ds_read_b64 v[74:75], v74
	ds_read_b64 v[76:77], v76
	v_add_u32_e32 v78, 1, v73
	s_waitcnt lgkmcnt(0)
	v_cmp_lt_i64_e64 s[16:17], v[76:77], v[74:75]
	s_nop 1
	v_cndmask_b32_e64 v3, v3, v73, s[16:17]
	v_cndmask_b32_e64 v2, v78, v2, s[16:17]
	v_cmp_ge_i32_e64 s[16:17], v2, v3
	s_or_b64 s[20:21], s[16:17], s[20:21]
	s_andn2_b64 exec, exec, s[20:21]
	s_cbranch_execnz .LBB150_8
; %bb.9:                                ;   in Loop: Header=BB150_2 Depth=1
	s_or_b64 exec, exec, s[20:21]
.LBB150_10:                             ;   in Loop: Header=BB150_2 Depth=1
	s_or_b64 exec, exec, s[18:19]
	v_sub_u32_e32 v3, v16, v2
	v_lshl_add_u32 v73, v2, 3, v12
	v_lshlrev_b32_e32 v76, 3, v3
	ds_read_b64 v[74:75], v73
	ds_read_b64 v[76:77], v76
	v_cmp_ge_i32_e64 s[16:17], v2, v11
	v_cmp_gt_i32_e64 s[18:19], v10, v3
	s_waitcnt lgkmcnt(0)
	s_barrier
	v_cmp_lt_i64_e64 s[20:21], v[76:77], v[74:75]
	s_or_b64 s[16:17], s[16:17], s[20:21]
	s_and_b64 s[16:17], s[18:19], s[16:17]
	v_cndmask_b32_e64 v3, v75, v77, s[16:17]
	v_cndmask_b32_e64 v2, v74, v76, s[16:17]
	ds_write_b64 v25, v[2:3]
	v_mov_b32_e32 v2, v22
	s_waitcnt lgkmcnt(0)
	s_barrier
	s_and_saveexec_b64 s[18:19], s[2:3]
	s_cbranch_execz .LBB150_14
; %bb.11:                               ;   in Loop: Header=BB150_2 Depth=1
	s_mov_b64 s[20:21], 0
	v_mov_b32_e32 v2, v22
	v_mov_b32_e32 v3, v23
.LBB150_12:                             ;   Parent Loop BB150_2 Depth=1
                                        ; =>  This Inner Loop Header: Depth=2
	v_sub_u32_e32 v73, v3, v2
	v_lshrrev_b32_e32 v74, 31, v73
	v_add_u32_e32 v73, v73, v74
	v_ashrrev_i32_e32 v73, 1, v73
	v_add_u32_e32 v73, v73, v2
	v_xad_u32 v75, v73, -1, v17
	v_lshl_add_u32 v74, v73, 3, v20
	v_lshl_add_u32 v76, v75, 3, v21
	ds_read_b64 v[74:75], v74
	ds_read_b64 v[76:77], v76
	v_add_u32_e32 v78, 1, v73
	s_waitcnt lgkmcnt(0)
	v_cmp_lt_i64_e64 s[16:17], v[76:77], v[74:75]
	s_nop 1
	v_cndmask_b32_e64 v3, v3, v73, s[16:17]
	v_cndmask_b32_e64 v2, v78, v2, s[16:17]
	v_cmp_ge_i32_e64 s[16:17], v2, v3
	s_or_b64 s[20:21], s[16:17], s[20:21]
	s_andn2_b64 exec, exec, s[20:21]
	s_cbranch_execnz .LBB150_12
; %bb.13:                               ;   in Loop: Header=BB150_2 Depth=1
	s_or_b64 exec, exec, s[20:21]
.LBB150_14:                             ;   in Loop: Header=BB150_2 Depth=1
	s_or_b64 exec, exec, s[18:19]
	v_sub_u32_e32 v3, v24, v2
	v_lshl_add_u32 v73, v2, 3, v20
	v_lshlrev_b32_e32 v76, 3, v3
	ds_read_b64 v[74:75], v73
	ds_read_b64 v[76:77], v76
	v_cmp_ge_i32_e64 s[16:17], v2, v19
	v_cmp_gt_i32_e64 s[18:19], v18, v3
	s_waitcnt lgkmcnt(0)
	s_barrier
	v_cmp_lt_i64_e64 s[20:21], v[76:77], v[74:75]
	s_or_b64 s[16:17], s[16:17], s[20:21]
	s_and_b64 s[16:17], s[18:19], s[16:17]
	v_cndmask_b32_e64 v3, v75, v77, s[16:17]
	v_cndmask_b32_e64 v2, v74, v76, s[16:17]
	ds_write_b64 v25, v[2:3]
	v_mov_b32_e32 v2, v31
	s_waitcnt lgkmcnt(0)
	s_barrier
	s_and_saveexec_b64 s[18:19], s[4:5]
	s_cbranch_execz .LBB150_18
; %bb.15:                               ;   in Loop: Header=BB150_2 Depth=1
	s_mov_b64 s[20:21], 0
	v_mov_b32_e32 v2, v31
	v_mov_b32_e32 v3, v32
.LBB150_16:                             ;   Parent Loop BB150_2 Depth=1
                                        ; =>  This Inner Loop Header: Depth=2
	v_sub_u32_e32 v73, v3, v2
	v_lshrrev_b32_e32 v74, 31, v73
	v_add_u32_e32 v73, v73, v74
	v_ashrrev_i32_e32 v73, 1, v73
	v_add_u32_e32 v73, v73, v2
	v_xad_u32 v75, v73, -1, v26
	v_lshl_add_u32 v74, v73, 3, v29
	v_lshl_add_u32 v76, v75, 3, v30
	ds_read_b64 v[74:75], v74
	ds_read_b64 v[76:77], v76
	v_add_u32_e32 v78, 1, v73
	s_waitcnt lgkmcnt(0)
	v_cmp_lt_i64_e64 s[16:17], v[76:77], v[74:75]
	s_nop 1
	v_cndmask_b32_e64 v3, v3, v73, s[16:17]
	v_cndmask_b32_e64 v2, v78, v2, s[16:17]
	v_cmp_ge_i32_e64 s[16:17], v2, v3
	s_or_b64 s[20:21], s[16:17], s[20:21]
	s_andn2_b64 exec, exec, s[20:21]
	s_cbranch_execnz .LBB150_16
; %bb.17:                               ;   in Loop: Header=BB150_2 Depth=1
	s_or_b64 exec, exec, s[20:21]
.LBB150_18:                             ;   in Loop: Header=BB150_2 Depth=1
	;; [unrolled: 50-line block ×6, first 2 shown]
	s_or_b64 exec, exec, s[18:19]
	v_sub_u32_e32 v3, v65, v2
	v_lshl_add_u32 v73, v2, 3, v61
	v_lshlrev_b32_e32 v76, 3, v3
	ds_read_b64 v[74:75], v73
	ds_read_b64 v[76:77], v76
	v_cmp_ge_i32_e64 s[16:17], v2, v60
	v_cmp_gt_i32_e64 s[18:19], v56, v3
	s_waitcnt lgkmcnt(0)
	s_barrier
	v_cmp_lt_i64_e64 s[20:21], v[76:77], v[74:75]
	s_or_b64 s[16:17], s[16:17], s[20:21]
	s_and_b64 s[16:17], s[18:19], s[16:17]
	v_cndmask_b32_e64 v3, v75, v77, s[16:17]
	v_cndmask_b32_e64 v2, v74, v76, s[16:17]
	ds_write_b64 v25, v[2:3]
	v_mov_b32_e32 v2, v67
	s_waitcnt lgkmcnt(0)
	s_barrier
	s_and_saveexec_b64 s[18:19], s[14:15]
	s_cbranch_execz .LBB150_1
; %bb.35:                               ;   in Loop: Header=BB150_2 Depth=1
	s_mov_b64 s[20:21], 0
	v_mov_b32_e32 v2, v67
	v_mov_b32_e32 v3, v68
.LBB150_36:                             ;   Parent Loop BB150_2 Depth=1
                                        ; =>  This Inner Loop Header: Depth=2
	v_sub_u32_e32 v73, v3, v2
	v_lshrrev_b32_e32 v74, 31, v73
	v_add_u32_e32 v73, v73, v74
	v_ashrrev_i32_e32 v73, 1, v73
	v_add_u32_e32 v73, v73, v2
	v_xad_u32 v75, v73, -1, v0
	v_lshlrev_b32_e32 v74, 3, v73
	v_lshl_add_u32 v76, v75, 3, v71
	ds_read_b64 v[74:75], v74
	ds_read_b64 v[76:77], v76
	v_add_u32_e32 v78, 1, v73
	s_waitcnt lgkmcnt(0)
	v_cmp_lt_i64_e64 s[16:17], v[76:77], v[74:75]
	s_nop 1
	v_cndmask_b32_e64 v3, v3, v73, s[16:17]
	v_cndmask_b32_e64 v2, v78, v2, s[16:17]
	v_cmp_ge_i32_e64 s[16:17], v2, v3
	s_or_b64 s[20:21], s[16:17], s[20:21]
	s_andn2_b64 exec, exec, s[20:21]
	s_cbranch_execnz .LBB150_36
; %bb.37:                               ;   in Loop: Header=BB150_2 Depth=1
	s_or_b64 exec, exec, s[20:21]
	s_branch .LBB150_1
.LBB150_38:
	s_add_u32 s0, s22, s26
	s_addc_u32 s1, s23, s27
	v_lshlrev_b32_e32 v0, 3, v0
	global_store_dwordx2 v0, v[2:3], s[0:1]
	s_endpgm
	.section	.rodata,"a",@progbits
	.p2align	6, 0x0
	.amdhsa_kernel _Z16sort_keys_kernelIxLj512ELj1EN10test_utils4lessELj10EEvPKT_PS2_T2_
		.amdhsa_group_segment_fixed_size 4104
		.amdhsa_private_segment_fixed_size 0
		.amdhsa_kernarg_size 20
		.amdhsa_user_sgpr_count 2
		.amdhsa_user_sgpr_dispatch_ptr 0
		.amdhsa_user_sgpr_queue_ptr 0
		.amdhsa_user_sgpr_kernarg_segment_ptr 1
		.amdhsa_user_sgpr_dispatch_id 0
		.amdhsa_user_sgpr_kernarg_preload_length 0
		.amdhsa_user_sgpr_kernarg_preload_offset 0
		.amdhsa_user_sgpr_private_segment_size 0
		.amdhsa_uses_dynamic_stack 0
		.amdhsa_enable_private_segment 0
		.amdhsa_system_sgpr_workgroup_id_x 1
		.amdhsa_system_sgpr_workgroup_id_y 0
		.amdhsa_system_sgpr_workgroup_id_z 0
		.amdhsa_system_sgpr_workgroup_info 0
		.amdhsa_system_vgpr_workitem_id 0
		.amdhsa_next_free_vgpr 79
		.amdhsa_next_free_sgpr 28
		.amdhsa_accum_offset 80
		.amdhsa_reserve_vcc 1
		.amdhsa_float_round_mode_32 0
		.amdhsa_float_round_mode_16_64 0
		.amdhsa_float_denorm_mode_32 3
		.amdhsa_float_denorm_mode_16_64 3
		.amdhsa_dx10_clamp 1
		.amdhsa_ieee_mode 1
		.amdhsa_fp16_overflow 0
		.amdhsa_tg_split 0
		.amdhsa_exception_fp_ieee_invalid_op 0
		.amdhsa_exception_fp_denorm_src 0
		.amdhsa_exception_fp_ieee_div_zero 0
		.amdhsa_exception_fp_ieee_overflow 0
		.amdhsa_exception_fp_ieee_underflow 0
		.amdhsa_exception_fp_ieee_inexact 0
		.amdhsa_exception_int_div_zero 0
	.end_amdhsa_kernel
	.section	.text._Z16sort_keys_kernelIxLj512ELj1EN10test_utils4lessELj10EEvPKT_PS2_T2_,"axG",@progbits,_Z16sort_keys_kernelIxLj512ELj1EN10test_utils4lessELj10EEvPKT_PS2_T2_,comdat
.Lfunc_end150:
	.size	_Z16sort_keys_kernelIxLj512ELj1EN10test_utils4lessELj10EEvPKT_PS2_T2_, .Lfunc_end150-_Z16sort_keys_kernelIxLj512ELj1EN10test_utils4lessELj10EEvPKT_PS2_T2_
                                        ; -- End function
	.section	.AMDGPU.csdata,"",@progbits
; Kernel info:
; codeLenInByte = 2980
; NumSgprs: 34
; NumVgprs: 79
; NumAgprs: 0
; TotalNumVgprs: 79
; ScratchSize: 0
; MemoryBound: 0
; FloatMode: 240
; IeeeMode: 1
; LDSByteSize: 4104 bytes/workgroup (compile time only)
; SGPRBlocks: 4
; VGPRBlocks: 9
; NumSGPRsForWavesPerEU: 34
; NumVGPRsForWavesPerEU: 79
; AccumOffset: 80
; Occupancy: 6
; WaveLimiterHint : 0
; COMPUTE_PGM_RSRC2:SCRATCH_EN: 0
; COMPUTE_PGM_RSRC2:USER_SGPR: 2
; COMPUTE_PGM_RSRC2:TRAP_HANDLER: 0
; COMPUTE_PGM_RSRC2:TGID_X_EN: 1
; COMPUTE_PGM_RSRC2:TGID_Y_EN: 0
; COMPUTE_PGM_RSRC2:TGID_Z_EN: 0
; COMPUTE_PGM_RSRC2:TIDIG_COMP_CNT: 0
; COMPUTE_PGM_RSRC3_GFX90A:ACCUM_OFFSET: 19
; COMPUTE_PGM_RSRC3_GFX90A:TG_SPLIT: 0
	.section	.text._Z17sort_pairs_kernelIxLj512ELj1EN10test_utils4lessELj10EEvPKT_PS2_T2_,"axG",@progbits,_Z17sort_pairs_kernelIxLj512ELj1EN10test_utils4lessELj10EEvPKT_PS2_T2_,comdat
	.protected	_Z17sort_pairs_kernelIxLj512ELj1EN10test_utils4lessELj10EEvPKT_PS2_T2_ ; -- Begin function _Z17sort_pairs_kernelIxLj512ELj1EN10test_utils4lessELj10EEvPKT_PS2_T2_
	.globl	_Z17sort_pairs_kernelIxLj512ELj1EN10test_utils4lessELj10EEvPKT_PS2_T2_
	.p2align	8
	.type	_Z17sort_pairs_kernelIxLj512ELj1EN10test_utils4lessELj10EEvPKT_PS2_T2_,@function
_Z17sort_pairs_kernelIxLj512ELj1EN10test_utils4lessELj10EEvPKT_PS2_T2_: ; @_Z17sort_pairs_kernelIxLj512ELj1EN10test_utils4lessELj10EEvPKT_PS2_T2_
; %bb.0:
	s_load_dwordx4 s[20:23], s[0:1], 0x0
	v_and_b32_e32 v6, 0x1fe, v0
	s_lshl_b32 s24, s2, 9
	s_mov_b32 s25, 0
	v_and_b32_e32 v7, 1, v0
	v_or_b32_e32 v8, 1, v6
	v_and_b32_e32 v14, 0x1fc, v0
	s_lshl_b64 s[26:27], s[24:25], 3
	v_sub_u32_e32 v2, v8, v6
	v_add_u32_e32 v3, -1, v7
	v_cmp_lt_i32_e32 vcc, 0, v7
	v_or_b32_e32 v16, 2, v14
	v_add_u32_e32 v17, 4, v14
	v_and_b32_e32 v23, 0x1f8, v0
	s_waitcnt lgkmcnt(0)
	s_add_u32 s4, s20, s26
	v_cndmask_b32_e32 v11, 0, v3, vcc
	v_min_i32_e32 v12, v7, v2
	v_and_b32_e32 v15, 3, v0
	v_sub_u32_e32 v2, v16, v14
	v_sub_u32_e32 v3, v17, v16
	v_or_b32_e32 v25, 4, v23
	v_add_u32_e32 v26, 8, v23
	s_addc_u32 s5, s21, s27
	v_lshlrev_b32_e32 v1, 3, v0
	v_sub_u32_e32 v4, v15, v3
	v_cmp_ge_i32_e64 s[0:1], v15, v3
	v_min_i32_e32 v21, v15, v2
	v_and_b32_e32 v24, 7, v0
	v_sub_u32_e32 v2, v25, v23
	v_sub_u32_e32 v3, v26, v25
	v_cndmask_b32_e64 v20, 0, v4, s[0:1]
	v_sub_u32_e32 v4, v24, v3
	v_cmp_ge_i32_e64 s[2:3], v24, v3
	v_min_i32_e32 v29, v24, v2
	global_load_dwordx2 v[2:3], v1, s[4:5]
	v_and_b32_e32 v30, 0x1f0, v0
	v_or_b32_e32 v32, 8, v30
	v_add_u32_e32 v33, 16, v30
	v_and_b32_e32 v36, 0x1e0, v0
	v_and_b32_e32 v31, 15, v0
	v_sub_u32_e32 v5, v33, v32
	v_or_b32_e32 v38, 16, v36
	v_add_u32_e32 v39, 32, v36
	v_and_b32_e32 v42, 0x1c0, v0
	v_cndmask_b32_e64 v28, 0, v4, s[2:3]
	v_sub_u32_e32 v4, v32, v30
	v_sub_u32_e32 v34, v31, v5
	v_cmp_ge_i32_e64 s[4:5], v31, v5
	v_and_b32_e32 v37, 31, v0
	v_sub_u32_e32 v5, v39, v38
	v_or_b32_e32 v44, 32, v42
	v_add_u32_e32 v45, 64, v42
	v_and_b32_e32 v48, 0x180, v0
	v_min_i32_e32 v35, v31, v4
	v_sub_u32_e32 v4, v38, v36
	v_sub_u32_e32 v40, v37, v5
	v_cmp_ge_i32_e64 s[6:7], v37, v5
	v_and_b32_e32 v43, 63, v0
	v_sub_u32_e32 v5, v45, v44
	v_or_b32_e32 v50, 64, v48
	v_add_u32_e32 v51, 0x80, v48
	v_and_b32_e32 v55, 0x100, v0
	v_min_i32_e32 v41, v37, v4
	v_sub_u32_e32 v4, v44, v42
	v_sub_u32_e32 v46, v43, v5
	v_cmp_ge_i32_e64 s[8:9], v43, v5
	v_and_b32_e32 v49, 0x7f, v0
	v_sub_u32_e32 v5, v51, v50
	v_or_b32_e32 v57, 0x80, v55
	v_add_u32_e32 v58, 0x100, v55
	v_min_i32_e32 v47, v43, v4
	v_sub_u32_e32 v4, v50, v48
	v_sub_u32_e32 v52, v49, v5
	v_cmp_ge_i32_e64 s[10:11], v49, v5
	v_and_b32_e32 v56, 0xff, v0
	v_sub_u32_e32 v5, v58, v57
	v_min_i32_e32 v53, v49, v4
	v_mov_b32_e32 v54, 0x100
	v_sub_u32_e32 v4, v57, v55
	v_sub_u32_e32 v59, v56, v5
	v_cmp_ge_i32_e64 s[12:13], v56, v5
	v_cndmask_b32_e64 v34, 0, v34, s[4:5]
	v_cndmask_b32_e64 v40, 0, v40, s[6:7]
	;; [unrolled: 1-line block ×5, first 2 shown]
	v_min_i32_e32 v60, v56, v4
	v_sub_u32_e64 v61, v0, v54 clamp
	v_min_i32_e32 v62, 0x100, v0
	v_lshlrev_b32_e32 v9, 3, v6
	v_lshlrev_b32_e32 v10, 3, v8
	v_cmp_lt_i32_e32 vcc, v11, v12
	v_add_u32_e32 v13, v8, v7
	v_lshlrev_b32_e32 v18, 3, v14
	v_lshlrev_b32_e32 v19, 3, v16
	v_cmp_lt_i32_e64 s[0:1], v20, v21
	v_add_u32_e32 v22, v16, v15
	v_lshlrev_b32_e32 v27, 3, v23
	v_cmp_lt_i32_e64 s[2:3], v28, v29
	v_cmp_lt_i32_e64 s[4:5], v34, v35
	;; [unrolled: 1-line block ×7, first 2 shown]
	s_movk_i32 s24, 0x200
	v_lshlrev_b32_e32 v63, 3, v25
	v_add_u32_e32 v64, v25, v24
	v_lshlrev_b32_e32 v65, 3, v30
	v_lshlrev_b32_e32 v66, 3, v32
	v_add_u32_e32 v67, v32, v31
	v_lshlrev_b32_e32 v68, 3, v36
	;; [unrolled: 3-line block ×5, first 2 shown]
	v_lshlrev_b32_e32 v78, 3, v57
	v_add_u32_e32 v79, v57, v56
	v_mov_b32_e32 v80, 0x800
	v_add_u32_e32 v81, 0x100, v0
	s_waitcnt vmcnt(0)
	v_lshl_add_u64 v[4:5], v[2:3], 0, 1
	s_branch .LBB151_2
.LBB151_1:                              ;   in Loop: Header=BB151_2 Depth=1
	s_or_b64 exec, exec, s[18:19]
	v_sub_u32_e32 v86, v81, v2
	v_lshlrev_b32_e32 v3, 3, v2
	v_lshlrev_b32_e32 v84, 3, v86
	ds_read_b64 v[82:83], v3
	ds_read_b64 v[84:85], v84
	v_cmp_le_i32_e64 s[16:17], v54, v2
	v_cmp_gt_i32_e64 s[18:19], s24, v86
	s_waitcnt lgkmcnt(0)
	s_barrier
	v_cmp_lt_i64_e64 s[20:21], v[84:85], v[82:83]
	s_or_b64 s[16:17], s[16:17], s[20:21]
	s_and_b64 s[16:17], s[18:19], s[16:17]
	v_cndmask_b32_e64 v2, v2, v86, s[16:17]
	v_lshlrev_b32_e32 v2, 3, v2
	ds_write_b64 v1, v[4:5]
	s_waitcnt lgkmcnt(0)
	s_barrier
	ds_read_b64 v[4:5], v2
	s_add_i32 s25, s25, 1
	v_cndmask_b32_e64 v3, v83, v85, s[16:17]
	s_cmp_lg_u32 s25, 10
	v_cndmask_b32_e64 v2, v82, v84, s[16:17]
	s_cbranch_scc0 .LBB151_38
.LBB151_2:                              ; =>This Loop Header: Depth=1
                                        ;     Child Loop BB151_4 Depth 2
                                        ;     Child Loop BB151_8 Depth 2
	;; [unrolled: 1-line block ×9, first 2 shown]
	s_barrier
	ds_write_b64 v1, v[2:3]
	v_mov_b32_e32 v2, v11
	s_waitcnt lgkmcnt(0)
	s_barrier
	s_and_saveexec_b64 s[18:19], vcc
	s_cbranch_execz .LBB151_6
; %bb.3:                                ;   in Loop: Header=BB151_2 Depth=1
	s_mov_b64 s[20:21], 0
	v_mov_b32_e32 v2, v11
	v_mov_b32_e32 v3, v12
.LBB151_4:                              ;   Parent Loop BB151_2 Depth=1
                                        ; =>  This Inner Loop Header: Depth=2
	v_sub_u32_e32 v82, v3, v2
	v_lshrrev_b32_e32 v83, 31, v82
	v_add_u32_e32 v82, v82, v83
	v_ashrrev_i32_e32 v82, 1, v82
	v_add_u32_e32 v86, v82, v2
	v_xad_u32 v83, v86, -1, v7
	v_lshl_add_u32 v82, v86, 3, v9
	v_lshl_add_u32 v84, v83, 3, v10
	ds_read_b64 v[82:83], v82
	ds_read_b64 v[84:85], v84
	v_add_u32_e32 v87, 1, v86
	s_waitcnt lgkmcnt(0)
	v_cmp_lt_i64_e64 s[16:17], v[84:85], v[82:83]
	s_nop 1
	v_cndmask_b32_e64 v3, v3, v86, s[16:17]
	v_cndmask_b32_e64 v2, v87, v2, s[16:17]
	v_cmp_ge_i32_e64 s[16:17], v2, v3
	s_or_b64 s[20:21], s[16:17], s[20:21]
	s_andn2_b64 exec, exec, s[20:21]
	s_cbranch_execnz .LBB151_4
; %bb.5:                                ;   in Loop: Header=BB151_2 Depth=1
	s_or_b64 exec, exec, s[20:21]
.LBB151_6:                              ;   in Loop: Header=BB151_2 Depth=1
	s_or_b64 exec, exec, s[18:19]
	v_sub_u32_e32 v3, v13, v2
	v_lshl_add_u32 v82, v2, 3, v9
	v_lshlrev_b32_e32 v84, 3, v3
	ds_read_b64 v[82:83], v82
	ds_read_b64 v[84:85], v84
	v_add_u32_e32 v2, v2, v6
	v_cmp_le_i32_e64 s[18:19], v8, v2
	v_cmp_ge_i32_e64 s[16:17], v8, v3
	s_waitcnt lgkmcnt(0)
	v_cmp_lt_i64_e64 s[20:21], v[84:85], v[82:83]
	s_or_b64 s[18:19], s[18:19], s[20:21]
	s_and_b64 s[16:17], s[16:17], s[18:19]
	v_cndmask_b32_e64 v2, v2, v3, s[16:17]
	v_lshlrev_b32_e32 v2, 3, v2
	s_barrier
	ds_write_b64 v1, v[4:5]
	s_waitcnt lgkmcnt(0)
	s_barrier
	ds_read_b64 v[2:3], v2
	v_cndmask_b32_e64 v83, v83, v85, s[16:17]
	v_cndmask_b32_e64 v82, v82, v84, s[16:17]
	v_mov_b32_e32 v4, v20
	s_waitcnt lgkmcnt(0)
	s_barrier
	ds_write_b64 v1, v[82:83]
	s_waitcnt lgkmcnt(0)
	s_barrier
	s_and_saveexec_b64 s[18:19], s[0:1]
	s_cbranch_execz .LBB151_10
; %bb.7:                                ;   in Loop: Header=BB151_2 Depth=1
	s_mov_b64 s[20:21], 0
	v_mov_b32_e32 v4, v20
	v_mov_b32_e32 v5, v21
.LBB151_8:                              ;   Parent Loop BB151_2 Depth=1
                                        ; =>  This Inner Loop Header: Depth=2
	v_sub_u32_e32 v82, v5, v4
	v_lshrrev_b32_e32 v83, 31, v82
	v_add_u32_e32 v82, v82, v83
	v_ashrrev_i32_e32 v82, 1, v82
	v_add_u32_e32 v86, v82, v4
	v_xad_u32 v83, v86, -1, v15
	v_lshl_add_u32 v82, v86, 3, v18
	v_lshl_add_u32 v84, v83, 3, v19
	ds_read_b64 v[82:83], v82
	ds_read_b64 v[84:85], v84
	v_add_u32_e32 v87, 1, v86
	s_waitcnt lgkmcnt(0)
	v_cmp_lt_i64_e64 s[16:17], v[84:85], v[82:83]
	s_nop 1
	v_cndmask_b32_e64 v5, v5, v86, s[16:17]
	v_cndmask_b32_e64 v4, v87, v4, s[16:17]
	v_cmp_ge_i32_e64 s[16:17], v4, v5
	s_or_b64 s[20:21], s[16:17], s[20:21]
	s_andn2_b64 exec, exec, s[20:21]
	s_cbranch_execnz .LBB151_8
; %bb.9:                                ;   in Loop: Header=BB151_2 Depth=1
	s_or_b64 exec, exec, s[20:21]
.LBB151_10:                             ;   in Loop: Header=BB151_2 Depth=1
	s_or_b64 exec, exec, s[18:19]
	v_sub_u32_e32 v86, v22, v4
	v_lshl_add_u32 v5, v4, 3, v18
	v_lshlrev_b32_e32 v84, 3, v86
	ds_read_b64 v[82:83], v5
	ds_read_b64 v[84:85], v84
	v_add_u32_e32 v87, v4, v14
	v_cmp_le_i32_e64 s[18:19], v16, v87
	v_cmp_gt_i32_e64 s[16:17], v17, v86
	s_waitcnt lgkmcnt(0)
	v_cmp_lt_i64_e64 s[20:21], v[84:85], v[82:83]
	s_or_b64 s[18:19], s[18:19], s[20:21]
	s_and_b64 s[16:17], s[16:17], s[18:19]
	v_cndmask_b32_e64 v4, v82, v84, s[16:17]
	v_cndmask_b32_e64 v82, v87, v86, s[16:17]
	s_barrier
	ds_write_b64 v1, v[2:3]
	v_lshlrev_b32_e32 v2, 3, v82
	s_waitcnt lgkmcnt(0)
	s_barrier
	ds_read_b64 v[2:3], v2
	v_cndmask_b32_e64 v5, v83, v85, s[16:17]
	s_waitcnt lgkmcnt(0)
	s_barrier
	ds_write_b64 v1, v[4:5]
	v_mov_b32_e32 v4, v28
	s_waitcnt lgkmcnt(0)
	s_barrier
	s_and_saveexec_b64 s[18:19], s[2:3]
	s_cbranch_execz .LBB151_14
; %bb.11:                               ;   in Loop: Header=BB151_2 Depth=1
	s_mov_b64 s[20:21], 0
	v_mov_b32_e32 v4, v28
	v_mov_b32_e32 v5, v29
.LBB151_12:                             ;   Parent Loop BB151_2 Depth=1
                                        ; =>  This Inner Loop Header: Depth=2
	v_sub_u32_e32 v82, v5, v4
	v_lshrrev_b32_e32 v83, 31, v82
	v_add_u32_e32 v82, v82, v83
	v_ashrrev_i32_e32 v82, 1, v82
	v_add_u32_e32 v86, v82, v4
	v_xad_u32 v83, v86, -1, v24
	v_lshl_add_u32 v82, v86, 3, v27
	v_lshl_add_u32 v84, v83, 3, v63
	ds_read_b64 v[82:83], v82
	ds_read_b64 v[84:85], v84
	v_add_u32_e32 v87, 1, v86
	s_waitcnt lgkmcnt(0)
	v_cmp_lt_i64_e64 s[16:17], v[84:85], v[82:83]
	s_nop 1
	v_cndmask_b32_e64 v5, v5, v86, s[16:17]
	v_cndmask_b32_e64 v4, v87, v4, s[16:17]
	v_cmp_ge_i32_e64 s[16:17], v4, v5
	s_or_b64 s[20:21], s[16:17], s[20:21]
	s_andn2_b64 exec, exec, s[20:21]
	s_cbranch_execnz .LBB151_12
; %bb.13:                               ;   in Loop: Header=BB151_2 Depth=1
	s_or_b64 exec, exec, s[20:21]
.LBB151_14:                             ;   in Loop: Header=BB151_2 Depth=1
	s_or_b64 exec, exec, s[18:19]
	v_sub_u32_e32 v86, v64, v4
	v_lshl_add_u32 v5, v4, 3, v27
	v_lshlrev_b32_e32 v84, 3, v86
	ds_read_b64 v[82:83], v5
	ds_read_b64 v[84:85], v84
	v_add_u32_e32 v87, v4, v23
	v_cmp_le_i32_e64 s[18:19], v25, v87
	v_cmp_gt_i32_e64 s[16:17], v26, v86
	s_waitcnt lgkmcnt(0)
	v_cmp_lt_i64_e64 s[20:21], v[84:85], v[82:83]
	s_or_b64 s[18:19], s[18:19], s[20:21]
	s_and_b64 s[16:17], s[16:17], s[18:19]
	v_cndmask_b32_e64 v4, v82, v84, s[16:17]
	v_cndmask_b32_e64 v82, v87, v86, s[16:17]
	s_barrier
	ds_write_b64 v1, v[2:3]
	v_lshlrev_b32_e32 v2, 3, v82
	s_waitcnt lgkmcnt(0)
	s_barrier
	ds_read_b64 v[2:3], v2
	v_cndmask_b32_e64 v5, v83, v85, s[16:17]
	s_waitcnt lgkmcnt(0)
	s_barrier
	ds_write_b64 v1, v[4:5]
	v_mov_b32_e32 v4, v34
	s_waitcnt lgkmcnt(0)
	s_barrier
	s_and_saveexec_b64 s[18:19], s[4:5]
	s_cbranch_execz .LBB151_18
; %bb.15:                               ;   in Loop: Header=BB151_2 Depth=1
	s_mov_b64 s[20:21], 0
	v_mov_b32_e32 v4, v34
	v_mov_b32_e32 v5, v35
.LBB151_16:                             ;   Parent Loop BB151_2 Depth=1
                                        ; =>  This Inner Loop Header: Depth=2
	v_sub_u32_e32 v82, v5, v4
	v_lshrrev_b32_e32 v83, 31, v82
	v_add_u32_e32 v82, v82, v83
	v_ashrrev_i32_e32 v82, 1, v82
	v_add_u32_e32 v86, v82, v4
	v_xad_u32 v83, v86, -1, v31
	v_lshl_add_u32 v82, v86, 3, v65
	v_lshl_add_u32 v84, v83, 3, v66
	ds_read_b64 v[82:83], v82
	ds_read_b64 v[84:85], v84
	v_add_u32_e32 v87, 1, v86
	s_waitcnt lgkmcnt(0)
	v_cmp_lt_i64_e64 s[16:17], v[84:85], v[82:83]
	s_nop 1
	v_cndmask_b32_e64 v5, v5, v86, s[16:17]
	v_cndmask_b32_e64 v4, v87, v4, s[16:17]
	v_cmp_ge_i32_e64 s[16:17], v4, v5
	s_or_b64 s[20:21], s[16:17], s[20:21]
	s_andn2_b64 exec, exec, s[20:21]
	s_cbranch_execnz .LBB151_16
; %bb.17:                               ;   in Loop: Header=BB151_2 Depth=1
	s_or_b64 exec, exec, s[20:21]
.LBB151_18:                             ;   in Loop: Header=BB151_2 Depth=1
	;; [unrolled: 59-line block ×6, first 2 shown]
	s_or_b64 exec, exec, s[18:19]
	v_sub_u32_e32 v5, v79, v4
	v_lshl_add_u32 v82, v4, 3, v77
	v_lshlrev_b32_e32 v84, 3, v5
	ds_read_b64 v[82:83], v82
	ds_read_b64 v[84:85], v84
	v_add_u32_e32 v4, v4, v55
	v_cmp_le_i32_e64 s[18:19], v57, v4
	v_cmp_gt_i32_e64 s[16:17], v58, v5
	s_waitcnt lgkmcnt(0)
	v_cmp_lt_i64_e64 s[20:21], v[84:85], v[82:83]
	s_or_b64 s[18:19], s[18:19], s[20:21]
	s_and_b64 s[16:17], s[16:17], s[18:19]
	v_cndmask_b32_e64 v4, v4, v5, s[16:17]
	s_barrier
	ds_write_b64 v1, v[2:3]
	v_lshlrev_b32_e32 v2, 3, v4
	s_waitcnt lgkmcnt(0)
	s_barrier
	ds_read_b64 v[4:5], v2
	v_cndmask_b32_e64 v83, v83, v85, s[16:17]
	v_cndmask_b32_e64 v82, v82, v84, s[16:17]
	v_mov_b32_e32 v2, v61
	s_waitcnt lgkmcnt(0)
	s_barrier
	ds_write_b64 v1, v[82:83]
	s_waitcnt lgkmcnt(0)
	s_barrier
	s_and_saveexec_b64 s[18:19], s[14:15]
	s_cbranch_execz .LBB151_1
; %bb.35:                               ;   in Loop: Header=BB151_2 Depth=1
	s_mov_b64 s[20:21], 0
	v_mov_b32_e32 v2, v61
	v_mov_b32_e32 v3, v62
.LBB151_36:                             ;   Parent Loop BB151_2 Depth=1
                                        ; =>  This Inner Loop Header: Depth=2
	v_sub_u32_e32 v82, v3, v2
	v_lshrrev_b32_e32 v83, 31, v82
	v_add_u32_e32 v82, v82, v83
	v_ashrrev_i32_e32 v82, 1, v82
	v_add_u32_e32 v86, v82, v2
	v_xad_u32 v83, v86, -1, v0
	v_lshlrev_b32_e32 v82, 3, v86
	v_lshl_add_u32 v84, v83, 3, v80
	ds_read_b64 v[82:83], v82
	ds_read_b64 v[84:85], v84
	v_add_u32_e32 v87, 1, v86
	s_waitcnt lgkmcnt(0)
	v_cmp_lt_i64_e64 s[16:17], v[84:85], v[82:83]
	s_nop 1
	v_cndmask_b32_e64 v3, v3, v86, s[16:17]
	v_cndmask_b32_e64 v2, v87, v2, s[16:17]
	v_cmp_ge_i32_e64 s[16:17], v2, v3
	s_or_b64 s[20:21], s[16:17], s[20:21]
	s_andn2_b64 exec, exec, s[20:21]
	s_cbranch_execnz .LBB151_36
; %bb.37:                               ;   in Loop: Header=BB151_2 Depth=1
	s_or_b64 exec, exec, s[20:21]
	s_branch .LBB151_1
.LBB151_38:
	s_add_u32 s0, s22, s26
	s_waitcnt lgkmcnt(0)
	v_lshl_add_u64 v[2:3], v[2:3], 0, v[4:5]
	s_addc_u32 s1, s23, s27
	v_lshlrev_b32_e32 v0, 3, v0
	global_store_dwordx2 v0, v[2:3], s[0:1]
	s_endpgm
	.section	.rodata,"a",@progbits
	.p2align	6, 0x0
	.amdhsa_kernel _Z17sort_pairs_kernelIxLj512ELj1EN10test_utils4lessELj10EEvPKT_PS2_T2_
		.amdhsa_group_segment_fixed_size 4104
		.amdhsa_private_segment_fixed_size 0
		.amdhsa_kernarg_size 20
		.amdhsa_user_sgpr_count 2
		.amdhsa_user_sgpr_dispatch_ptr 0
		.amdhsa_user_sgpr_queue_ptr 0
		.amdhsa_user_sgpr_kernarg_segment_ptr 1
		.amdhsa_user_sgpr_dispatch_id 0
		.amdhsa_user_sgpr_kernarg_preload_length 0
		.amdhsa_user_sgpr_kernarg_preload_offset 0
		.amdhsa_user_sgpr_private_segment_size 0
		.amdhsa_uses_dynamic_stack 0
		.amdhsa_enable_private_segment 0
		.amdhsa_system_sgpr_workgroup_id_x 1
		.amdhsa_system_sgpr_workgroup_id_y 0
		.amdhsa_system_sgpr_workgroup_id_z 0
		.amdhsa_system_sgpr_workgroup_info 0
		.amdhsa_system_vgpr_workitem_id 0
		.amdhsa_next_free_vgpr 88
		.amdhsa_next_free_sgpr 28
		.amdhsa_accum_offset 88
		.amdhsa_reserve_vcc 1
		.amdhsa_float_round_mode_32 0
		.amdhsa_float_round_mode_16_64 0
		.amdhsa_float_denorm_mode_32 3
		.amdhsa_float_denorm_mode_16_64 3
		.amdhsa_dx10_clamp 1
		.amdhsa_ieee_mode 1
		.amdhsa_fp16_overflow 0
		.amdhsa_tg_split 0
		.amdhsa_exception_fp_ieee_invalid_op 0
		.amdhsa_exception_fp_denorm_src 0
		.amdhsa_exception_fp_ieee_div_zero 0
		.amdhsa_exception_fp_ieee_overflow 0
		.amdhsa_exception_fp_ieee_underflow 0
		.amdhsa_exception_fp_ieee_inexact 0
		.amdhsa_exception_int_div_zero 0
	.end_amdhsa_kernel
	.section	.text._Z17sort_pairs_kernelIxLj512ELj1EN10test_utils4lessELj10EEvPKT_PS2_T2_,"axG",@progbits,_Z17sort_pairs_kernelIxLj512ELj1EN10test_utils4lessELj10EEvPKT_PS2_T2_,comdat
.Lfunc_end151:
	.size	_Z17sort_pairs_kernelIxLj512ELj1EN10test_utils4lessELj10EEvPKT_PS2_T2_, .Lfunc_end151-_Z17sort_pairs_kernelIxLj512ELj1EN10test_utils4lessELj10EEvPKT_PS2_T2_
                                        ; -- End function
	.section	.AMDGPU.csdata,"",@progbits
; Kernel info:
; codeLenInByte = 3424
; NumSgprs: 34
; NumVgprs: 88
; NumAgprs: 0
; TotalNumVgprs: 88
; ScratchSize: 0
; MemoryBound: 0
; FloatMode: 240
; IeeeMode: 1
; LDSByteSize: 4104 bytes/workgroup (compile time only)
; SGPRBlocks: 4
; VGPRBlocks: 10
; NumSGPRsForWavesPerEU: 34
; NumVGPRsForWavesPerEU: 88
; AccumOffset: 88
; Occupancy: 5
; WaveLimiterHint : 0
; COMPUTE_PGM_RSRC2:SCRATCH_EN: 0
; COMPUTE_PGM_RSRC2:USER_SGPR: 2
; COMPUTE_PGM_RSRC2:TRAP_HANDLER: 0
; COMPUTE_PGM_RSRC2:TGID_X_EN: 1
; COMPUTE_PGM_RSRC2:TGID_Y_EN: 0
; COMPUTE_PGM_RSRC2:TGID_Z_EN: 0
; COMPUTE_PGM_RSRC2:TIDIG_COMP_CNT: 0
; COMPUTE_PGM_RSRC3_GFX90A:ACCUM_OFFSET: 21
; COMPUTE_PGM_RSRC3_GFX90A:TG_SPLIT: 0
	.section	.text._Z16sort_keys_kernelIxLj512ELj2EN10test_utils4lessELj10EEvPKT_PS2_T2_,"axG",@progbits,_Z16sort_keys_kernelIxLj512ELj2EN10test_utils4lessELj10EEvPKT_PS2_T2_,comdat
	.protected	_Z16sort_keys_kernelIxLj512ELj2EN10test_utils4lessELj10EEvPKT_PS2_T2_ ; -- Begin function _Z16sort_keys_kernelIxLj512ELj2EN10test_utils4lessELj10EEvPKT_PS2_T2_
	.globl	_Z16sort_keys_kernelIxLj512ELj2EN10test_utils4lessELj10EEvPKT_PS2_T2_
	.p2align	8
	.type	_Z16sort_keys_kernelIxLj512ELj2EN10test_utils4lessELj10EEvPKT_PS2_T2_,@function
_Z16sort_keys_kernelIxLj512ELj2EN10test_utils4lessELj10EEvPKT_PS2_T2_: ; @_Z16sort_keys_kernelIxLj512ELj2EN10test_utils4lessELj10EEvPKT_PS2_T2_
; %bb.0:
	s_load_dwordx4 s[20:23], s[0:1], 0x0
	s_lshl_b32 s24, s2, 10
	s_mov_b32 s25, 0
	s_lshl_b64 s[26:27], s[24:25], 3
	v_mov_b32_e32 v7, 0
	s_waitcnt lgkmcnt(0)
	s_add_u32 s0, s20, s26
	s_addc_u32 s1, s21, s27
	v_lshlrev_b32_e32 v6, 3, v0
	v_lshl_add_u64 v[2:3], s[0:1], 0, v[6:7]
	s_movk_i32 s2, 0x1000
	v_add_co_u32_e32 v8, vcc, s2, v2
	v_lshlrev_b32_e32 v1, 1, v0
	s_nop 0
	v_addc_co_u32_e32 v9, vcc, 0, v3, vcc
	global_load_dwordx2 v[2:3], v6, s[0:1]
	global_load_dwordx2 v[4:5], v[8:9], off
	v_and_b32_e32 v11, 0x3fc, v1
	v_or_b32_e32 v13, 2, v11
	v_add_u32_e32 v14, 4, v11
	v_and_b32_e32 v18, 0x3f8, v1
	v_and_b32_e32 v12, 2, v1
	v_sub_u32_e32 v7, v14, v13
	v_or_b32_e32 v20, 4, v18
	v_add_u32_e32 v21, 8, v18
	v_and_b32_e32 v24, 0x3f0, v1
	v_sub_u32_e32 v6, v13, v11
	v_sub_u32_e32 v8, v12, v7
	v_cmp_ge_i32_e32 vcc, v12, v7
	v_and_b32_e32 v19, 6, v1
	v_sub_u32_e32 v7, v21, v20
	v_or_b32_e32 v26, 8, v24
	v_add_u32_e32 v27, 16, v24
	v_and_b32_e32 v30, 0x3e0, v1
	v_cndmask_b32_e32 v16, 0, v8, vcc
	v_min_i32_e32 v17, v12, v6
	v_sub_u32_e32 v6, v20, v18
	v_sub_u32_e32 v8, v19, v7
	v_cmp_ge_i32_e64 s[0:1], v19, v7
	v_and_b32_e32 v25, 14, v1
	v_sub_u32_e32 v7, v27, v26
	v_or_b32_e32 v32, 16, v30
	v_add_u32_e32 v33, 32, v30
	v_and_b32_e32 v36, 0x3c0, v1
	v_cndmask_b32_e64 v22, 0, v8, s[0:1]
	v_min_i32_e32 v23, v19, v6
	v_sub_u32_e32 v6, v26, v24
	v_sub_u32_e32 v8, v25, v7
	v_cmp_ge_i32_e64 s[2:3], v25, v7
	v_and_b32_e32 v31, 30, v1
	v_sub_u32_e32 v7, v33, v32
	v_or_b32_e32 v38, 32, v36
	v_add_u32_e32 v39, 64, v36
	v_and_b32_e32 v42, 0x380, v1
	v_cndmask_b32_e64 v28, 0, v8, s[2:3]
	;; [unrolled: 10-line block ×4, first 2 shown]
	v_min_i32_e32 v41, v37, v6
	v_sub_u32_e32 v6, v44, v42
	v_sub_u32_e32 v8, v43, v7
	v_cmp_ge_i32_e64 s[8:9], v43, v7
	v_and_b32_e32 v49, 0xfe, v1
	v_sub_u32_e32 v7, v51, v50
	v_or_b32_e32 v57, 0x100, v55
	v_add_u32_e32 v58, 0x200, v55
	v_cndmask_b32_e64 v46, 0, v8, s[8:9]
	v_min_i32_e32 v47, v43, v6
	v_sub_u32_e32 v6, v50, v48
	v_sub_u32_e32 v8, v49, v7
	v_cmp_ge_i32_e64 s[10:11], v49, v7
	v_and_b32_e32 v56, 0x1fe, v1
	v_sub_u32_e32 v7, v58, v57
	v_cndmask_b32_e64 v52, 0, v8, s[10:11]
	v_min_i32_e32 v53, v49, v6
	v_mov_b32_e32 v54, 0x200
	v_sub_u32_e32 v6, v57, v55
	v_sub_u32_e32 v8, v56, v7
	v_cmp_ge_i32_e64 s[12:13], v56, v7
	v_min_i32_e32 v60, v56, v6
	v_sub_u32_e64 v61, v1, v54 clamp
	v_cndmask_b32_e64 v59, 0, v8, s[12:13]
	v_min_i32_e32 v62, 0x200, v1
	v_lshlrev_b32_e32 v10, 4, v0
	v_lshlrev_b32_e32 v15, 3, v11
	v_cmp_lt_i32_e32 vcc, v16, v17
	v_cmp_lt_i32_e64 s[0:1], v22, v23
	v_cmp_lt_i32_e64 s[2:3], v28, v29
	;; [unrolled: 1-line block ×8, first 2 shown]
	s_movk_i32 s24, 0x400
	v_lshlrev_b32_e32 v63, 3, v13
	v_add_u32_e32 v64, v13, v12
	v_lshlrev_b32_e32 v65, 3, v18
	v_lshlrev_b32_e32 v66, 3, v20
	v_add_u32_e32 v67, v20, v19
	v_lshlrev_b32_e32 v68, 3, v24
	;; [unrolled: 3-line block ×7, first 2 shown]
	v_lshlrev_b32_e32 v84, 3, v57
	v_add_u32_e32 v85, v57, v56
	v_mov_b32_e32 v86, 0x1000
	v_add_u32_e32 v87, 0x200, v1
	s_branch .LBB152_2
.LBB152_1:                              ;   in Loop: Header=BB152_2 Depth=1
	s_or_b64 exec, exec, s[18:19]
	v_cmp_ge_i32_e64 s[18:19], v88, v54
	s_waitcnt lgkmcnt(0)
	v_cmp_lt_i64_e64 s[20:21], v[8:9], v[6:7]
	v_cndmask_b32_e64 v3, v3, v5, s[16:17]
	v_cndmask_b32_e64 v2, v2, v4, s[16:17]
	v_cmp_gt_i32_e64 s[16:17], s24, v89
	s_or_b64 s[18:19], s[18:19], s[20:21]
	s_and_b64 s[16:17], s[16:17], s[18:19]
	s_add_i32 s25, s25, 1
	v_cndmask_b32_e64 v5, v7, v9, s[16:17]
	s_cmp_eq_u32 s25, 10
	v_cndmask_b32_e64 v4, v6, v8, s[16:17]
	s_cbranch_scc1 .LBB152_74
.LBB152_2:                              ; =>This Loop Header: Depth=1
                                        ;     Child Loop BB152_4 Depth 2
                                        ;     Child Loop BB152_12 Depth 2
	;; [unrolled: 1-line block ×9, first 2 shown]
	s_waitcnt vmcnt(0)
	v_cmp_lt_i64_e64 s[16:17], v[4:5], v[2:3]
	s_barrier
	s_nop 0
	v_cndmask_b32_e64 v7, v5, v3, s[16:17]
	v_cndmask_b32_e64 v6, v4, v2, s[16:17]
	;; [unrolled: 1-line block ×4, first 2 shown]
	ds_write2_b64 v10, v[2:3], v[6:7] offset1:1
	v_mov_b32_e32 v6, v16
	s_waitcnt lgkmcnt(0)
	s_barrier
	s_and_saveexec_b64 s[18:19], vcc
	s_cbranch_execz .LBB152_6
; %bb.3:                                ;   in Loop: Header=BB152_2 Depth=1
	s_mov_b64 s[20:21], 0
	v_mov_b32_e32 v6, v16
	v_mov_b32_e32 v2, v17
.LBB152_4:                              ;   Parent Loop BB152_2 Depth=1
                                        ; =>  This Inner Loop Header: Depth=2
	v_sub_u32_e32 v3, v2, v6
	v_lshrrev_b32_e32 v4, 31, v3
	v_add_u32_e32 v3, v3, v4
	v_ashrrev_i32_e32 v3, 1, v3
	v_add_u32_e32 v3, v3, v6
	v_lshl_add_u32 v4, v3, 3, v15
	v_xad_u32 v5, v3, -1, v12
	v_lshl_add_u32 v7, v5, 3, v63
	ds_read_b64 v[4:5], v4
	ds_read_b64 v[8:9], v7
	v_add_u32_e32 v7, 1, v3
	s_waitcnt lgkmcnt(0)
	v_cmp_lt_i64_e64 s[16:17], v[8:9], v[4:5]
	s_nop 1
	v_cndmask_b32_e64 v2, v2, v3, s[16:17]
	v_cndmask_b32_e64 v6, v7, v6, s[16:17]
	v_cmp_ge_i32_e64 s[16:17], v6, v2
	s_or_b64 s[20:21], s[16:17], s[20:21]
	s_andn2_b64 exec, exec, s[20:21]
	s_cbranch_execnz .LBB152_4
; %bb.5:                                ;   in Loop: Header=BB152_2 Depth=1
	s_or_b64 exec, exec, s[20:21]
.LBB152_6:                              ;   in Loop: Header=BB152_2 Depth=1
	s_or_b64 exec, exec, s[18:19]
	v_sub_u32_e32 v88, v64, v6
	v_lshl_add_u32 v8, v6, 3, v15
	v_lshlrev_b32_e32 v90, 3, v88
	ds_read_b64 v[2:3], v8
	ds_read_b64 v[4:5], v90
	v_add_u32_e32 v89, v6, v11
	v_cmp_le_i32_e64 s[18:19], v13, v89
	v_cmp_gt_i32_e64 s[16:17], v14, v88
                                        ; implicit-def: $vgpr6_vgpr7
	s_waitcnt lgkmcnt(0)
	v_cmp_lt_i64_e64 s[20:21], v[4:5], v[2:3]
	s_or_b64 s[18:19], s[18:19], s[20:21]
	s_and_b64 s[16:17], s[16:17], s[18:19]
	s_xor_b64 s[18:19], s[16:17], -1
	s_and_saveexec_b64 s[20:21], s[18:19]
	s_xor_b64 s[18:19], exec, s[20:21]
	s_cbranch_execz .LBB152_8
; %bb.7:                                ;   in Loop: Header=BB152_2 Depth=1
	ds_read_b64 v[6:7], v8 offset:8
                                        ; implicit-def: $vgpr90
.LBB152_8:                              ;   in Loop: Header=BB152_2 Depth=1
	s_or_saveexec_b64 s[18:19], s[18:19]
	v_mov_b64_e32 v[8:9], v[4:5]
	s_xor_b64 exec, exec, s[18:19]
	s_cbranch_execz .LBB152_10
; %bb.9:                                ;   in Loop: Header=BB152_2 Depth=1
	ds_read_b64 v[8:9], v90 offset:8
	s_waitcnt lgkmcnt(1)
	v_mov_b64_e32 v[6:7], v[2:3]
.LBB152_10:                             ;   in Loop: Header=BB152_2 Depth=1
	s_or_b64 exec, exec, s[18:19]
	v_cndmask_b32_e64 v3, v3, v5, s[16:17]
	v_add_u32_e32 v5, 1, v89
	v_cndmask_b32_e64 v2, v2, v4, s[16:17]
	v_add_u32_e32 v4, 1, v88
	v_cndmask_b32_e64 v5, v5, v89, s[16:17]
	v_cndmask_b32_e64 v4, v88, v4, s[16:17]
	v_cmp_ge_i32_e64 s[18:19], v5, v13
	s_waitcnt lgkmcnt(0)
	v_cmp_lt_i64_e64 s[20:21], v[8:9], v[6:7]
	v_cmp_lt_i32_e64 s[16:17], v4, v14
	s_or_b64 s[18:19], s[18:19], s[20:21]
	s_and_b64 s[16:17], s[16:17], s[18:19]
	v_cndmask_b32_e64 v5, v7, v9, s[16:17]
	v_cndmask_b32_e64 v4, v6, v8, s[16:17]
	v_mov_b32_e32 v6, v22
	s_barrier
	ds_write2_b64 v10, v[2:3], v[4:5] offset1:1
	s_waitcnt lgkmcnt(0)
	s_barrier
	s_and_saveexec_b64 s[18:19], s[0:1]
	s_cbranch_execz .LBB152_14
; %bb.11:                               ;   in Loop: Header=BB152_2 Depth=1
	s_mov_b64 s[20:21], 0
	v_mov_b32_e32 v6, v22
	v_mov_b32_e32 v2, v23
.LBB152_12:                             ;   Parent Loop BB152_2 Depth=1
                                        ; =>  This Inner Loop Header: Depth=2
	v_sub_u32_e32 v3, v2, v6
	v_lshrrev_b32_e32 v4, 31, v3
	v_add_u32_e32 v3, v3, v4
	v_ashrrev_i32_e32 v3, 1, v3
	v_add_u32_e32 v3, v3, v6
	v_lshl_add_u32 v4, v3, 3, v65
	v_xad_u32 v5, v3, -1, v19
	v_lshl_add_u32 v7, v5, 3, v66
	ds_read_b64 v[4:5], v4
	ds_read_b64 v[8:9], v7
	v_add_u32_e32 v7, 1, v3
	s_waitcnt lgkmcnt(0)
	v_cmp_lt_i64_e64 s[16:17], v[8:9], v[4:5]
	s_nop 1
	v_cndmask_b32_e64 v2, v2, v3, s[16:17]
	v_cndmask_b32_e64 v6, v7, v6, s[16:17]
	v_cmp_ge_i32_e64 s[16:17], v6, v2
	s_or_b64 s[20:21], s[16:17], s[20:21]
	s_andn2_b64 exec, exec, s[20:21]
	s_cbranch_execnz .LBB152_12
; %bb.13:                               ;   in Loop: Header=BB152_2 Depth=1
	s_or_b64 exec, exec, s[20:21]
.LBB152_14:                             ;   in Loop: Header=BB152_2 Depth=1
	s_or_b64 exec, exec, s[18:19]
	v_sub_u32_e32 v88, v67, v6
	v_lshl_add_u32 v8, v6, 3, v65
	v_lshlrev_b32_e32 v90, 3, v88
	ds_read_b64 v[2:3], v8
	ds_read_b64 v[4:5], v90
	v_add_u32_e32 v89, v6, v18
	v_cmp_le_i32_e64 s[18:19], v20, v89
	v_cmp_gt_i32_e64 s[16:17], v21, v88
                                        ; implicit-def: $vgpr6_vgpr7
	s_waitcnt lgkmcnt(0)
	v_cmp_lt_i64_e64 s[20:21], v[4:5], v[2:3]
	s_or_b64 s[18:19], s[18:19], s[20:21]
	s_and_b64 s[16:17], s[16:17], s[18:19]
	s_xor_b64 s[18:19], s[16:17], -1
	s_and_saveexec_b64 s[20:21], s[18:19]
	s_xor_b64 s[18:19], exec, s[20:21]
	s_cbranch_execz .LBB152_16
; %bb.15:                               ;   in Loop: Header=BB152_2 Depth=1
	ds_read_b64 v[6:7], v8 offset:8
                                        ; implicit-def: $vgpr90
.LBB152_16:                             ;   in Loop: Header=BB152_2 Depth=1
	s_or_saveexec_b64 s[18:19], s[18:19]
	v_mov_b64_e32 v[8:9], v[4:5]
	s_xor_b64 exec, exec, s[18:19]
	s_cbranch_execz .LBB152_18
; %bb.17:                               ;   in Loop: Header=BB152_2 Depth=1
	ds_read_b64 v[8:9], v90 offset:8
	s_waitcnt lgkmcnt(1)
	v_mov_b64_e32 v[6:7], v[2:3]
.LBB152_18:                             ;   in Loop: Header=BB152_2 Depth=1
	s_or_b64 exec, exec, s[18:19]
	v_cndmask_b32_e64 v3, v3, v5, s[16:17]
	v_add_u32_e32 v5, 1, v89
	v_cndmask_b32_e64 v2, v2, v4, s[16:17]
	v_add_u32_e32 v4, 1, v88
	v_cndmask_b32_e64 v5, v5, v89, s[16:17]
	v_cndmask_b32_e64 v4, v88, v4, s[16:17]
	v_cmp_ge_i32_e64 s[18:19], v5, v20
	s_waitcnt lgkmcnt(0)
	v_cmp_lt_i64_e64 s[20:21], v[8:9], v[6:7]
	v_cmp_lt_i32_e64 s[16:17], v4, v21
	s_or_b64 s[18:19], s[18:19], s[20:21]
	s_and_b64 s[16:17], s[16:17], s[18:19]
	v_cndmask_b32_e64 v5, v7, v9, s[16:17]
	v_cndmask_b32_e64 v4, v6, v8, s[16:17]
	v_mov_b32_e32 v6, v28
	s_barrier
	ds_write2_b64 v10, v[2:3], v[4:5] offset1:1
	s_waitcnt lgkmcnt(0)
	s_barrier
	s_and_saveexec_b64 s[18:19], s[2:3]
	s_cbranch_execz .LBB152_22
; %bb.19:                               ;   in Loop: Header=BB152_2 Depth=1
	s_mov_b64 s[20:21], 0
	v_mov_b32_e32 v6, v28
	v_mov_b32_e32 v2, v29
.LBB152_20:                             ;   Parent Loop BB152_2 Depth=1
                                        ; =>  This Inner Loop Header: Depth=2
	v_sub_u32_e32 v3, v2, v6
	v_lshrrev_b32_e32 v4, 31, v3
	v_add_u32_e32 v3, v3, v4
	v_ashrrev_i32_e32 v3, 1, v3
	v_add_u32_e32 v3, v3, v6
	v_lshl_add_u32 v4, v3, 3, v68
	v_xad_u32 v5, v3, -1, v25
	v_lshl_add_u32 v7, v5, 3, v69
	ds_read_b64 v[4:5], v4
	ds_read_b64 v[8:9], v7
	v_add_u32_e32 v7, 1, v3
	s_waitcnt lgkmcnt(0)
	v_cmp_lt_i64_e64 s[16:17], v[8:9], v[4:5]
	s_nop 1
	v_cndmask_b32_e64 v2, v2, v3, s[16:17]
	v_cndmask_b32_e64 v6, v7, v6, s[16:17]
	v_cmp_ge_i32_e64 s[16:17], v6, v2
	s_or_b64 s[20:21], s[16:17], s[20:21]
	s_andn2_b64 exec, exec, s[20:21]
	s_cbranch_execnz .LBB152_20
; %bb.21:                               ;   in Loop: Header=BB152_2 Depth=1
	s_or_b64 exec, exec, s[20:21]
.LBB152_22:                             ;   in Loop: Header=BB152_2 Depth=1
	s_or_b64 exec, exec, s[18:19]
	v_sub_u32_e32 v88, v70, v6
	v_lshl_add_u32 v8, v6, 3, v68
	v_lshlrev_b32_e32 v90, 3, v88
	ds_read_b64 v[2:3], v8
	ds_read_b64 v[4:5], v90
	v_add_u32_e32 v89, v6, v24
	v_cmp_le_i32_e64 s[18:19], v26, v89
	v_cmp_gt_i32_e64 s[16:17], v27, v88
                                        ; implicit-def: $vgpr6_vgpr7
	s_waitcnt lgkmcnt(0)
	v_cmp_lt_i64_e64 s[20:21], v[4:5], v[2:3]
	s_or_b64 s[18:19], s[18:19], s[20:21]
	s_and_b64 s[16:17], s[16:17], s[18:19]
	s_xor_b64 s[18:19], s[16:17], -1
	s_and_saveexec_b64 s[20:21], s[18:19]
	s_xor_b64 s[18:19], exec, s[20:21]
	s_cbranch_execz .LBB152_24
; %bb.23:                               ;   in Loop: Header=BB152_2 Depth=1
	ds_read_b64 v[6:7], v8 offset:8
                                        ; implicit-def: $vgpr90
.LBB152_24:                             ;   in Loop: Header=BB152_2 Depth=1
	s_or_saveexec_b64 s[18:19], s[18:19]
	v_mov_b64_e32 v[8:9], v[4:5]
	s_xor_b64 exec, exec, s[18:19]
	s_cbranch_execz .LBB152_26
; %bb.25:                               ;   in Loop: Header=BB152_2 Depth=1
	ds_read_b64 v[8:9], v90 offset:8
	s_waitcnt lgkmcnt(1)
	v_mov_b64_e32 v[6:7], v[2:3]
.LBB152_26:                             ;   in Loop: Header=BB152_2 Depth=1
	s_or_b64 exec, exec, s[18:19]
	v_cndmask_b32_e64 v3, v3, v5, s[16:17]
	v_add_u32_e32 v5, 1, v89
	v_cndmask_b32_e64 v2, v2, v4, s[16:17]
	v_add_u32_e32 v4, 1, v88
	v_cndmask_b32_e64 v5, v5, v89, s[16:17]
	v_cndmask_b32_e64 v4, v88, v4, s[16:17]
	v_cmp_ge_i32_e64 s[18:19], v5, v26
	s_waitcnt lgkmcnt(0)
	v_cmp_lt_i64_e64 s[20:21], v[8:9], v[6:7]
	v_cmp_lt_i32_e64 s[16:17], v4, v27
	s_or_b64 s[18:19], s[18:19], s[20:21]
	s_and_b64 s[16:17], s[16:17], s[18:19]
	v_cndmask_b32_e64 v5, v7, v9, s[16:17]
	v_cndmask_b32_e64 v4, v6, v8, s[16:17]
	v_mov_b32_e32 v6, v34
	s_barrier
	ds_write2_b64 v10, v[2:3], v[4:5] offset1:1
	s_waitcnt lgkmcnt(0)
	s_barrier
	s_and_saveexec_b64 s[18:19], s[4:5]
	s_cbranch_execz .LBB152_30
; %bb.27:                               ;   in Loop: Header=BB152_2 Depth=1
	s_mov_b64 s[20:21], 0
	v_mov_b32_e32 v6, v34
	v_mov_b32_e32 v2, v35
.LBB152_28:                             ;   Parent Loop BB152_2 Depth=1
                                        ; =>  This Inner Loop Header: Depth=2
	v_sub_u32_e32 v3, v2, v6
	v_lshrrev_b32_e32 v4, 31, v3
	v_add_u32_e32 v3, v3, v4
	v_ashrrev_i32_e32 v3, 1, v3
	v_add_u32_e32 v3, v3, v6
	v_lshl_add_u32 v4, v3, 3, v71
	v_xad_u32 v5, v3, -1, v31
	v_lshl_add_u32 v7, v5, 3, v72
	ds_read_b64 v[4:5], v4
	ds_read_b64 v[8:9], v7
	v_add_u32_e32 v7, 1, v3
	s_waitcnt lgkmcnt(0)
	v_cmp_lt_i64_e64 s[16:17], v[8:9], v[4:5]
	s_nop 1
	v_cndmask_b32_e64 v2, v2, v3, s[16:17]
	v_cndmask_b32_e64 v6, v7, v6, s[16:17]
	v_cmp_ge_i32_e64 s[16:17], v6, v2
	s_or_b64 s[20:21], s[16:17], s[20:21]
	s_andn2_b64 exec, exec, s[20:21]
	s_cbranch_execnz .LBB152_28
; %bb.29:                               ;   in Loop: Header=BB152_2 Depth=1
	s_or_b64 exec, exec, s[20:21]
.LBB152_30:                             ;   in Loop: Header=BB152_2 Depth=1
	s_or_b64 exec, exec, s[18:19]
	v_sub_u32_e32 v88, v73, v6
	v_lshl_add_u32 v8, v6, 3, v71
	v_lshlrev_b32_e32 v90, 3, v88
	ds_read_b64 v[2:3], v8
	ds_read_b64 v[4:5], v90
	v_add_u32_e32 v89, v6, v30
	v_cmp_le_i32_e64 s[18:19], v32, v89
	v_cmp_gt_i32_e64 s[16:17], v33, v88
                                        ; implicit-def: $vgpr6_vgpr7
	s_waitcnt lgkmcnt(0)
	v_cmp_lt_i64_e64 s[20:21], v[4:5], v[2:3]
	s_or_b64 s[18:19], s[18:19], s[20:21]
	s_and_b64 s[16:17], s[16:17], s[18:19]
	s_xor_b64 s[18:19], s[16:17], -1
	s_and_saveexec_b64 s[20:21], s[18:19]
	s_xor_b64 s[18:19], exec, s[20:21]
	s_cbranch_execz .LBB152_32
; %bb.31:                               ;   in Loop: Header=BB152_2 Depth=1
	ds_read_b64 v[6:7], v8 offset:8
                                        ; implicit-def: $vgpr90
.LBB152_32:                             ;   in Loop: Header=BB152_2 Depth=1
	s_or_saveexec_b64 s[18:19], s[18:19]
	v_mov_b64_e32 v[8:9], v[4:5]
	s_xor_b64 exec, exec, s[18:19]
	s_cbranch_execz .LBB152_34
; %bb.33:                               ;   in Loop: Header=BB152_2 Depth=1
	ds_read_b64 v[8:9], v90 offset:8
	s_waitcnt lgkmcnt(1)
	v_mov_b64_e32 v[6:7], v[2:3]
.LBB152_34:                             ;   in Loop: Header=BB152_2 Depth=1
	s_or_b64 exec, exec, s[18:19]
	v_cndmask_b32_e64 v3, v3, v5, s[16:17]
	v_add_u32_e32 v5, 1, v89
	v_cndmask_b32_e64 v2, v2, v4, s[16:17]
	v_add_u32_e32 v4, 1, v88
	v_cndmask_b32_e64 v5, v5, v89, s[16:17]
	v_cndmask_b32_e64 v4, v88, v4, s[16:17]
	v_cmp_ge_i32_e64 s[18:19], v5, v32
	s_waitcnt lgkmcnt(0)
	v_cmp_lt_i64_e64 s[20:21], v[8:9], v[6:7]
	v_cmp_lt_i32_e64 s[16:17], v4, v33
	s_or_b64 s[18:19], s[18:19], s[20:21]
	s_and_b64 s[16:17], s[16:17], s[18:19]
	v_cndmask_b32_e64 v5, v7, v9, s[16:17]
	v_cndmask_b32_e64 v4, v6, v8, s[16:17]
	v_mov_b32_e32 v6, v40
	s_barrier
	ds_write2_b64 v10, v[2:3], v[4:5] offset1:1
	s_waitcnt lgkmcnt(0)
	s_barrier
	s_and_saveexec_b64 s[18:19], s[6:7]
	s_cbranch_execz .LBB152_38
; %bb.35:                               ;   in Loop: Header=BB152_2 Depth=1
	s_mov_b64 s[20:21], 0
	v_mov_b32_e32 v6, v40
	v_mov_b32_e32 v2, v41
.LBB152_36:                             ;   Parent Loop BB152_2 Depth=1
                                        ; =>  This Inner Loop Header: Depth=2
	v_sub_u32_e32 v3, v2, v6
	v_lshrrev_b32_e32 v4, 31, v3
	v_add_u32_e32 v3, v3, v4
	v_ashrrev_i32_e32 v3, 1, v3
	v_add_u32_e32 v3, v3, v6
	v_lshl_add_u32 v4, v3, 3, v74
	v_xad_u32 v5, v3, -1, v37
	v_lshl_add_u32 v7, v5, 3, v75
	ds_read_b64 v[4:5], v4
	ds_read_b64 v[8:9], v7
	v_add_u32_e32 v7, 1, v3
	s_waitcnt lgkmcnt(0)
	v_cmp_lt_i64_e64 s[16:17], v[8:9], v[4:5]
	s_nop 1
	v_cndmask_b32_e64 v2, v2, v3, s[16:17]
	v_cndmask_b32_e64 v6, v7, v6, s[16:17]
	v_cmp_ge_i32_e64 s[16:17], v6, v2
	s_or_b64 s[20:21], s[16:17], s[20:21]
	s_andn2_b64 exec, exec, s[20:21]
	s_cbranch_execnz .LBB152_36
; %bb.37:                               ;   in Loop: Header=BB152_2 Depth=1
	s_or_b64 exec, exec, s[20:21]
.LBB152_38:                             ;   in Loop: Header=BB152_2 Depth=1
	s_or_b64 exec, exec, s[18:19]
	v_sub_u32_e32 v88, v76, v6
	v_lshl_add_u32 v8, v6, 3, v74
	v_lshlrev_b32_e32 v90, 3, v88
	ds_read_b64 v[2:3], v8
	ds_read_b64 v[4:5], v90
	v_add_u32_e32 v89, v6, v36
	v_cmp_le_i32_e64 s[18:19], v38, v89
	v_cmp_gt_i32_e64 s[16:17], v39, v88
                                        ; implicit-def: $vgpr6_vgpr7
	s_waitcnt lgkmcnt(0)
	v_cmp_lt_i64_e64 s[20:21], v[4:5], v[2:3]
	s_or_b64 s[18:19], s[18:19], s[20:21]
	s_and_b64 s[16:17], s[16:17], s[18:19]
	s_xor_b64 s[18:19], s[16:17], -1
	s_and_saveexec_b64 s[20:21], s[18:19]
	s_xor_b64 s[18:19], exec, s[20:21]
	s_cbranch_execz .LBB152_40
; %bb.39:                               ;   in Loop: Header=BB152_2 Depth=1
	ds_read_b64 v[6:7], v8 offset:8
                                        ; implicit-def: $vgpr90
.LBB152_40:                             ;   in Loop: Header=BB152_2 Depth=1
	s_or_saveexec_b64 s[18:19], s[18:19]
	v_mov_b64_e32 v[8:9], v[4:5]
	s_xor_b64 exec, exec, s[18:19]
	s_cbranch_execz .LBB152_42
; %bb.41:                               ;   in Loop: Header=BB152_2 Depth=1
	ds_read_b64 v[8:9], v90 offset:8
	s_waitcnt lgkmcnt(1)
	v_mov_b64_e32 v[6:7], v[2:3]
.LBB152_42:                             ;   in Loop: Header=BB152_2 Depth=1
	s_or_b64 exec, exec, s[18:19]
	v_cndmask_b32_e64 v3, v3, v5, s[16:17]
	v_add_u32_e32 v5, 1, v89
	v_cndmask_b32_e64 v2, v2, v4, s[16:17]
	v_add_u32_e32 v4, 1, v88
	v_cndmask_b32_e64 v5, v5, v89, s[16:17]
	v_cndmask_b32_e64 v4, v88, v4, s[16:17]
	v_cmp_ge_i32_e64 s[18:19], v5, v38
	s_waitcnt lgkmcnt(0)
	v_cmp_lt_i64_e64 s[20:21], v[8:9], v[6:7]
	v_cmp_lt_i32_e64 s[16:17], v4, v39
	s_or_b64 s[18:19], s[18:19], s[20:21]
	s_and_b64 s[16:17], s[16:17], s[18:19]
	v_cndmask_b32_e64 v5, v7, v9, s[16:17]
	v_cndmask_b32_e64 v4, v6, v8, s[16:17]
	v_mov_b32_e32 v6, v46
	s_barrier
	ds_write2_b64 v10, v[2:3], v[4:5] offset1:1
	s_waitcnt lgkmcnt(0)
	s_barrier
	s_and_saveexec_b64 s[18:19], s[8:9]
	s_cbranch_execz .LBB152_46
; %bb.43:                               ;   in Loop: Header=BB152_2 Depth=1
	s_mov_b64 s[20:21], 0
	v_mov_b32_e32 v6, v46
	v_mov_b32_e32 v2, v47
.LBB152_44:                             ;   Parent Loop BB152_2 Depth=1
                                        ; =>  This Inner Loop Header: Depth=2
	v_sub_u32_e32 v3, v2, v6
	v_lshrrev_b32_e32 v4, 31, v3
	v_add_u32_e32 v3, v3, v4
	v_ashrrev_i32_e32 v3, 1, v3
	v_add_u32_e32 v3, v3, v6
	v_lshl_add_u32 v4, v3, 3, v77
	v_xad_u32 v5, v3, -1, v43
	v_lshl_add_u32 v7, v5, 3, v78
	ds_read_b64 v[4:5], v4
	ds_read_b64 v[8:9], v7
	v_add_u32_e32 v7, 1, v3
	s_waitcnt lgkmcnt(0)
	v_cmp_lt_i64_e64 s[16:17], v[8:9], v[4:5]
	s_nop 1
	v_cndmask_b32_e64 v2, v2, v3, s[16:17]
	v_cndmask_b32_e64 v6, v7, v6, s[16:17]
	v_cmp_ge_i32_e64 s[16:17], v6, v2
	s_or_b64 s[20:21], s[16:17], s[20:21]
	s_andn2_b64 exec, exec, s[20:21]
	s_cbranch_execnz .LBB152_44
; %bb.45:                               ;   in Loop: Header=BB152_2 Depth=1
	s_or_b64 exec, exec, s[20:21]
.LBB152_46:                             ;   in Loop: Header=BB152_2 Depth=1
	s_or_b64 exec, exec, s[18:19]
	v_sub_u32_e32 v88, v79, v6
	v_lshl_add_u32 v8, v6, 3, v77
	v_lshlrev_b32_e32 v90, 3, v88
	ds_read_b64 v[2:3], v8
	ds_read_b64 v[4:5], v90
	v_add_u32_e32 v89, v6, v42
	v_cmp_le_i32_e64 s[18:19], v44, v89
	v_cmp_gt_i32_e64 s[16:17], v45, v88
                                        ; implicit-def: $vgpr6_vgpr7
	s_waitcnt lgkmcnt(0)
	v_cmp_lt_i64_e64 s[20:21], v[4:5], v[2:3]
	s_or_b64 s[18:19], s[18:19], s[20:21]
	s_and_b64 s[16:17], s[16:17], s[18:19]
	s_xor_b64 s[18:19], s[16:17], -1
	s_and_saveexec_b64 s[20:21], s[18:19]
	s_xor_b64 s[18:19], exec, s[20:21]
	s_cbranch_execz .LBB152_48
; %bb.47:                               ;   in Loop: Header=BB152_2 Depth=1
	ds_read_b64 v[6:7], v8 offset:8
                                        ; implicit-def: $vgpr90
.LBB152_48:                             ;   in Loop: Header=BB152_2 Depth=1
	s_or_saveexec_b64 s[18:19], s[18:19]
	v_mov_b64_e32 v[8:9], v[4:5]
	s_xor_b64 exec, exec, s[18:19]
	s_cbranch_execz .LBB152_50
; %bb.49:                               ;   in Loop: Header=BB152_2 Depth=1
	ds_read_b64 v[8:9], v90 offset:8
	s_waitcnt lgkmcnt(1)
	v_mov_b64_e32 v[6:7], v[2:3]
.LBB152_50:                             ;   in Loop: Header=BB152_2 Depth=1
	s_or_b64 exec, exec, s[18:19]
	v_cndmask_b32_e64 v3, v3, v5, s[16:17]
	v_add_u32_e32 v5, 1, v89
	v_cndmask_b32_e64 v2, v2, v4, s[16:17]
	v_add_u32_e32 v4, 1, v88
	v_cndmask_b32_e64 v5, v5, v89, s[16:17]
	v_cndmask_b32_e64 v4, v88, v4, s[16:17]
	v_cmp_ge_i32_e64 s[18:19], v5, v44
	s_waitcnt lgkmcnt(0)
	v_cmp_lt_i64_e64 s[20:21], v[8:9], v[6:7]
	v_cmp_lt_i32_e64 s[16:17], v4, v45
	s_or_b64 s[18:19], s[18:19], s[20:21]
	s_and_b64 s[16:17], s[16:17], s[18:19]
	v_cndmask_b32_e64 v5, v7, v9, s[16:17]
	v_cndmask_b32_e64 v4, v6, v8, s[16:17]
	v_mov_b32_e32 v6, v52
	s_barrier
	ds_write2_b64 v10, v[2:3], v[4:5] offset1:1
	s_waitcnt lgkmcnt(0)
	s_barrier
	s_and_saveexec_b64 s[18:19], s[10:11]
	s_cbranch_execz .LBB152_54
; %bb.51:                               ;   in Loop: Header=BB152_2 Depth=1
	s_mov_b64 s[20:21], 0
	v_mov_b32_e32 v6, v52
	v_mov_b32_e32 v2, v53
.LBB152_52:                             ;   Parent Loop BB152_2 Depth=1
                                        ; =>  This Inner Loop Header: Depth=2
	v_sub_u32_e32 v3, v2, v6
	v_lshrrev_b32_e32 v4, 31, v3
	v_add_u32_e32 v3, v3, v4
	v_ashrrev_i32_e32 v3, 1, v3
	v_add_u32_e32 v3, v3, v6
	v_lshl_add_u32 v4, v3, 3, v80
	v_xad_u32 v5, v3, -1, v49
	v_lshl_add_u32 v7, v5, 3, v81
	ds_read_b64 v[4:5], v4
	ds_read_b64 v[8:9], v7
	v_add_u32_e32 v7, 1, v3
	s_waitcnt lgkmcnt(0)
	v_cmp_lt_i64_e64 s[16:17], v[8:9], v[4:5]
	s_nop 1
	v_cndmask_b32_e64 v2, v2, v3, s[16:17]
	v_cndmask_b32_e64 v6, v7, v6, s[16:17]
	v_cmp_ge_i32_e64 s[16:17], v6, v2
	s_or_b64 s[20:21], s[16:17], s[20:21]
	s_andn2_b64 exec, exec, s[20:21]
	s_cbranch_execnz .LBB152_52
; %bb.53:                               ;   in Loop: Header=BB152_2 Depth=1
	s_or_b64 exec, exec, s[20:21]
.LBB152_54:                             ;   in Loop: Header=BB152_2 Depth=1
	s_or_b64 exec, exec, s[18:19]
	v_sub_u32_e32 v88, v82, v6
	v_lshl_add_u32 v8, v6, 3, v80
	v_lshlrev_b32_e32 v90, 3, v88
	ds_read_b64 v[2:3], v8
	ds_read_b64 v[4:5], v90
	v_add_u32_e32 v89, v6, v48
	v_cmp_le_i32_e64 s[18:19], v50, v89
	v_cmp_gt_i32_e64 s[16:17], v51, v88
                                        ; implicit-def: $vgpr6_vgpr7
	s_waitcnt lgkmcnt(0)
	v_cmp_lt_i64_e64 s[20:21], v[4:5], v[2:3]
	s_or_b64 s[18:19], s[18:19], s[20:21]
	s_and_b64 s[16:17], s[16:17], s[18:19]
	s_xor_b64 s[18:19], s[16:17], -1
	s_and_saveexec_b64 s[20:21], s[18:19]
	s_xor_b64 s[18:19], exec, s[20:21]
	s_cbranch_execz .LBB152_56
; %bb.55:                               ;   in Loop: Header=BB152_2 Depth=1
	ds_read_b64 v[6:7], v8 offset:8
                                        ; implicit-def: $vgpr90
.LBB152_56:                             ;   in Loop: Header=BB152_2 Depth=1
	s_or_saveexec_b64 s[18:19], s[18:19]
	v_mov_b64_e32 v[8:9], v[4:5]
	s_xor_b64 exec, exec, s[18:19]
	s_cbranch_execz .LBB152_58
; %bb.57:                               ;   in Loop: Header=BB152_2 Depth=1
	ds_read_b64 v[8:9], v90 offset:8
	s_waitcnt lgkmcnt(1)
	v_mov_b64_e32 v[6:7], v[2:3]
.LBB152_58:                             ;   in Loop: Header=BB152_2 Depth=1
	s_or_b64 exec, exec, s[18:19]
	v_cndmask_b32_e64 v3, v3, v5, s[16:17]
	v_add_u32_e32 v5, 1, v89
	v_cndmask_b32_e64 v2, v2, v4, s[16:17]
	v_add_u32_e32 v4, 1, v88
	v_cndmask_b32_e64 v5, v5, v89, s[16:17]
	v_cndmask_b32_e64 v4, v88, v4, s[16:17]
	v_cmp_ge_i32_e64 s[18:19], v5, v50
	s_waitcnt lgkmcnt(0)
	v_cmp_lt_i64_e64 s[20:21], v[8:9], v[6:7]
	v_cmp_lt_i32_e64 s[16:17], v4, v51
	s_or_b64 s[18:19], s[18:19], s[20:21]
	s_and_b64 s[16:17], s[16:17], s[18:19]
	v_cndmask_b32_e64 v5, v7, v9, s[16:17]
	v_cndmask_b32_e64 v4, v6, v8, s[16:17]
	v_mov_b32_e32 v6, v59
	s_barrier
	ds_write2_b64 v10, v[2:3], v[4:5] offset1:1
	s_waitcnt lgkmcnt(0)
	s_barrier
	s_and_saveexec_b64 s[18:19], s[12:13]
	s_cbranch_execz .LBB152_62
; %bb.59:                               ;   in Loop: Header=BB152_2 Depth=1
	s_mov_b64 s[20:21], 0
	v_mov_b32_e32 v6, v59
	v_mov_b32_e32 v2, v60
.LBB152_60:                             ;   Parent Loop BB152_2 Depth=1
                                        ; =>  This Inner Loop Header: Depth=2
	v_sub_u32_e32 v3, v2, v6
	v_lshrrev_b32_e32 v4, 31, v3
	v_add_u32_e32 v3, v3, v4
	v_ashrrev_i32_e32 v3, 1, v3
	v_add_u32_e32 v3, v3, v6
	v_lshl_add_u32 v4, v3, 3, v83
	v_xad_u32 v5, v3, -1, v56
	v_lshl_add_u32 v7, v5, 3, v84
	ds_read_b64 v[4:5], v4
	ds_read_b64 v[8:9], v7
	v_add_u32_e32 v7, 1, v3
	s_waitcnt lgkmcnt(0)
	v_cmp_lt_i64_e64 s[16:17], v[8:9], v[4:5]
	s_nop 1
	v_cndmask_b32_e64 v2, v2, v3, s[16:17]
	v_cndmask_b32_e64 v6, v7, v6, s[16:17]
	v_cmp_ge_i32_e64 s[16:17], v6, v2
	s_or_b64 s[20:21], s[16:17], s[20:21]
	s_andn2_b64 exec, exec, s[20:21]
	s_cbranch_execnz .LBB152_60
; %bb.61:                               ;   in Loop: Header=BB152_2 Depth=1
	s_or_b64 exec, exec, s[20:21]
.LBB152_62:                             ;   in Loop: Header=BB152_2 Depth=1
	s_or_b64 exec, exec, s[18:19]
	v_sub_u32_e32 v88, v85, v6
	v_lshl_add_u32 v8, v6, 3, v83
	v_lshlrev_b32_e32 v90, 3, v88
	ds_read_b64 v[2:3], v8
	ds_read_b64 v[4:5], v90
	v_add_u32_e32 v89, v6, v55
	v_cmp_le_i32_e64 s[18:19], v57, v89
	v_cmp_gt_i32_e64 s[16:17], v58, v88
                                        ; implicit-def: $vgpr6_vgpr7
	s_waitcnt lgkmcnt(0)
	v_cmp_lt_i64_e64 s[20:21], v[4:5], v[2:3]
	s_or_b64 s[18:19], s[18:19], s[20:21]
	s_and_b64 s[16:17], s[16:17], s[18:19]
	s_xor_b64 s[18:19], s[16:17], -1
	s_and_saveexec_b64 s[20:21], s[18:19]
	s_xor_b64 s[18:19], exec, s[20:21]
	s_cbranch_execz .LBB152_64
; %bb.63:                               ;   in Loop: Header=BB152_2 Depth=1
	ds_read_b64 v[6:7], v8 offset:8
                                        ; implicit-def: $vgpr90
.LBB152_64:                             ;   in Loop: Header=BB152_2 Depth=1
	s_or_saveexec_b64 s[18:19], s[18:19]
	v_mov_b64_e32 v[8:9], v[4:5]
	s_xor_b64 exec, exec, s[18:19]
	s_cbranch_execz .LBB152_66
; %bb.65:                               ;   in Loop: Header=BB152_2 Depth=1
	ds_read_b64 v[8:9], v90 offset:8
	s_waitcnt lgkmcnt(1)
	v_mov_b64_e32 v[6:7], v[2:3]
.LBB152_66:                             ;   in Loop: Header=BB152_2 Depth=1
	s_or_b64 exec, exec, s[18:19]
	v_cndmask_b32_e64 v3, v3, v5, s[16:17]
	v_add_u32_e32 v5, 1, v89
	v_cndmask_b32_e64 v2, v2, v4, s[16:17]
	v_add_u32_e32 v4, 1, v88
	v_cndmask_b32_e64 v5, v5, v89, s[16:17]
	v_cndmask_b32_e64 v4, v88, v4, s[16:17]
	v_cmp_ge_i32_e64 s[18:19], v5, v57
	s_waitcnt lgkmcnt(0)
	v_cmp_lt_i64_e64 s[20:21], v[8:9], v[6:7]
	v_cmp_lt_i32_e64 s[16:17], v4, v58
	s_or_b64 s[18:19], s[18:19], s[20:21]
	s_and_b64 s[16:17], s[16:17], s[18:19]
	v_cndmask_b32_e64 v5, v7, v9, s[16:17]
	v_cndmask_b32_e64 v4, v6, v8, s[16:17]
	v_mov_b32_e32 v88, v61
	s_barrier
	ds_write2_b64 v10, v[2:3], v[4:5] offset1:1
	s_waitcnt lgkmcnt(0)
	s_barrier
	s_and_saveexec_b64 s[18:19], s[14:15]
	s_cbranch_execz .LBB152_70
; %bb.67:                               ;   in Loop: Header=BB152_2 Depth=1
	s_mov_b64 s[20:21], 0
	v_mov_b32_e32 v88, v61
	v_mov_b32_e32 v2, v62
.LBB152_68:                             ;   Parent Loop BB152_2 Depth=1
                                        ; =>  This Inner Loop Header: Depth=2
	v_sub_u32_e32 v3, v2, v88
	v_lshrrev_b32_e32 v4, 31, v3
	v_add_u32_e32 v3, v3, v4
	v_ashrrev_i32_e32 v3, 1, v3
	v_add_u32_e32 v3, v3, v88
	v_xad_u32 v5, v3, -1, v1
	v_lshlrev_b32_e32 v4, 3, v3
	v_lshl_add_u32 v6, v5, 3, v86
	ds_read_b64 v[4:5], v4
	ds_read_b64 v[6:7], v6
	v_add_u32_e32 v8, 1, v3
	s_waitcnt lgkmcnt(0)
	v_cmp_lt_i64_e64 s[16:17], v[6:7], v[4:5]
	s_nop 1
	v_cndmask_b32_e64 v2, v2, v3, s[16:17]
	v_cndmask_b32_e64 v88, v8, v88, s[16:17]
	v_cmp_ge_i32_e64 s[16:17], v88, v2
	s_or_b64 s[20:21], s[16:17], s[20:21]
	s_andn2_b64 exec, exec, s[20:21]
	s_cbranch_execnz .LBB152_68
; %bb.69:                               ;   in Loop: Header=BB152_2 Depth=1
	s_or_b64 exec, exec, s[20:21]
.LBB152_70:                             ;   in Loop: Header=BB152_2 Depth=1
	s_or_b64 exec, exec, s[18:19]
	v_sub_u32_e32 v89, v87, v88
	v_lshlrev_b32_e32 v8, 3, v88
	v_lshlrev_b32_e32 v90, 3, v89
	ds_read_b64 v[2:3], v8
	ds_read_b64 v[4:5], v90
	v_cmp_le_i32_e64 s[18:19], v54, v88
	v_cmp_gt_i32_e64 s[16:17], s24, v89
                                        ; implicit-def: $vgpr6_vgpr7
	s_waitcnt lgkmcnt(0)
	v_cmp_lt_i64_e64 s[20:21], v[4:5], v[2:3]
	s_or_b64 s[18:19], s[18:19], s[20:21]
	s_and_b64 s[16:17], s[16:17], s[18:19]
	s_xor_b64 s[18:19], s[16:17], -1
	s_and_saveexec_b64 s[20:21], s[18:19]
	s_xor_b64 s[18:19], exec, s[20:21]
	s_cbranch_execz .LBB152_72
; %bb.71:                               ;   in Loop: Header=BB152_2 Depth=1
	ds_read_b64 v[6:7], v8 offset:8
	v_add_u32_e32 v88, 1, v88
                                        ; implicit-def: $vgpr90
.LBB152_72:                             ;   in Loop: Header=BB152_2 Depth=1
	s_or_saveexec_b64 s[18:19], s[18:19]
	v_mov_b64_e32 v[8:9], v[4:5]
	s_xor_b64 exec, exec, s[18:19]
	s_cbranch_execz .LBB152_1
; %bb.73:                               ;   in Loop: Header=BB152_2 Depth=1
	ds_read_b64 v[8:9], v90 offset:8
	v_add_u32_e32 v89, 1, v89
	s_waitcnt lgkmcnt(1)
	v_mov_b64_e32 v[6:7], v[2:3]
	s_branch .LBB152_1
.LBB152_74:
	s_add_u32 s0, s22, s26
	s_addc_u32 s1, s23, s27
	v_lshlrev_b32_e32 v0, 3, v0
	v_mov_b32_e32 v1, 0
	v_lshl_add_u64 v[6:7], s[0:1], 0, v[0:1]
	global_store_dwordx2 v0, v[2:3], s[0:1]
	v_add_co_u32_e32 v0, vcc, 0x1000, v6
	s_nop 1
	v_addc_co_u32_e32 v1, vcc, 0, v7, vcc
	global_store_dwordx2 v[0:1], v[4:5], off
	s_endpgm
	.section	.rodata,"a",@progbits
	.p2align	6, 0x0
	.amdhsa_kernel _Z16sort_keys_kernelIxLj512ELj2EN10test_utils4lessELj10EEvPKT_PS2_T2_
		.amdhsa_group_segment_fixed_size 8200
		.amdhsa_private_segment_fixed_size 0
		.amdhsa_kernarg_size 20
		.amdhsa_user_sgpr_count 2
		.amdhsa_user_sgpr_dispatch_ptr 0
		.amdhsa_user_sgpr_queue_ptr 0
		.amdhsa_user_sgpr_kernarg_segment_ptr 1
		.amdhsa_user_sgpr_dispatch_id 0
		.amdhsa_user_sgpr_kernarg_preload_length 0
		.amdhsa_user_sgpr_kernarg_preload_offset 0
		.amdhsa_user_sgpr_private_segment_size 0
		.amdhsa_uses_dynamic_stack 0
		.amdhsa_enable_private_segment 0
		.amdhsa_system_sgpr_workgroup_id_x 1
		.amdhsa_system_sgpr_workgroup_id_y 0
		.amdhsa_system_sgpr_workgroup_id_z 0
		.amdhsa_system_sgpr_workgroup_info 0
		.amdhsa_system_vgpr_workitem_id 0
		.amdhsa_next_free_vgpr 91
		.amdhsa_next_free_sgpr 28
		.amdhsa_accum_offset 92
		.amdhsa_reserve_vcc 1
		.amdhsa_float_round_mode_32 0
		.amdhsa_float_round_mode_16_64 0
		.amdhsa_float_denorm_mode_32 3
		.amdhsa_float_denorm_mode_16_64 3
		.amdhsa_dx10_clamp 1
		.amdhsa_ieee_mode 1
		.amdhsa_fp16_overflow 0
		.amdhsa_tg_split 0
		.amdhsa_exception_fp_ieee_invalid_op 0
		.amdhsa_exception_fp_denorm_src 0
		.amdhsa_exception_fp_ieee_div_zero 0
		.amdhsa_exception_fp_ieee_overflow 0
		.amdhsa_exception_fp_ieee_underflow 0
		.amdhsa_exception_fp_ieee_inexact 0
		.amdhsa_exception_int_div_zero 0
	.end_amdhsa_kernel
	.section	.text._Z16sort_keys_kernelIxLj512ELj2EN10test_utils4lessELj10EEvPKT_PS2_T2_,"axG",@progbits,_Z16sort_keys_kernelIxLj512ELj2EN10test_utils4lessELj10EEvPKT_PS2_T2_,comdat
.Lfunc_end152:
	.size	_Z16sort_keys_kernelIxLj512ELj2EN10test_utils4lessELj10EEvPKT_PS2_T2_, .Lfunc_end152-_Z16sort_keys_kernelIxLj512ELj2EN10test_utils4lessELj10EEvPKT_PS2_T2_
                                        ; -- End function
	.section	.AMDGPU.csdata,"",@progbits
; Kernel info:
; codeLenInByte = 4364
; NumSgprs: 34
; NumVgprs: 91
; NumAgprs: 0
; TotalNumVgprs: 91
; ScratchSize: 0
; MemoryBound: 0
; FloatMode: 240
; IeeeMode: 1
; LDSByteSize: 8200 bytes/workgroup (compile time only)
; SGPRBlocks: 4
; VGPRBlocks: 11
; NumSGPRsForWavesPerEU: 34
; NumVGPRsForWavesPerEU: 91
; AccumOffset: 92
; Occupancy: 5
; WaveLimiterHint : 1
; COMPUTE_PGM_RSRC2:SCRATCH_EN: 0
; COMPUTE_PGM_RSRC2:USER_SGPR: 2
; COMPUTE_PGM_RSRC2:TRAP_HANDLER: 0
; COMPUTE_PGM_RSRC2:TGID_X_EN: 1
; COMPUTE_PGM_RSRC2:TGID_Y_EN: 0
; COMPUTE_PGM_RSRC2:TGID_Z_EN: 0
; COMPUTE_PGM_RSRC2:TIDIG_COMP_CNT: 0
; COMPUTE_PGM_RSRC3_GFX90A:ACCUM_OFFSET: 22
; COMPUTE_PGM_RSRC3_GFX90A:TG_SPLIT: 0
	.section	.text._Z17sort_pairs_kernelIxLj512ELj2EN10test_utils4lessELj10EEvPKT_PS2_T2_,"axG",@progbits,_Z17sort_pairs_kernelIxLj512ELj2EN10test_utils4lessELj10EEvPKT_PS2_T2_,comdat
	.protected	_Z17sort_pairs_kernelIxLj512ELj2EN10test_utils4lessELj10EEvPKT_PS2_T2_ ; -- Begin function _Z17sort_pairs_kernelIxLj512ELj2EN10test_utils4lessELj10EEvPKT_PS2_T2_
	.globl	_Z17sort_pairs_kernelIxLj512ELj2EN10test_utils4lessELj10EEvPKT_PS2_T2_
	.p2align	8
	.type	_Z17sort_pairs_kernelIxLj512ELj2EN10test_utils4lessELj10EEvPKT_PS2_T2_,@function
_Z17sort_pairs_kernelIxLj512ELj2EN10test_utils4lessELj10EEvPKT_PS2_T2_: ; @_Z17sort_pairs_kernelIxLj512ELj2EN10test_utils4lessELj10EEvPKT_PS2_T2_
; %bb.0:
	s_load_dwordx4 s[24:27], s[0:1], 0x0
	s_lshl_b32 s30, s2, 10
	s_mov_b32 s31, 0
	s_lshl_b64 s[28:29], s[30:31], 3
	v_mov_b32_e32 v7, 0
	s_waitcnt lgkmcnt(0)
	s_add_u32 s0, s24, s28
	s_addc_u32 s1, s25, s29
	v_lshlrev_b32_e32 v6, 3, v0
	v_lshl_add_u64 v[2:3], s[0:1], 0, v[6:7]
	s_movk_i32 s2, 0x1000
	v_add_co_u32_e32 v8, vcc, s2, v2
	v_lshlrev_b32_e32 v1, 1, v0
	s_nop 0
	v_addc_co_u32_e32 v9, vcc, 0, v3, vcc
	global_load_dwordx2 v[2:3], v6, s[0:1]
	global_load_dwordx2 v[4:5], v[8:9], off
	v_and_b32_e32 v19, 0x3fc, v1
	v_or_b32_e32 v21, 2, v19
	v_add_u32_e32 v22, 4, v19
	v_and_b32_e32 v26, 0x3f8, v1
	v_and_b32_e32 v20, 2, v1
	v_sub_u32_e32 v7, v22, v21
	v_or_b32_e32 v28, 4, v26
	v_add_u32_e32 v29, 8, v26
	v_and_b32_e32 v32, 0x3f0, v1
	v_sub_u32_e32 v6, v21, v19
	v_sub_u32_e32 v8, v20, v7
	v_cmp_ge_i32_e32 vcc, v20, v7
	v_and_b32_e32 v27, 6, v1
	v_sub_u32_e32 v7, v29, v28
	v_or_b32_e32 v34, 8, v32
	v_add_u32_e32 v35, 16, v32
	v_and_b32_e32 v38, 0x3e0, v1
	v_cndmask_b32_e32 v24, 0, v8, vcc
	v_min_i32_e32 v25, v20, v6
	v_sub_u32_e32 v6, v28, v26
	v_sub_u32_e32 v8, v27, v7
	v_cmp_ge_i32_e64 s[0:1], v27, v7
	v_and_b32_e32 v33, 14, v1
	v_sub_u32_e32 v7, v35, v34
	v_or_b32_e32 v40, 16, v38
	v_add_u32_e32 v41, 32, v38
	v_and_b32_e32 v44, 0x3c0, v1
	v_cndmask_b32_e64 v30, 0, v8, s[0:1]
	v_min_i32_e32 v31, v27, v6
	v_sub_u32_e32 v6, v34, v32
	v_sub_u32_e32 v8, v33, v7
	v_cmp_ge_i32_e64 s[2:3], v33, v7
	v_and_b32_e32 v39, 30, v1
	v_sub_u32_e32 v7, v41, v40
	v_or_b32_e32 v46, 32, v44
	v_add_u32_e32 v47, 64, v44
	v_and_b32_e32 v50, 0x380, v1
	v_cndmask_b32_e64 v36, 0, v8, s[2:3]
	;; [unrolled: 10-line block ×4, first 2 shown]
	v_min_i32_e32 v49, v45, v6
	v_sub_u32_e32 v6, v52, v50
	v_sub_u32_e32 v8, v51, v7
	v_cmp_ge_i32_e64 s[8:9], v51, v7
	v_and_b32_e32 v57, 0xfe, v1
	v_sub_u32_e32 v7, v59, v58
	v_or_b32_e32 v65, 0x100, v63
	v_add_u32_e32 v66, 0x200, v63
	v_cndmask_b32_e64 v54, 0, v8, s[8:9]
	v_min_i32_e32 v55, v51, v6
	v_sub_u32_e32 v6, v58, v56
	v_sub_u32_e32 v8, v57, v7
	v_cmp_ge_i32_e64 s[10:11], v57, v7
	v_and_b32_e32 v64, 0x1fe, v1
	v_sub_u32_e32 v7, v66, v65
	v_cndmask_b32_e64 v60, 0, v8, s[10:11]
	v_min_i32_e32 v61, v57, v6
	v_mov_b32_e32 v62, 0x200
	v_sub_u32_e32 v6, v65, v63
	v_sub_u32_e32 v8, v64, v7
	v_cmp_ge_i32_e64 s[12:13], v64, v7
	v_min_i32_e32 v68, v64, v6
	v_sub_u32_e64 v69, v1, v62 clamp
	v_cndmask_b32_e64 v67, 0, v8, s[12:13]
	v_min_i32_e32 v70, 0x200, v1
	v_lshlrev_b32_e32 v18, 4, v0
	v_lshlrev_b32_e32 v23, 3, v19
	v_cmp_lt_i32_e32 vcc, v24, v25
	v_cmp_lt_i32_e64 s[0:1], v30, v31
	v_cmp_lt_i32_e64 s[2:3], v36, v37
	;; [unrolled: 1-line block ×8, first 2 shown]
	s_movk_i32 s24, 0x400
	v_lshlrev_b32_e32 v71, 3, v21
	v_add_u32_e32 v72, v21, v20
	v_lshlrev_b32_e32 v73, 3, v26
	v_lshlrev_b32_e32 v74, 3, v28
	v_add_u32_e32 v75, v28, v27
	v_lshlrev_b32_e32 v76, 3, v32
	;; [unrolled: 3-line block ×7, first 2 shown]
	v_lshlrev_b32_e32 v92, 3, v65
	v_add_u32_e32 v93, v65, v64
	v_mov_b32_e32 v94, 0x1000
	v_add_u32_e32 v95, 0x200, v1
	s_waitcnt vmcnt(1)
	v_lshl_add_u64 v[6:7], v[2:3], 0, 1
	s_waitcnt vmcnt(0)
	v_lshl_add_u64 v[8:9], v[4:5], 0, 1
	s_branch .LBB153_2
.LBB153_1:                              ;   in Loop: Header=BB153_2 Depth=1
	s_or_b64 exec, exec, s[18:19]
	v_cmp_ge_i32_e64 s[20:21], v13, v62
	s_waitcnt lgkmcnt(0)
	v_cmp_lt_i64_e64 s[22:23], v[16:17], v[14:15]
	v_cmp_gt_i32_e64 s[18:19], s24, v12
	s_or_b64 s[20:21], s[20:21], s[22:23]
	s_and_b64 s[18:19], s[18:19], s[20:21]
	v_cndmask_b32_e64 v3, v5, v11, s[16:17]
	v_cndmask_b32_e64 v11, v13, v12, s[18:19]
	s_barrier
	ds_write2_b64 v18, v[6:7], v[8:9] offset1:1
	v_lshlrev_b32_e32 v2, 3, v2
	v_lshlrev_b32_e32 v8, 3, v11
	s_waitcnt lgkmcnt(0)
	s_barrier
	ds_read_b64 v[6:7], v2
	ds_read_b64 v[8:9], v8
	s_add_i32 s31, s31, 1
	v_cndmask_b32_e64 v5, v15, v17, s[18:19]
	v_cndmask_b32_e64 v2, v4, v10, s[16:17]
	s_cmp_eq_u32 s31, 10
	v_cndmask_b32_e64 v4, v14, v16, s[18:19]
	s_cbranch_scc1 .LBB153_74
.LBB153_2:                              ; =>This Loop Header: Depth=1
                                        ;     Child Loop BB153_4 Depth 2
                                        ;     Child Loop BB153_12 Depth 2
	;; [unrolled: 1-line block ×9, first 2 shown]
	v_cmp_lt_i64_e64 s[16:17], v[4:5], v[2:3]
	s_barrier
	s_nop 0
	v_cndmask_b32_e64 v11, v5, v3, s[16:17]
	v_cndmask_b32_e64 v10, v4, v2, s[16:17]
	;; [unrolled: 1-line block ×4, first 2 shown]
	ds_write2_b64 v18, v[2:3], v[10:11] offset1:1
	v_mov_b32_e32 v2, v24
	s_waitcnt lgkmcnt(0)
	s_barrier
	s_and_saveexec_b64 s[20:21], vcc
	s_cbranch_execz .LBB153_6
; %bb.3:                                ;   in Loop: Header=BB153_2 Depth=1
	s_mov_b64 s[22:23], 0
	v_mov_b32_e32 v2, v24
	v_mov_b32_e32 v3, v25
.LBB153_4:                              ;   Parent Loop BB153_2 Depth=1
                                        ; =>  This Inner Loop Header: Depth=2
	v_sub_u32_e32 v4, v3, v2
	v_lshrrev_b32_e32 v5, 31, v4
	v_add_u32_e32 v4, v4, v5
	v_ashrrev_i32_e32 v4, 1, v4
	v_add_u32_e32 v12, v4, v2
	v_xad_u32 v5, v12, -1, v20
	v_lshl_add_u32 v4, v12, 3, v23
	v_lshl_add_u32 v10, v5, 3, v71
	ds_read_b64 v[4:5], v4
	ds_read_b64 v[10:11], v10
	v_add_u32_e32 v13, 1, v12
	s_waitcnt lgkmcnt(0)
	v_cmp_lt_i64_e64 s[18:19], v[10:11], v[4:5]
	s_nop 1
	v_cndmask_b32_e64 v3, v3, v12, s[18:19]
	v_cndmask_b32_e64 v2, v13, v2, s[18:19]
	v_cmp_ge_i32_e64 s[18:19], v2, v3
	s_or_b64 s[22:23], s[18:19], s[22:23]
	s_andn2_b64 exec, exec, s[22:23]
	s_cbranch_execnz .LBB153_4
; %bb.5:                                ;   in Loop: Header=BB153_2 Depth=1
	s_or_b64 exec, exec, s[22:23]
.LBB153_6:                              ;   in Loop: Header=BB153_2 Depth=1
	s_or_b64 exec, exec, s[20:21]
	v_sub_u32_e32 v14, v72, v2
	v_lshl_add_u32 v12, v2, 3, v23
	v_lshlrev_b32_e32 v16, 3, v14
	ds_read_b64 v[4:5], v12
	ds_read_b64 v[10:11], v16
	v_add_u32_e32 v15, v2, v19
	v_cmp_le_i32_e64 s[20:21], v21, v15
	v_cmp_gt_i32_e64 s[18:19], v22, v14
                                        ; implicit-def: $vgpr2_vgpr3
	s_waitcnt lgkmcnt(0)
	v_cmp_lt_i64_e64 s[22:23], v[10:11], v[4:5]
	s_or_b64 s[20:21], s[20:21], s[22:23]
	s_and_b64 s[18:19], s[18:19], s[20:21]
	s_xor_b64 s[20:21], s[18:19], -1
	s_and_saveexec_b64 s[22:23], s[20:21]
	s_xor_b64 s[20:21], exec, s[22:23]
	s_cbranch_execz .LBB153_8
; %bb.7:                                ;   in Loop: Header=BB153_2 Depth=1
	ds_read_b64 v[2:3], v12 offset:8
                                        ; implicit-def: $vgpr16
.LBB153_8:                              ;   in Loop: Header=BB153_2 Depth=1
	s_or_saveexec_b64 s[20:21], s[20:21]
	v_mov_b64_e32 v[12:13], v[10:11]
	s_xor_b64 exec, exec, s[20:21]
	s_cbranch_execz .LBB153_10
; %bb.9:                                ;   in Loop: Header=BB153_2 Depth=1
	ds_read_b64 v[12:13], v16 offset:8
	s_waitcnt lgkmcnt(1)
	v_mov_b64_e32 v[2:3], v[4:5]
.LBB153_10:                             ;   in Loop: Header=BB153_2 Depth=1
	s_or_b64 exec, exec, s[20:21]
	v_cndmask_b32_e64 v11, v5, v11, s[18:19]
	v_add_u32_e32 v5, 1, v15
	v_cndmask_b32_e64 v10, v4, v10, s[18:19]
	v_add_u32_e32 v4, 1, v14
	v_cndmask_b32_e64 v17, v5, v15, s[18:19]
	v_cndmask_b32_e64 v16, v14, v4, s[18:19]
	v_cndmask_b32_e64 v14, v15, v14, s[18:19]
	v_cmp_ge_i32_e64 s[18:19], v17, v21
	s_waitcnt lgkmcnt(0)
	v_cmp_lt_i64_e64 s[20:21], v[12:13], v[2:3]
	v_cndmask_b32_e64 v5, v9, v7, s[16:17]
	v_cndmask_b32_e64 v4, v8, v6, s[16:17]
	;; [unrolled: 1-line block ×4, first 2 shown]
	v_cmp_lt_i32_e64 s[16:17], v16, v22
	s_or_b64 s[18:19], s[18:19], s[20:21]
	s_and_b64 s[16:17], s[16:17], s[18:19]
	v_cndmask_b32_e64 v8, v2, v12, s[16:17]
	v_cndmask_b32_e64 v2, v17, v16, s[16:17]
	;; [unrolled: 1-line block ×3, first 2 shown]
	s_barrier
	ds_write2_b64 v18, v[6:7], v[4:5] offset1:1
	v_lshlrev_b32_e32 v3, 3, v14
	v_lshlrev_b32_e32 v4, 3, v2
	s_waitcnt lgkmcnt(0)
	s_barrier
	ds_read_b64 v[2:3], v3
	ds_read_b64 v[4:5], v4
	s_waitcnt lgkmcnt(0)
	s_barrier
	ds_write2_b64 v18, v[10:11], v[8:9] offset1:1
	v_mov_b32_e32 v10, v30
	s_waitcnt lgkmcnt(0)
	s_barrier
	s_and_saveexec_b64 s[18:19], s[0:1]
	s_cbranch_execz .LBB153_14
; %bb.11:                               ;   in Loop: Header=BB153_2 Depth=1
	s_mov_b64 s[20:21], 0
	v_mov_b32_e32 v10, v30
	v_mov_b32_e32 v6, v31
.LBB153_12:                             ;   Parent Loop BB153_2 Depth=1
                                        ; =>  This Inner Loop Header: Depth=2
	v_sub_u32_e32 v7, v6, v10
	v_lshrrev_b32_e32 v8, 31, v7
	v_add_u32_e32 v7, v7, v8
	v_ashrrev_i32_e32 v7, 1, v7
	v_add_u32_e32 v7, v7, v10
	v_lshl_add_u32 v8, v7, 3, v73
	v_xad_u32 v9, v7, -1, v27
	v_lshl_add_u32 v11, v9, 3, v74
	ds_read_b64 v[8:9], v8
	ds_read_b64 v[12:13], v11
	v_add_u32_e32 v11, 1, v7
	s_waitcnt lgkmcnt(0)
	v_cmp_lt_i64_e64 s[16:17], v[12:13], v[8:9]
	s_nop 1
	v_cndmask_b32_e64 v6, v6, v7, s[16:17]
	v_cndmask_b32_e64 v10, v11, v10, s[16:17]
	v_cmp_ge_i32_e64 s[16:17], v10, v6
	s_or_b64 s[20:21], s[16:17], s[20:21]
	s_andn2_b64 exec, exec, s[20:21]
	s_cbranch_execnz .LBB153_12
; %bb.13:                               ;   in Loop: Header=BB153_2 Depth=1
	s_or_b64 exec, exec, s[20:21]
.LBB153_14:                             ;   in Loop: Header=BB153_2 Depth=1
	s_or_b64 exec, exec, s[18:19]
	v_sub_u32_e32 v14, v75, v10
	v_lshl_add_u32 v12, v10, 3, v73
	v_lshlrev_b32_e32 v16, 3, v14
	ds_read_b64 v[6:7], v12
	ds_read_b64 v[8:9], v16
	v_add_u32_e32 v15, v10, v26
	v_cmp_le_i32_e64 s[18:19], v28, v15
	v_cmp_gt_i32_e64 s[16:17], v29, v14
                                        ; implicit-def: $vgpr10_vgpr11
	s_waitcnt lgkmcnt(0)
	v_cmp_lt_i64_e64 s[20:21], v[8:9], v[6:7]
	s_or_b64 s[18:19], s[18:19], s[20:21]
	s_and_b64 s[16:17], s[16:17], s[18:19]
	s_xor_b64 s[18:19], s[16:17], -1
	s_and_saveexec_b64 s[20:21], s[18:19]
	s_xor_b64 s[18:19], exec, s[20:21]
	s_cbranch_execz .LBB153_16
; %bb.15:                               ;   in Loop: Header=BB153_2 Depth=1
	ds_read_b64 v[10:11], v12 offset:8
                                        ; implicit-def: $vgpr16
.LBB153_16:                             ;   in Loop: Header=BB153_2 Depth=1
	s_or_saveexec_b64 s[18:19], s[18:19]
	v_mov_b64_e32 v[12:13], v[8:9]
	s_xor_b64 exec, exec, s[18:19]
	s_cbranch_execz .LBB153_18
; %bb.17:                               ;   in Loop: Header=BB153_2 Depth=1
	ds_read_b64 v[12:13], v16 offset:8
	s_waitcnt lgkmcnt(1)
	v_mov_b64_e32 v[10:11], v[6:7]
.LBB153_18:                             ;   in Loop: Header=BB153_2 Depth=1
	s_or_b64 exec, exec, s[18:19]
	v_cndmask_b32_e64 v7, v7, v9, s[16:17]
	v_add_u32_e32 v9, 1, v15
	v_cndmask_b32_e64 v6, v6, v8, s[16:17]
	v_add_u32_e32 v8, 1, v14
	v_cndmask_b32_e64 v17, v9, v15, s[16:17]
	v_cndmask_b32_e64 v16, v14, v8, s[16:17]
	v_cmp_ge_i32_e64 s[18:19], v17, v28
	s_waitcnt lgkmcnt(0)
	v_cmp_lt_i64_e64 s[20:21], v[12:13], v[10:11]
	v_cndmask_b32_e64 v14, v15, v14, s[16:17]
	v_cmp_lt_i32_e64 s[16:17], v16, v29
	s_or_b64 s[18:19], s[18:19], s[20:21]
	s_and_b64 s[16:17], s[16:17], s[18:19]
	v_cndmask_b32_e64 v8, v10, v12, s[16:17]
	v_cndmask_b32_e64 v10, v17, v16, s[16:17]
	s_barrier
	ds_write2_b64 v18, v[2:3], v[4:5] offset1:1
	v_lshlrev_b32_e32 v2, 3, v14
	v_lshlrev_b32_e32 v4, 3, v10
	s_waitcnt lgkmcnt(0)
	s_barrier
	ds_read_b64 v[2:3], v2
	ds_read_b64 v[4:5], v4
	v_cndmask_b32_e64 v9, v11, v13, s[16:17]
	v_mov_b32_e32 v10, v36
	s_waitcnt lgkmcnt(0)
	s_barrier
	ds_write2_b64 v18, v[6:7], v[8:9] offset1:1
	s_waitcnt lgkmcnt(0)
	s_barrier
	s_and_saveexec_b64 s[18:19], s[2:3]
	s_cbranch_execz .LBB153_22
; %bb.19:                               ;   in Loop: Header=BB153_2 Depth=1
	s_mov_b64 s[20:21], 0
	v_mov_b32_e32 v10, v36
	v_mov_b32_e32 v6, v37
.LBB153_20:                             ;   Parent Loop BB153_2 Depth=1
                                        ; =>  This Inner Loop Header: Depth=2
	v_sub_u32_e32 v7, v6, v10
	v_lshrrev_b32_e32 v8, 31, v7
	v_add_u32_e32 v7, v7, v8
	v_ashrrev_i32_e32 v7, 1, v7
	v_add_u32_e32 v7, v7, v10
	v_lshl_add_u32 v8, v7, 3, v76
	v_xad_u32 v9, v7, -1, v33
	v_lshl_add_u32 v11, v9, 3, v77
	ds_read_b64 v[8:9], v8
	ds_read_b64 v[12:13], v11
	v_add_u32_e32 v11, 1, v7
	s_waitcnt lgkmcnt(0)
	v_cmp_lt_i64_e64 s[16:17], v[12:13], v[8:9]
	s_nop 1
	v_cndmask_b32_e64 v6, v6, v7, s[16:17]
	v_cndmask_b32_e64 v10, v11, v10, s[16:17]
	v_cmp_ge_i32_e64 s[16:17], v10, v6
	s_or_b64 s[20:21], s[16:17], s[20:21]
	s_andn2_b64 exec, exec, s[20:21]
	s_cbranch_execnz .LBB153_20
; %bb.21:                               ;   in Loop: Header=BB153_2 Depth=1
	s_or_b64 exec, exec, s[20:21]
.LBB153_22:                             ;   in Loop: Header=BB153_2 Depth=1
	s_or_b64 exec, exec, s[18:19]
	v_sub_u32_e32 v14, v78, v10
	v_lshl_add_u32 v12, v10, 3, v76
	v_lshlrev_b32_e32 v16, 3, v14
	ds_read_b64 v[6:7], v12
	ds_read_b64 v[8:9], v16
	v_add_u32_e32 v15, v10, v32
	v_cmp_le_i32_e64 s[18:19], v34, v15
	v_cmp_gt_i32_e64 s[16:17], v35, v14
                                        ; implicit-def: $vgpr10_vgpr11
	s_waitcnt lgkmcnt(0)
	v_cmp_lt_i64_e64 s[20:21], v[8:9], v[6:7]
	s_or_b64 s[18:19], s[18:19], s[20:21]
	s_and_b64 s[16:17], s[16:17], s[18:19]
	s_xor_b64 s[18:19], s[16:17], -1
	s_and_saveexec_b64 s[20:21], s[18:19]
	s_xor_b64 s[18:19], exec, s[20:21]
	s_cbranch_execz .LBB153_24
; %bb.23:                               ;   in Loop: Header=BB153_2 Depth=1
	ds_read_b64 v[10:11], v12 offset:8
                                        ; implicit-def: $vgpr16
.LBB153_24:                             ;   in Loop: Header=BB153_2 Depth=1
	s_or_saveexec_b64 s[18:19], s[18:19]
	v_mov_b64_e32 v[12:13], v[8:9]
	s_xor_b64 exec, exec, s[18:19]
	s_cbranch_execz .LBB153_26
; %bb.25:                               ;   in Loop: Header=BB153_2 Depth=1
	ds_read_b64 v[12:13], v16 offset:8
	s_waitcnt lgkmcnt(1)
	v_mov_b64_e32 v[10:11], v[6:7]
.LBB153_26:                             ;   in Loop: Header=BB153_2 Depth=1
	s_or_b64 exec, exec, s[18:19]
	v_cndmask_b32_e64 v7, v7, v9, s[16:17]
	v_add_u32_e32 v9, 1, v15
	v_cndmask_b32_e64 v6, v6, v8, s[16:17]
	v_add_u32_e32 v8, 1, v14
	v_cndmask_b32_e64 v17, v9, v15, s[16:17]
	v_cndmask_b32_e64 v16, v14, v8, s[16:17]
	v_cmp_ge_i32_e64 s[18:19], v17, v34
	s_waitcnt lgkmcnt(0)
	v_cmp_lt_i64_e64 s[20:21], v[12:13], v[10:11]
	v_cndmask_b32_e64 v14, v15, v14, s[16:17]
	v_cmp_lt_i32_e64 s[16:17], v16, v35
	s_or_b64 s[18:19], s[18:19], s[20:21]
	s_and_b64 s[16:17], s[16:17], s[18:19]
	v_cndmask_b32_e64 v8, v10, v12, s[16:17]
	v_cndmask_b32_e64 v10, v17, v16, s[16:17]
	s_barrier
	ds_write2_b64 v18, v[2:3], v[4:5] offset1:1
	v_lshlrev_b32_e32 v2, 3, v14
	v_lshlrev_b32_e32 v4, 3, v10
	s_waitcnt lgkmcnt(0)
	s_barrier
	ds_read_b64 v[2:3], v2
	ds_read_b64 v[4:5], v4
	v_cndmask_b32_e64 v9, v11, v13, s[16:17]
	v_mov_b32_e32 v10, v42
	s_waitcnt lgkmcnt(0)
	s_barrier
	ds_write2_b64 v18, v[6:7], v[8:9] offset1:1
	s_waitcnt lgkmcnt(0)
	s_barrier
	s_and_saveexec_b64 s[18:19], s[4:5]
	s_cbranch_execz .LBB153_30
; %bb.27:                               ;   in Loop: Header=BB153_2 Depth=1
	s_mov_b64 s[20:21], 0
	v_mov_b32_e32 v10, v42
	v_mov_b32_e32 v6, v43
.LBB153_28:                             ;   Parent Loop BB153_2 Depth=1
                                        ; =>  This Inner Loop Header: Depth=2
	v_sub_u32_e32 v7, v6, v10
	v_lshrrev_b32_e32 v8, 31, v7
	v_add_u32_e32 v7, v7, v8
	v_ashrrev_i32_e32 v7, 1, v7
	v_add_u32_e32 v7, v7, v10
	v_lshl_add_u32 v8, v7, 3, v79
	v_xad_u32 v9, v7, -1, v39
	v_lshl_add_u32 v11, v9, 3, v80
	ds_read_b64 v[8:9], v8
	ds_read_b64 v[12:13], v11
	v_add_u32_e32 v11, 1, v7
	s_waitcnt lgkmcnt(0)
	v_cmp_lt_i64_e64 s[16:17], v[12:13], v[8:9]
	s_nop 1
	v_cndmask_b32_e64 v6, v6, v7, s[16:17]
	v_cndmask_b32_e64 v10, v11, v10, s[16:17]
	v_cmp_ge_i32_e64 s[16:17], v10, v6
	s_or_b64 s[20:21], s[16:17], s[20:21]
	s_andn2_b64 exec, exec, s[20:21]
	s_cbranch_execnz .LBB153_28
; %bb.29:                               ;   in Loop: Header=BB153_2 Depth=1
	s_or_b64 exec, exec, s[20:21]
.LBB153_30:                             ;   in Loop: Header=BB153_2 Depth=1
	s_or_b64 exec, exec, s[18:19]
	v_sub_u32_e32 v14, v81, v10
	v_lshl_add_u32 v12, v10, 3, v79
	v_lshlrev_b32_e32 v16, 3, v14
	ds_read_b64 v[6:7], v12
	ds_read_b64 v[8:9], v16
	v_add_u32_e32 v15, v10, v38
	v_cmp_le_i32_e64 s[18:19], v40, v15
	v_cmp_gt_i32_e64 s[16:17], v41, v14
                                        ; implicit-def: $vgpr10_vgpr11
	s_waitcnt lgkmcnt(0)
	v_cmp_lt_i64_e64 s[20:21], v[8:9], v[6:7]
	s_or_b64 s[18:19], s[18:19], s[20:21]
	s_and_b64 s[16:17], s[16:17], s[18:19]
	s_xor_b64 s[18:19], s[16:17], -1
	s_and_saveexec_b64 s[20:21], s[18:19]
	s_xor_b64 s[18:19], exec, s[20:21]
	s_cbranch_execz .LBB153_32
; %bb.31:                               ;   in Loop: Header=BB153_2 Depth=1
	ds_read_b64 v[10:11], v12 offset:8
                                        ; implicit-def: $vgpr16
.LBB153_32:                             ;   in Loop: Header=BB153_2 Depth=1
	s_or_saveexec_b64 s[18:19], s[18:19]
	v_mov_b64_e32 v[12:13], v[8:9]
	s_xor_b64 exec, exec, s[18:19]
	s_cbranch_execz .LBB153_34
; %bb.33:                               ;   in Loop: Header=BB153_2 Depth=1
	ds_read_b64 v[12:13], v16 offset:8
	s_waitcnt lgkmcnt(1)
	v_mov_b64_e32 v[10:11], v[6:7]
.LBB153_34:                             ;   in Loop: Header=BB153_2 Depth=1
	s_or_b64 exec, exec, s[18:19]
	v_cndmask_b32_e64 v7, v7, v9, s[16:17]
	v_add_u32_e32 v9, 1, v15
	v_cndmask_b32_e64 v6, v6, v8, s[16:17]
	v_add_u32_e32 v8, 1, v14
	v_cndmask_b32_e64 v17, v9, v15, s[16:17]
	v_cndmask_b32_e64 v16, v14, v8, s[16:17]
	v_cmp_ge_i32_e64 s[18:19], v17, v40
	s_waitcnt lgkmcnt(0)
	v_cmp_lt_i64_e64 s[20:21], v[12:13], v[10:11]
	v_cndmask_b32_e64 v14, v15, v14, s[16:17]
	v_cmp_lt_i32_e64 s[16:17], v16, v41
	s_or_b64 s[18:19], s[18:19], s[20:21]
	s_and_b64 s[16:17], s[16:17], s[18:19]
	v_cndmask_b32_e64 v8, v10, v12, s[16:17]
	v_cndmask_b32_e64 v10, v17, v16, s[16:17]
	s_barrier
	ds_write2_b64 v18, v[2:3], v[4:5] offset1:1
	v_lshlrev_b32_e32 v2, 3, v14
	v_lshlrev_b32_e32 v4, 3, v10
	s_waitcnt lgkmcnt(0)
	s_barrier
	ds_read_b64 v[2:3], v2
	ds_read_b64 v[4:5], v4
	v_cndmask_b32_e64 v9, v11, v13, s[16:17]
	v_mov_b32_e32 v10, v48
	s_waitcnt lgkmcnt(0)
	s_barrier
	ds_write2_b64 v18, v[6:7], v[8:9] offset1:1
	s_waitcnt lgkmcnt(0)
	s_barrier
	s_and_saveexec_b64 s[18:19], s[6:7]
	s_cbranch_execz .LBB153_38
; %bb.35:                               ;   in Loop: Header=BB153_2 Depth=1
	s_mov_b64 s[20:21], 0
	v_mov_b32_e32 v10, v48
	v_mov_b32_e32 v6, v49
.LBB153_36:                             ;   Parent Loop BB153_2 Depth=1
                                        ; =>  This Inner Loop Header: Depth=2
	v_sub_u32_e32 v7, v6, v10
	v_lshrrev_b32_e32 v8, 31, v7
	v_add_u32_e32 v7, v7, v8
	v_ashrrev_i32_e32 v7, 1, v7
	v_add_u32_e32 v7, v7, v10
	v_lshl_add_u32 v8, v7, 3, v82
	v_xad_u32 v9, v7, -1, v45
	v_lshl_add_u32 v11, v9, 3, v83
	ds_read_b64 v[8:9], v8
	ds_read_b64 v[12:13], v11
	v_add_u32_e32 v11, 1, v7
	s_waitcnt lgkmcnt(0)
	v_cmp_lt_i64_e64 s[16:17], v[12:13], v[8:9]
	s_nop 1
	v_cndmask_b32_e64 v6, v6, v7, s[16:17]
	v_cndmask_b32_e64 v10, v11, v10, s[16:17]
	v_cmp_ge_i32_e64 s[16:17], v10, v6
	s_or_b64 s[20:21], s[16:17], s[20:21]
	s_andn2_b64 exec, exec, s[20:21]
	s_cbranch_execnz .LBB153_36
; %bb.37:                               ;   in Loop: Header=BB153_2 Depth=1
	s_or_b64 exec, exec, s[20:21]
.LBB153_38:                             ;   in Loop: Header=BB153_2 Depth=1
	s_or_b64 exec, exec, s[18:19]
	v_sub_u32_e32 v14, v84, v10
	v_lshl_add_u32 v12, v10, 3, v82
	v_lshlrev_b32_e32 v16, 3, v14
	ds_read_b64 v[6:7], v12
	ds_read_b64 v[8:9], v16
	v_add_u32_e32 v15, v10, v44
	v_cmp_le_i32_e64 s[18:19], v46, v15
	v_cmp_gt_i32_e64 s[16:17], v47, v14
                                        ; implicit-def: $vgpr10_vgpr11
	s_waitcnt lgkmcnt(0)
	v_cmp_lt_i64_e64 s[20:21], v[8:9], v[6:7]
	s_or_b64 s[18:19], s[18:19], s[20:21]
	s_and_b64 s[16:17], s[16:17], s[18:19]
	s_xor_b64 s[18:19], s[16:17], -1
	s_and_saveexec_b64 s[20:21], s[18:19]
	s_xor_b64 s[18:19], exec, s[20:21]
	s_cbranch_execz .LBB153_40
; %bb.39:                               ;   in Loop: Header=BB153_2 Depth=1
	ds_read_b64 v[10:11], v12 offset:8
                                        ; implicit-def: $vgpr16
.LBB153_40:                             ;   in Loop: Header=BB153_2 Depth=1
	s_or_saveexec_b64 s[18:19], s[18:19]
	v_mov_b64_e32 v[12:13], v[8:9]
	s_xor_b64 exec, exec, s[18:19]
	s_cbranch_execz .LBB153_42
; %bb.41:                               ;   in Loop: Header=BB153_2 Depth=1
	ds_read_b64 v[12:13], v16 offset:8
	s_waitcnt lgkmcnt(1)
	v_mov_b64_e32 v[10:11], v[6:7]
.LBB153_42:                             ;   in Loop: Header=BB153_2 Depth=1
	s_or_b64 exec, exec, s[18:19]
	v_cndmask_b32_e64 v7, v7, v9, s[16:17]
	v_add_u32_e32 v9, 1, v15
	v_cndmask_b32_e64 v6, v6, v8, s[16:17]
	v_add_u32_e32 v8, 1, v14
	v_cndmask_b32_e64 v17, v9, v15, s[16:17]
	v_cndmask_b32_e64 v16, v14, v8, s[16:17]
	v_cmp_ge_i32_e64 s[18:19], v17, v46
	s_waitcnt lgkmcnt(0)
	v_cmp_lt_i64_e64 s[20:21], v[12:13], v[10:11]
	v_cndmask_b32_e64 v14, v15, v14, s[16:17]
	v_cmp_lt_i32_e64 s[16:17], v16, v47
	s_or_b64 s[18:19], s[18:19], s[20:21]
	s_and_b64 s[16:17], s[16:17], s[18:19]
	v_cndmask_b32_e64 v8, v10, v12, s[16:17]
	v_cndmask_b32_e64 v10, v17, v16, s[16:17]
	s_barrier
	ds_write2_b64 v18, v[2:3], v[4:5] offset1:1
	v_lshlrev_b32_e32 v2, 3, v14
	v_lshlrev_b32_e32 v4, 3, v10
	s_waitcnt lgkmcnt(0)
	s_barrier
	ds_read_b64 v[2:3], v2
	ds_read_b64 v[4:5], v4
	v_cndmask_b32_e64 v9, v11, v13, s[16:17]
	v_mov_b32_e32 v10, v54
	s_waitcnt lgkmcnt(0)
	s_barrier
	ds_write2_b64 v18, v[6:7], v[8:9] offset1:1
	s_waitcnt lgkmcnt(0)
	s_barrier
	s_and_saveexec_b64 s[18:19], s[8:9]
	s_cbranch_execz .LBB153_46
; %bb.43:                               ;   in Loop: Header=BB153_2 Depth=1
	s_mov_b64 s[20:21], 0
	v_mov_b32_e32 v10, v54
	v_mov_b32_e32 v6, v55
.LBB153_44:                             ;   Parent Loop BB153_2 Depth=1
                                        ; =>  This Inner Loop Header: Depth=2
	v_sub_u32_e32 v7, v6, v10
	v_lshrrev_b32_e32 v8, 31, v7
	v_add_u32_e32 v7, v7, v8
	v_ashrrev_i32_e32 v7, 1, v7
	v_add_u32_e32 v7, v7, v10
	v_lshl_add_u32 v8, v7, 3, v85
	v_xad_u32 v9, v7, -1, v51
	v_lshl_add_u32 v11, v9, 3, v86
	ds_read_b64 v[8:9], v8
	ds_read_b64 v[12:13], v11
	v_add_u32_e32 v11, 1, v7
	s_waitcnt lgkmcnt(0)
	v_cmp_lt_i64_e64 s[16:17], v[12:13], v[8:9]
	s_nop 1
	v_cndmask_b32_e64 v6, v6, v7, s[16:17]
	v_cndmask_b32_e64 v10, v11, v10, s[16:17]
	v_cmp_ge_i32_e64 s[16:17], v10, v6
	s_or_b64 s[20:21], s[16:17], s[20:21]
	s_andn2_b64 exec, exec, s[20:21]
	s_cbranch_execnz .LBB153_44
; %bb.45:                               ;   in Loop: Header=BB153_2 Depth=1
	s_or_b64 exec, exec, s[20:21]
.LBB153_46:                             ;   in Loop: Header=BB153_2 Depth=1
	s_or_b64 exec, exec, s[18:19]
	v_sub_u32_e32 v14, v87, v10
	v_lshl_add_u32 v12, v10, 3, v85
	v_lshlrev_b32_e32 v16, 3, v14
	ds_read_b64 v[6:7], v12
	ds_read_b64 v[8:9], v16
	v_add_u32_e32 v15, v10, v50
	v_cmp_le_i32_e64 s[18:19], v52, v15
	v_cmp_gt_i32_e64 s[16:17], v53, v14
                                        ; implicit-def: $vgpr10_vgpr11
	s_waitcnt lgkmcnt(0)
	v_cmp_lt_i64_e64 s[20:21], v[8:9], v[6:7]
	s_or_b64 s[18:19], s[18:19], s[20:21]
	s_and_b64 s[16:17], s[16:17], s[18:19]
	s_xor_b64 s[18:19], s[16:17], -1
	s_and_saveexec_b64 s[20:21], s[18:19]
	s_xor_b64 s[18:19], exec, s[20:21]
	s_cbranch_execz .LBB153_48
; %bb.47:                               ;   in Loop: Header=BB153_2 Depth=1
	ds_read_b64 v[10:11], v12 offset:8
                                        ; implicit-def: $vgpr16
.LBB153_48:                             ;   in Loop: Header=BB153_2 Depth=1
	s_or_saveexec_b64 s[18:19], s[18:19]
	v_mov_b64_e32 v[12:13], v[8:9]
	s_xor_b64 exec, exec, s[18:19]
	s_cbranch_execz .LBB153_50
; %bb.49:                               ;   in Loop: Header=BB153_2 Depth=1
	ds_read_b64 v[12:13], v16 offset:8
	s_waitcnt lgkmcnt(1)
	v_mov_b64_e32 v[10:11], v[6:7]
.LBB153_50:                             ;   in Loop: Header=BB153_2 Depth=1
	s_or_b64 exec, exec, s[18:19]
	v_cndmask_b32_e64 v7, v7, v9, s[16:17]
	v_add_u32_e32 v9, 1, v15
	v_cndmask_b32_e64 v6, v6, v8, s[16:17]
	v_add_u32_e32 v8, 1, v14
	v_cndmask_b32_e64 v17, v9, v15, s[16:17]
	v_cndmask_b32_e64 v16, v14, v8, s[16:17]
	v_cmp_ge_i32_e64 s[18:19], v17, v52
	s_waitcnt lgkmcnt(0)
	v_cmp_lt_i64_e64 s[20:21], v[12:13], v[10:11]
	v_cndmask_b32_e64 v14, v15, v14, s[16:17]
	v_cmp_lt_i32_e64 s[16:17], v16, v53
	s_or_b64 s[18:19], s[18:19], s[20:21]
	s_and_b64 s[16:17], s[16:17], s[18:19]
	v_cndmask_b32_e64 v8, v10, v12, s[16:17]
	v_cndmask_b32_e64 v10, v17, v16, s[16:17]
	s_barrier
	ds_write2_b64 v18, v[2:3], v[4:5] offset1:1
	v_lshlrev_b32_e32 v2, 3, v14
	v_lshlrev_b32_e32 v4, 3, v10
	s_waitcnt lgkmcnt(0)
	s_barrier
	ds_read_b64 v[2:3], v2
	ds_read_b64 v[4:5], v4
	v_cndmask_b32_e64 v9, v11, v13, s[16:17]
	v_mov_b32_e32 v10, v60
	s_waitcnt lgkmcnt(0)
	s_barrier
	ds_write2_b64 v18, v[6:7], v[8:9] offset1:1
	s_waitcnt lgkmcnt(0)
	s_barrier
	s_and_saveexec_b64 s[18:19], s[10:11]
	s_cbranch_execz .LBB153_54
; %bb.51:                               ;   in Loop: Header=BB153_2 Depth=1
	s_mov_b64 s[20:21], 0
	v_mov_b32_e32 v10, v60
	v_mov_b32_e32 v6, v61
.LBB153_52:                             ;   Parent Loop BB153_2 Depth=1
                                        ; =>  This Inner Loop Header: Depth=2
	v_sub_u32_e32 v7, v6, v10
	v_lshrrev_b32_e32 v8, 31, v7
	v_add_u32_e32 v7, v7, v8
	v_ashrrev_i32_e32 v7, 1, v7
	v_add_u32_e32 v7, v7, v10
	v_lshl_add_u32 v8, v7, 3, v88
	v_xad_u32 v9, v7, -1, v57
	v_lshl_add_u32 v11, v9, 3, v89
	ds_read_b64 v[8:9], v8
	ds_read_b64 v[12:13], v11
	v_add_u32_e32 v11, 1, v7
	s_waitcnt lgkmcnt(0)
	v_cmp_lt_i64_e64 s[16:17], v[12:13], v[8:9]
	s_nop 1
	v_cndmask_b32_e64 v6, v6, v7, s[16:17]
	v_cndmask_b32_e64 v10, v11, v10, s[16:17]
	v_cmp_ge_i32_e64 s[16:17], v10, v6
	s_or_b64 s[20:21], s[16:17], s[20:21]
	s_andn2_b64 exec, exec, s[20:21]
	s_cbranch_execnz .LBB153_52
; %bb.53:                               ;   in Loop: Header=BB153_2 Depth=1
	s_or_b64 exec, exec, s[20:21]
.LBB153_54:                             ;   in Loop: Header=BB153_2 Depth=1
	s_or_b64 exec, exec, s[18:19]
	v_sub_u32_e32 v14, v90, v10
	v_lshl_add_u32 v12, v10, 3, v88
	v_lshlrev_b32_e32 v16, 3, v14
	ds_read_b64 v[6:7], v12
	ds_read_b64 v[8:9], v16
	v_add_u32_e32 v15, v10, v56
	v_cmp_le_i32_e64 s[18:19], v58, v15
	v_cmp_gt_i32_e64 s[16:17], v59, v14
                                        ; implicit-def: $vgpr10_vgpr11
	s_waitcnt lgkmcnt(0)
	v_cmp_lt_i64_e64 s[20:21], v[8:9], v[6:7]
	s_or_b64 s[18:19], s[18:19], s[20:21]
	s_and_b64 s[16:17], s[16:17], s[18:19]
	s_xor_b64 s[18:19], s[16:17], -1
	s_and_saveexec_b64 s[20:21], s[18:19]
	s_xor_b64 s[18:19], exec, s[20:21]
	s_cbranch_execz .LBB153_56
; %bb.55:                               ;   in Loop: Header=BB153_2 Depth=1
	ds_read_b64 v[10:11], v12 offset:8
                                        ; implicit-def: $vgpr16
.LBB153_56:                             ;   in Loop: Header=BB153_2 Depth=1
	s_or_saveexec_b64 s[18:19], s[18:19]
	v_mov_b64_e32 v[12:13], v[8:9]
	s_xor_b64 exec, exec, s[18:19]
	s_cbranch_execz .LBB153_58
; %bb.57:                               ;   in Loop: Header=BB153_2 Depth=1
	ds_read_b64 v[12:13], v16 offset:8
	s_waitcnt lgkmcnt(1)
	v_mov_b64_e32 v[10:11], v[6:7]
.LBB153_58:                             ;   in Loop: Header=BB153_2 Depth=1
	s_or_b64 exec, exec, s[18:19]
	v_cndmask_b32_e64 v7, v7, v9, s[16:17]
	v_add_u32_e32 v9, 1, v15
	v_cndmask_b32_e64 v6, v6, v8, s[16:17]
	v_add_u32_e32 v8, 1, v14
	v_cndmask_b32_e64 v17, v9, v15, s[16:17]
	v_cndmask_b32_e64 v16, v14, v8, s[16:17]
	v_cmp_ge_i32_e64 s[18:19], v17, v58
	s_waitcnt lgkmcnt(0)
	v_cmp_lt_i64_e64 s[20:21], v[12:13], v[10:11]
	v_cndmask_b32_e64 v14, v15, v14, s[16:17]
	v_cmp_lt_i32_e64 s[16:17], v16, v59
	s_or_b64 s[18:19], s[18:19], s[20:21]
	s_and_b64 s[16:17], s[16:17], s[18:19]
	v_cndmask_b32_e64 v8, v10, v12, s[16:17]
	v_cndmask_b32_e64 v10, v17, v16, s[16:17]
	s_barrier
	ds_write2_b64 v18, v[2:3], v[4:5] offset1:1
	v_lshlrev_b32_e32 v2, 3, v14
	v_lshlrev_b32_e32 v4, 3, v10
	s_waitcnt lgkmcnt(0)
	s_barrier
	ds_read_b64 v[2:3], v2
	ds_read_b64 v[4:5], v4
	v_cndmask_b32_e64 v9, v11, v13, s[16:17]
	v_mov_b32_e32 v10, v67
	s_waitcnt lgkmcnt(0)
	s_barrier
	ds_write2_b64 v18, v[6:7], v[8:9] offset1:1
	s_waitcnt lgkmcnt(0)
	s_barrier
	s_and_saveexec_b64 s[18:19], s[12:13]
	s_cbranch_execz .LBB153_62
; %bb.59:                               ;   in Loop: Header=BB153_2 Depth=1
	s_mov_b64 s[20:21], 0
	v_mov_b32_e32 v10, v67
	v_mov_b32_e32 v6, v68
.LBB153_60:                             ;   Parent Loop BB153_2 Depth=1
                                        ; =>  This Inner Loop Header: Depth=2
	v_sub_u32_e32 v7, v6, v10
	v_lshrrev_b32_e32 v8, 31, v7
	v_add_u32_e32 v7, v7, v8
	v_ashrrev_i32_e32 v7, 1, v7
	v_add_u32_e32 v7, v7, v10
	v_lshl_add_u32 v8, v7, 3, v91
	v_xad_u32 v9, v7, -1, v64
	v_lshl_add_u32 v11, v9, 3, v92
	ds_read_b64 v[8:9], v8
	ds_read_b64 v[12:13], v11
	v_add_u32_e32 v11, 1, v7
	s_waitcnt lgkmcnt(0)
	v_cmp_lt_i64_e64 s[16:17], v[12:13], v[8:9]
	s_nop 1
	v_cndmask_b32_e64 v6, v6, v7, s[16:17]
	v_cndmask_b32_e64 v10, v11, v10, s[16:17]
	v_cmp_ge_i32_e64 s[16:17], v10, v6
	s_or_b64 s[20:21], s[16:17], s[20:21]
	s_andn2_b64 exec, exec, s[20:21]
	s_cbranch_execnz .LBB153_60
; %bb.61:                               ;   in Loop: Header=BB153_2 Depth=1
	s_or_b64 exec, exec, s[20:21]
.LBB153_62:                             ;   in Loop: Header=BB153_2 Depth=1
	s_or_b64 exec, exec, s[18:19]
	v_sub_u32_e32 v14, v93, v10
	v_lshl_add_u32 v12, v10, 3, v91
	v_lshlrev_b32_e32 v16, 3, v14
	ds_read_b64 v[6:7], v12
	ds_read_b64 v[8:9], v16
	v_add_u32_e32 v15, v10, v63
	v_cmp_le_i32_e64 s[18:19], v65, v15
	v_cmp_gt_i32_e64 s[16:17], v66, v14
                                        ; implicit-def: $vgpr10_vgpr11
	s_waitcnt lgkmcnt(0)
	v_cmp_lt_i64_e64 s[20:21], v[8:9], v[6:7]
	s_or_b64 s[18:19], s[18:19], s[20:21]
	s_and_b64 s[16:17], s[16:17], s[18:19]
	s_xor_b64 s[18:19], s[16:17], -1
	s_and_saveexec_b64 s[20:21], s[18:19]
	s_xor_b64 s[18:19], exec, s[20:21]
	s_cbranch_execz .LBB153_64
; %bb.63:                               ;   in Loop: Header=BB153_2 Depth=1
	ds_read_b64 v[10:11], v12 offset:8
                                        ; implicit-def: $vgpr16
.LBB153_64:                             ;   in Loop: Header=BB153_2 Depth=1
	s_or_saveexec_b64 s[18:19], s[18:19]
	v_mov_b64_e32 v[12:13], v[8:9]
	s_xor_b64 exec, exec, s[18:19]
	s_cbranch_execz .LBB153_66
; %bb.65:                               ;   in Loop: Header=BB153_2 Depth=1
	ds_read_b64 v[12:13], v16 offset:8
	s_waitcnt lgkmcnt(1)
	v_mov_b64_e32 v[10:11], v[6:7]
.LBB153_66:                             ;   in Loop: Header=BB153_2 Depth=1
	s_or_b64 exec, exec, s[18:19]
	v_cndmask_b32_e64 v17, v7, v9, s[16:17]
	v_add_u32_e32 v7, 1, v15
	v_cndmask_b32_e64 v16, v6, v8, s[16:17]
	v_add_u32_e32 v6, 1, v14
	v_cndmask_b32_e64 v7, v7, v15, s[16:17]
	v_cndmask_b32_e64 v6, v14, v6, s[16:17]
	v_cmp_ge_i32_e64 s[18:19], v7, v65
	s_waitcnt lgkmcnt(0)
	v_cmp_lt_i64_e64 s[20:21], v[12:13], v[10:11]
	v_cndmask_b32_e64 v8, v15, v14, s[16:17]
	v_cmp_lt_i32_e64 s[16:17], v6, v66
	s_or_b64 s[18:19], s[18:19], s[20:21]
	s_and_b64 s[16:17], s[16:17], s[18:19]
	v_cndmask_b32_e64 v6, v7, v6, s[16:17]
	s_barrier
	ds_write2_b64 v18, v[2:3], v[4:5] offset1:1
	v_lshlrev_b32_e32 v2, 3, v8
	s_waitcnt lgkmcnt(0)
	s_barrier
	v_lshlrev_b32_e32 v3, 3, v6
	ds_read_b64 v[6:7], v2
	ds_read_b64 v[8:9], v3
	v_cndmask_b32_e64 v11, v11, v13, s[16:17]
	v_cndmask_b32_e64 v10, v10, v12, s[16:17]
	v_mov_b32_e32 v2, v69
	s_waitcnt lgkmcnt(0)
	s_barrier
	ds_write2_b64 v18, v[16:17], v[10:11] offset1:1
	s_waitcnt lgkmcnt(0)
	s_barrier
	s_and_saveexec_b64 s[18:19], s[14:15]
	s_cbranch_execz .LBB153_70
; %bb.67:                               ;   in Loop: Header=BB153_2 Depth=1
	s_mov_b64 s[20:21], 0
	v_mov_b32_e32 v2, v69
	v_mov_b32_e32 v3, v70
.LBB153_68:                             ;   Parent Loop BB153_2 Depth=1
                                        ; =>  This Inner Loop Header: Depth=2
	v_sub_u32_e32 v4, v3, v2
	v_lshrrev_b32_e32 v5, 31, v4
	v_add_u32_e32 v4, v4, v5
	v_ashrrev_i32_e32 v4, 1, v4
	v_add_u32_e32 v12, v4, v2
	v_xad_u32 v5, v12, -1, v1
	v_lshlrev_b32_e32 v4, 3, v12
	v_lshl_add_u32 v10, v5, 3, v94
	ds_read_b64 v[4:5], v4
	ds_read_b64 v[10:11], v10
	v_add_u32_e32 v13, 1, v12
	s_waitcnt lgkmcnt(0)
	v_cmp_lt_i64_e64 s[16:17], v[10:11], v[4:5]
	s_nop 1
	v_cndmask_b32_e64 v3, v3, v12, s[16:17]
	v_cndmask_b32_e64 v2, v13, v2, s[16:17]
	v_cmp_ge_i32_e64 s[16:17], v2, v3
	s_or_b64 s[20:21], s[16:17], s[20:21]
	s_andn2_b64 exec, exec, s[20:21]
	s_cbranch_execnz .LBB153_68
; %bb.69:                               ;   in Loop: Header=BB153_2 Depth=1
	s_or_b64 exec, exec, s[20:21]
.LBB153_70:                             ;   in Loop: Header=BB153_2 Depth=1
	s_or_b64 exec, exec, s[18:19]
	v_sub_u32_e32 v12, v95, v2
	v_lshlrev_b32_e32 v16, 3, v2
	v_lshlrev_b32_e32 v3, 3, v12
	ds_read_b64 v[4:5], v16
	ds_read_b64 v[10:11], v3
	v_cmp_le_i32_e64 s[18:19], v62, v2
	v_cmp_gt_i32_e64 s[16:17], s24, v12
                                        ; implicit-def: $vgpr14_vgpr15
                                        ; implicit-def: $vgpr13
	s_waitcnt lgkmcnt(0)
	v_cmp_lt_i64_e64 s[20:21], v[10:11], v[4:5]
	s_or_b64 s[18:19], s[18:19], s[20:21]
	s_and_b64 s[16:17], s[16:17], s[18:19]
	s_xor_b64 s[18:19], s[16:17], -1
	s_and_saveexec_b64 s[20:21], s[18:19]
	s_xor_b64 s[18:19], exec, s[20:21]
	s_cbranch_execz .LBB153_72
; %bb.71:                               ;   in Loop: Header=BB153_2 Depth=1
	ds_read_b64 v[14:15], v16 offset:8
	v_add_u32_e32 v13, 1, v2
                                        ; implicit-def: $vgpr3
.LBB153_72:                             ;   in Loop: Header=BB153_2 Depth=1
	s_or_saveexec_b64 s[18:19], s[18:19]
	v_mov_b64_e32 v[16:17], v[10:11]
	s_xor_b64 exec, exec, s[18:19]
	s_cbranch_execz .LBB153_1
; %bb.73:                               ;   in Loop: Header=BB153_2 Depth=1
	ds_read_b64 v[16:17], v3 offset:8
	v_mov_b32_e32 v13, v2
	s_waitcnt lgkmcnt(1)
	v_add_u32_e32 v14, 1, v12
	v_mov_b64_e32 v[2:3], v[12:13]
	v_mov_b32_e32 v12, v14
	v_mov_b64_e32 v[14:15], v[4:5]
	s_branch .LBB153_1
.LBB153_74:
	s_add_u32 s0, s26, s28
	s_addc_u32 s1, s27, s29
	v_lshlrev_b32_e32 v0, 3, v0
	v_mov_b32_e32 v1, 0
	s_waitcnt lgkmcnt(1)
	v_lshl_add_u64 v[2:3], v[2:3], 0, v[6:7]
	v_lshl_add_u64 v[6:7], s[0:1], 0, v[0:1]
	global_store_dwordx2 v0, v[2:3], s[0:1]
	v_add_co_u32_e32 v0, vcc, 0x1000, v6
	s_waitcnt lgkmcnt(0)
	v_lshl_add_u64 v[4:5], v[4:5], 0, v[8:9]
	v_addc_co_u32_e32 v1, vcc, 0, v7, vcc
	global_store_dwordx2 v[0:1], v[4:5], off
	s_endpgm
	.section	.rodata,"a",@progbits
	.p2align	6, 0x0
	.amdhsa_kernel _Z17sort_pairs_kernelIxLj512ELj2EN10test_utils4lessELj10EEvPKT_PS2_T2_
		.amdhsa_group_segment_fixed_size 8200
		.amdhsa_private_segment_fixed_size 0
		.amdhsa_kernarg_size 20
		.amdhsa_user_sgpr_count 2
		.amdhsa_user_sgpr_dispatch_ptr 0
		.amdhsa_user_sgpr_queue_ptr 0
		.amdhsa_user_sgpr_kernarg_segment_ptr 1
		.amdhsa_user_sgpr_dispatch_id 0
		.amdhsa_user_sgpr_kernarg_preload_length 0
		.amdhsa_user_sgpr_kernarg_preload_offset 0
		.amdhsa_user_sgpr_private_segment_size 0
		.amdhsa_uses_dynamic_stack 0
		.amdhsa_enable_private_segment 0
		.amdhsa_system_sgpr_workgroup_id_x 1
		.amdhsa_system_sgpr_workgroup_id_y 0
		.amdhsa_system_sgpr_workgroup_id_z 0
		.amdhsa_system_sgpr_workgroup_info 0
		.amdhsa_system_vgpr_workitem_id 0
		.amdhsa_next_free_vgpr 96
		.amdhsa_next_free_sgpr 32
		.amdhsa_accum_offset 96
		.amdhsa_reserve_vcc 1
		.amdhsa_float_round_mode_32 0
		.amdhsa_float_round_mode_16_64 0
		.amdhsa_float_denorm_mode_32 3
		.amdhsa_float_denorm_mode_16_64 3
		.amdhsa_dx10_clamp 1
		.amdhsa_ieee_mode 1
		.amdhsa_fp16_overflow 0
		.amdhsa_tg_split 0
		.amdhsa_exception_fp_ieee_invalid_op 0
		.amdhsa_exception_fp_denorm_src 0
		.amdhsa_exception_fp_ieee_div_zero 0
		.amdhsa_exception_fp_ieee_overflow 0
		.amdhsa_exception_fp_ieee_underflow 0
		.amdhsa_exception_fp_ieee_inexact 0
		.amdhsa_exception_int_div_zero 0
	.end_amdhsa_kernel
	.section	.text._Z17sort_pairs_kernelIxLj512ELj2EN10test_utils4lessELj10EEvPKT_PS2_T2_,"axG",@progbits,_Z17sort_pairs_kernelIxLj512ELj2EN10test_utils4lessELj10EEvPKT_PS2_T2_,comdat
.Lfunc_end153:
	.size	_Z17sort_pairs_kernelIxLj512ELj2EN10test_utils4lessELj10EEvPKT_PS2_T2_, .Lfunc_end153-_Z17sort_pairs_kernelIxLj512ELj2EN10test_utils4lessELj10EEvPKT_PS2_T2_
                                        ; -- End function
	.section	.AMDGPU.csdata,"",@progbits
; Kernel info:
; codeLenInByte = 5012
; NumSgprs: 38
; NumVgprs: 96
; NumAgprs: 0
; TotalNumVgprs: 96
; ScratchSize: 0
; MemoryBound: 0
; FloatMode: 240
; IeeeMode: 1
; LDSByteSize: 8200 bytes/workgroup (compile time only)
; SGPRBlocks: 4
; VGPRBlocks: 11
; NumSGPRsForWavesPerEU: 38
; NumVGPRsForWavesPerEU: 96
; AccumOffset: 96
; Occupancy: 5
; WaveLimiterHint : 1
; COMPUTE_PGM_RSRC2:SCRATCH_EN: 0
; COMPUTE_PGM_RSRC2:USER_SGPR: 2
; COMPUTE_PGM_RSRC2:TRAP_HANDLER: 0
; COMPUTE_PGM_RSRC2:TGID_X_EN: 1
; COMPUTE_PGM_RSRC2:TGID_Y_EN: 0
; COMPUTE_PGM_RSRC2:TGID_Z_EN: 0
; COMPUTE_PGM_RSRC2:TIDIG_COMP_CNT: 0
; COMPUTE_PGM_RSRC3_GFX90A:ACCUM_OFFSET: 23
; COMPUTE_PGM_RSRC3_GFX90A:TG_SPLIT: 0
	.section	.text._Z16sort_keys_kernelIxLj512ELj3EN10test_utils4lessELj10EEvPKT_PS2_T2_,"axG",@progbits,_Z16sort_keys_kernelIxLj512ELj3EN10test_utils4lessELj10EEvPKT_PS2_T2_,comdat
	.protected	_Z16sort_keys_kernelIxLj512ELj3EN10test_utils4lessELj10EEvPKT_PS2_T2_ ; -- Begin function _Z16sort_keys_kernelIxLj512ELj3EN10test_utils4lessELj10EEvPKT_PS2_T2_
	.globl	_Z16sort_keys_kernelIxLj512ELj3EN10test_utils4lessELj10EEvPKT_PS2_T2_
	.p2align	8
	.type	_Z16sort_keys_kernelIxLj512ELj3EN10test_utils4lessELj10EEvPKT_PS2_T2_,@function
_Z16sort_keys_kernelIxLj512ELj3EN10test_utils4lessELj10EEvPKT_PS2_T2_: ; @_Z16sort_keys_kernelIxLj512ELj3EN10test_utils4lessELj10EEvPKT_PS2_T2_
; %bb.0:
	s_load_dwordx4 s[24:27], s[0:1], 0x0
	s_mul_i32 s28, s2, 0x600
	s_mov_b32 s29, 0
	s_lshl_b64 s[30:31], s[28:29], 3
	v_mov_b32_e32 v9, 0
	s_waitcnt lgkmcnt(0)
	s_add_u32 s0, s24, s30
	s_addc_u32 s1, s25, s31
	v_lshlrev_b32_e32 v8, 3, v0
	v_and_b32_e32 v1, 0x1fe, v0
	v_lshl_add_u64 v[2:3], s[0:1], 0, v[8:9]
	s_movk_i32 s2, 0x2000
	v_mul_u32_u24_e32 v9, 3, v1
	v_add_co_u32_e32 v10, vcc, s2, v2
	v_min_u32_e32 v2, 0x5fa, v9
	v_add_u32_e32 v15, 6, v2
	v_and_b32_e32 v2, 0x1fc, v0
	v_mul_u32_u24_e32 v45, 3, v2
	v_min_u32_e32 v2, 0x5f4, v45
	v_add_u32_e32 v18, 12, v2
	v_and_b32_e32 v2, 0x1f8, v0
	v_mul_u32_u24_e32 v49, 3, v2
	;; [unrolled: 4-line block ×7, first 2 shown]
	v_min_u32_e32 v2, 0x300, v69
	v_addc_co_u32_e32 v11, vcc, 0, v3, vcc
	v_add_u32_e32 v36, 0x300, v2
	global_load_dwordx2 v[4:5], v8, s[0:1]
	global_load_dwordx2 v[6:7], v[10:11], off offset:-4096
	global_load_dwordx2 v[2:3], v[10:11], off
	v_min_u32_e32 v37, 0x5f4, v49
	v_mov_b32_e32 v8, 0x60
	v_add_u32_e32 v20, 12, v37
	v_min_u32_e32 v38, 0x5e8, v53
	v_lshl_add_u32 v37, v37, 3, v8
	v_mov_b32_e32 v8, 0xc0
	v_add_u32_e32 v23, 24, v38
	v_min_u32_e32 v39, 0x5d0, v57
	v_lshl_add_u32 v38, v38, 3, v8
	v_mov_b32_e32 v8, 0x180
	v_and_b32_e32 v1, 1, v0
	v_min_u32_e32 v12, 0x5fd, v9
	v_min_u32_e32 v78, 0x5fa, v45
	v_add_u32_e32 v26, 48, v39
	v_min_u32_e32 v40, 0x540, v65
	v_lshl_add_u32 v39, v39, 3, v8
	v_mov_b32_e32 v8, 0x600
	v_cmp_eq_u32_e32 vcc, 1, v1
	v_add_u32_e32 v14, 3, v12
	v_and_b32_e32 v48, 3, v0
	v_add_u32_e32 v17, 6, v78
	v_add_u32_e32 v32, 0xc0, v40
	v_min_u32_e32 v41, 0x480, v69
	v_lshl_add_u32 v40, v40, 3, v8
	v_mov_b32_e32 v8, 0xc00
	v_min_u32_e32 v42, 0x600, v9
	v_cndmask_b32_e64 v1, 0, 3, vcc
	v_mul_u32_u24_e32 v16, 3, v48
	v_sub_u32_e32 v46, v18, v17
	v_and_b32_e32 v52, 7, v0
	v_add_u32_e32 v35, 0x180, v41
	v_lshl_add_u32 v41, v41, 3, v8
	v_sub_u32_e32 v8, v14, v42
	v_min_u32_e32 v45, 0x600, v45
	v_sub_u32_e32 v47, v16, v46
	v_mul_u32_u24_e32 v19, 3, v52
	v_sub_u32_e32 v50, v21, v20
	v_and_b32_e32 v56, 15, v0
	v_min_i32_e32 v44, v1, v8
	v_cmp_ge_i32_e64 s[0:1], v16, v46
	v_sub_u32_e32 v8, v17, v45
	v_min_u32_e32 v49, 0x600, v49
	v_sub_u32_e32 v51, v19, v50
	v_mul_u32_u24_e32 v22, 3, v56
	v_sub_u32_e32 v54, v24, v23
	v_and_b32_e32 v60, 31, v0
	v_min_u32_e32 v79, 0x5a0, v61
	v_cndmask_b32_e64 v46, 0, v47, s[0:1]
	v_min_i32_e32 v47, v16, v8
	v_cmp_ge_i32_e64 s[2:3], v19, v50
	v_sub_u32_e32 v8, v20, v49
	v_min_u32_e32 v53, 0x600, v53
	v_sub_u32_e32 v55, v22, v54
	v_mul_u32_u24_e32 v25, 3, v60
	v_sub_u32_e32 v58, v27, v26
	v_and_b32_e32 v64, 63, v0
	v_add_u32_e32 v29, 0x60, v79
	v_cndmask_b32_e64 v50, 0, v51, s[2:3]
	v_min_i32_e32 v51, v19, v8
	v_cmp_ge_i32_e64 s[4:5], v22, v54
	v_sub_u32_e32 v8, v23, v53
	v_min_u32_e32 v57, 0x600, v57
	v_sub_u32_e32 v59, v25, v58
	v_mul_u32_u24_e32 v28, 3, v64
	v_sub_u32_e32 v62, v30, v29
	v_and_b32_e32 v68, 0x7f, v0
	v_cndmask_b32_e64 v54, 0, v55, s[4:5]
	v_min_i32_e32 v55, v22, v8
	v_cmp_ge_i32_e64 s[6:7], v25, v58
	v_sub_u32_e32 v8, v26, v57
	v_min_u32_e32 v61, 0x600, v61
	v_sub_u32_e32 v63, v28, v62
	v_mul_u32_u24_e32 v31, 3, v68
	v_sub_u32_e32 v66, v33, v32
	v_and_b32_e32 v72, 0xff, v0
	v_cndmask_b32_e64 v58, 0, v59, s[6:7]
	v_min_i32_e32 v59, v25, v8
	v_cmp_ge_i32_e64 s[8:9], v28, v62
	v_sub_u32_e32 v8, v29, v61
	v_min_u32_e32 v65, 0x600, v65
	v_sub_u32_e32 v13, v15, v14
	v_sub_u32_e32 v67, v31, v66
	v_mul_u32_u24_e32 v34, 3, v72
	v_sub_u32_e32 v70, v36, v35
	v_cndmask_b32_e64 v62, 0, v63, s[8:9]
	v_min_i32_e32 v63, v28, v8
	v_cmp_ge_i32_e64 s[10:11], v31, v66
	v_sub_u32_e32 v8, v32, v65
	v_min_u32_e32 v69, 0x600, v69
	v_sub_u32_e32 v43, v1, v13
	v_sub_u32_e32 v71, v34, v70
	v_cmp_ge_i32_e32 vcc, v1, v13
	v_cndmask_b32_e64 v66, 0, v67, s[10:11]
	v_min_i32_e32 v67, v31, v8
	v_cmp_ge_i32_e64 s[12:13], v34, v70
	v_sub_u32_e32 v8, v35, v69
	v_mul_u32_u24_e32 v73, 3, v0
	v_mov_b32_e32 v74, 0x300
	v_cndmask_b32_e32 v43, 0, v43, vcc
	v_cndmask_b32_e64 v70, 0, v71, s[12:13]
	v_min_i32_e32 v71, v34, v8
	v_sub_u32_e64 v75, v73, v74 clamp
	v_min_i32_e32 v76, 0x300, v73
	s_movk_i32 s24, 0x600
	v_cmp_lt_i32_e32 vcc, v43, v44
	v_cmp_lt_i32_e64 s[0:1], v46, v47
	v_mad_u32_u24 v48, v48, 3, v17
	v_cmp_lt_i32_e64 s[2:3], v50, v51
	v_mad_u32_u24 v52, v52, 3, v20
	;; [unrolled: 2-line block ×7, first 2 shown]
	v_cmp_lt_i32_e64 s[14:15], v75, v76
	v_lshl_add_u32 v77, v12, 3, 24
	v_lshl_add_u32 v78, v78, 3, 48
	;; [unrolled: 1-line block ×3, first 2 shown]
	v_lshlrev_b32_e32 v80, 3, v73
	v_lshlrev_b32_e32 v81, 3, v42
	v_add_u32_e32 v82, v14, v1
	v_lshlrev_b32_e32 v83, 3, v45
	v_lshlrev_b32_e32 v84, 3, v49
	;; [unrolled: 1-line block ×7, first 2 shown]
	v_mad_u32_u24 v90, v0, 3, v74
	v_mov_b32_e32 v91, 0x1800
	s_branch .LBB154_2
.LBB154_1:                              ;   in Loop: Header=BB154_2 Depth=1
	s_or_b64 exec, exec, s[20:21]
	v_cndmask_b32_e64 v7, v7, v9, s[18:19]
	v_cndmask_b32_e64 v6, v6, v8, s[18:19]
	v_cmp_ge_i32_e64 s[18:19], v93, v74
	s_waitcnt lgkmcnt(0)
	v_cmp_lt_i64_e64 s[20:21], v[12:13], v[10:11]
	v_cndmask_b32_e64 v5, v3, v5, s[16:17]
	v_cndmask_b32_e64 v4, v2, v4, s[16:17]
	v_cmp_gt_i32_e64 s[16:17], s24, v92
	s_or_b64 s[18:19], s[18:19], s[20:21]
	s_and_b64 s[16:17], s[16:17], s[18:19]
	s_add_i32 s29, s29, 1
	v_cndmask_b32_e64 v3, v11, v13, s[16:17]
	s_cmp_eq_u32 s29, 10
	v_cndmask_b32_e64 v2, v10, v12, s[16:17]
	s_cbranch_scc1 .LBB154_110
.LBB154_2:                              ; =>This Loop Header: Depth=1
                                        ;     Child Loop BB154_4 Depth 2
                                        ;     Child Loop BB154_16 Depth 2
	;; [unrolled: 1-line block ×9, first 2 shown]
	s_waitcnt vmcnt(1)
	v_cmp_lt_i64_e64 s[16:17], v[6:7], v[4:5]
	s_barrier
	s_nop 0
	v_cndmask_b32_e64 v9, v5, v7, s[16:17]
	v_cndmask_b32_e64 v8, v4, v6, s[16:17]
	;; [unrolled: 1-line block ×4, first 2 shown]
	v_cmp_gt_i64_e64 s[16:17], v[6:7], v[4:5]
	s_nop 1
	v_cndmask_b32_e64 v5, v5, v7, s[16:17]
	v_cndmask_b32_e64 v4, v4, v6, s[16:17]
	s_waitcnt vmcnt(0)
	v_cmp_lt_i64_e64 s[16:17], v[2:3], v[4:5]
	s_nop 1
	v_cndmask_b32_e64 v7, v3, v5, s[16:17]
	v_cndmask_b32_e64 v6, v2, v4, s[16:17]
	;; [unrolled: 1-line block ×6, first 2 shown]
	v_cmp_lt_i64_e64 s[16:17], v[2:3], v[8:9]
	s_nop 1
	v_cndmask_b32_e64 v3, v10, v9, s[16:17]
	v_cndmask_b32_e64 v2, v11, v8, s[16:17]
	;; [unrolled: 1-line block ×4, first 2 shown]
	ds_write2_b64 v80, v[4:5], v[2:3] offset1:1
	ds_write_b64 v80, v[6:7] offset:16
	v_mov_b32_e32 v6, v43
	s_waitcnt lgkmcnt(0)
	s_barrier
	s_and_saveexec_b64 s[18:19], vcc
	s_cbranch_execz .LBB154_6
; %bb.3:                                ;   in Loop: Header=BB154_2 Depth=1
	s_mov_b64 s[20:21], 0
	v_mov_b32_e32 v6, v43
	v_mov_b32_e32 v2, v44
.LBB154_4:                              ;   Parent Loop BB154_2 Depth=1
                                        ; =>  This Inner Loop Header: Depth=2
	v_sub_u32_e32 v3, v2, v6
	v_lshrrev_b32_e32 v4, 31, v3
	v_add_u32_e32 v3, v3, v4
	v_ashrrev_i32_e32 v3, 1, v3
	v_add_u32_e32 v3, v3, v6
	v_lshl_add_u32 v4, v3, 3, v81
	v_xad_u32 v5, v3, -1, v1
	v_lshl_add_u32 v7, v5, 3, v77
	ds_read_b64 v[4:5], v4
	ds_read_b64 v[8:9], v7
	v_add_u32_e32 v7, 1, v3
	s_waitcnt lgkmcnt(0)
	v_cmp_lt_i64_e64 s[16:17], v[8:9], v[4:5]
	s_nop 1
	v_cndmask_b32_e64 v2, v2, v3, s[16:17]
	v_cndmask_b32_e64 v6, v7, v6, s[16:17]
	v_cmp_ge_i32_e64 s[16:17], v6, v2
	s_or_b64 s[20:21], s[16:17], s[20:21]
	s_andn2_b64 exec, exec, s[20:21]
	s_cbranch_execnz .LBB154_4
; %bb.5:                                ;   in Loop: Header=BB154_2 Depth=1
	s_or_b64 exec, exec, s[20:21]
.LBB154_6:                              ;   in Loop: Header=BB154_2 Depth=1
	s_or_b64 exec, exec, s[18:19]
	v_sub_u32_e32 v10, v82, v6
	v_lshl_add_u32 v8, v6, 3, v81
	v_lshlrev_b32_e32 v12, 3, v10
	ds_read_b64 v[2:3], v8
	ds_read_b64 v[4:5], v12
	v_add_u32_e32 v11, v6, v42
	v_cmp_le_i32_e64 s[18:19], v14, v11
	v_cmp_gt_i32_e64 s[16:17], v15, v10
                                        ; implicit-def: $vgpr6_vgpr7
	s_waitcnt lgkmcnt(0)
	v_cmp_lt_i64_e64 s[20:21], v[4:5], v[2:3]
	s_or_b64 s[18:19], s[18:19], s[20:21]
	s_and_b64 s[16:17], s[16:17], s[18:19]
	s_xor_b64 s[18:19], s[16:17], -1
	s_and_saveexec_b64 s[20:21], s[18:19]
	s_xor_b64 s[18:19], exec, s[20:21]
	s_cbranch_execz .LBB154_8
; %bb.7:                                ;   in Loop: Header=BB154_2 Depth=1
	ds_read_b64 v[6:7], v8 offset:8
                                        ; implicit-def: $vgpr12
.LBB154_8:                              ;   in Loop: Header=BB154_2 Depth=1
	s_or_saveexec_b64 s[18:19], s[18:19]
	v_mov_b64_e32 v[8:9], v[4:5]
	s_xor_b64 exec, exec, s[18:19]
	s_cbranch_execz .LBB154_10
; %bb.9:                                ;   in Loop: Header=BB154_2 Depth=1
	ds_read_b64 v[8:9], v12 offset:8
	s_waitcnt lgkmcnt(1)
	v_mov_b64_e32 v[6:7], v[2:3]
.LBB154_10:                             ;   in Loop: Header=BB154_2 Depth=1
	s_or_b64 exec, exec, s[18:19]
	v_add_u32_e32 v13, 1, v11
	v_add_u32_e32 v12, 1, v10
	v_cndmask_b32_e64 v93, v13, v11, s[16:17]
	v_cndmask_b32_e64 v92, v10, v12, s[16:17]
	v_cmp_ge_i32_e64 s[20:21], v93, v14
	s_waitcnt lgkmcnt(0)
	v_cmp_lt_i64_e64 s[22:23], v[8:9], v[6:7]
	v_cmp_lt_i32_e64 s[18:19], v92, v15
	s_or_b64 s[20:21], s[20:21], s[22:23]
	s_and_b64 s[18:19], s[18:19], s[20:21]
	s_xor_b64 s[20:21], s[18:19], -1
                                        ; implicit-def: $vgpr10_vgpr11
	s_and_saveexec_b64 s[22:23], s[20:21]
	s_xor_b64 s[20:21], exec, s[22:23]
	s_cbranch_execz .LBB154_12
; %bb.11:                               ;   in Loop: Header=BB154_2 Depth=1
	v_lshlrev_b32_e32 v10, 3, v93
	ds_read_b64 v[10:11], v10 offset:8
.LBB154_12:                             ;   in Loop: Header=BB154_2 Depth=1
	s_or_saveexec_b64 s[20:21], s[20:21]
	v_mov_b64_e32 v[12:13], v[8:9]
	s_xor_b64 exec, exec, s[20:21]
	s_cbranch_execz .LBB154_14
; %bb.13:                               ;   in Loop: Header=BB154_2 Depth=1
	s_waitcnt lgkmcnt(0)
	v_lshlrev_b32_e32 v10, 3, v92
	ds_read_b64 v[12:13], v10 offset:8
	v_mov_b64_e32 v[10:11], v[6:7]
.LBB154_14:                             ;   in Loop: Header=BB154_2 Depth=1
	s_or_b64 exec, exec, s[20:21]
	v_cndmask_b32_e64 v7, v7, v9, s[18:19]
	v_add_u32_e32 v9, 1, v93
	v_cndmask_b32_e64 v6, v6, v8, s[18:19]
	v_add_u32_e32 v8, 1, v92
	v_cndmask_b32_e64 v9, v9, v93, s[18:19]
	v_cndmask_b32_e64 v8, v92, v8, s[18:19]
	v_cmp_ge_i32_e64 s[18:19], v9, v14
	s_waitcnt lgkmcnt(0)
	v_cmp_lt_i64_e64 s[20:21], v[12:13], v[10:11]
	v_cndmask_b32_e64 v3, v3, v5, s[16:17]
	v_cndmask_b32_e64 v2, v2, v4, s[16:17]
	v_cmp_lt_i32_e64 s[16:17], v8, v15
	s_or_b64 s[18:19], s[18:19], s[20:21]
	s_and_b64 s[16:17], s[16:17], s[18:19]
	v_cndmask_b32_e64 v5, v11, v13, s[16:17]
	v_cndmask_b32_e64 v4, v10, v12, s[16:17]
	s_barrier
	ds_write2_b64 v80, v[2:3], v[6:7] offset1:1
	ds_write_b64 v80, v[4:5] offset:16
	v_mov_b32_e32 v6, v46
	s_waitcnt lgkmcnt(0)
	s_barrier
	s_and_saveexec_b64 s[18:19], s[0:1]
	s_cbranch_execz .LBB154_18
; %bb.15:                               ;   in Loop: Header=BB154_2 Depth=1
	s_mov_b64 s[20:21], 0
	v_mov_b32_e32 v6, v46
	v_mov_b32_e32 v2, v47
.LBB154_16:                             ;   Parent Loop BB154_2 Depth=1
                                        ; =>  This Inner Loop Header: Depth=2
	v_sub_u32_e32 v3, v2, v6
	v_lshrrev_b32_e32 v4, 31, v3
	v_add_u32_e32 v3, v3, v4
	v_ashrrev_i32_e32 v3, 1, v3
	v_add_u32_e32 v3, v3, v6
	v_lshl_add_u32 v4, v3, 3, v83
	v_xad_u32 v5, v3, -1, v16
	v_lshl_add_u32 v7, v5, 3, v78
	ds_read_b64 v[4:5], v4
	ds_read_b64 v[8:9], v7
	v_add_u32_e32 v7, 1, v3
	s_waitcnt lgkmcnt(0)
	v_cmp_lt_i64_e64 s[16:17], v[8:9], v[4:5]
	s_nop 1
	v_cndmask_b32_e64 v2, v2, v3, s[16:17]
	v_cndmask_b32_e64 v6, v7, v6, s[16:17]
	v_cmp_ge_i32_e64 s[16:17], v6, v2
	s_or_b64 s[20:21], s[16:17], s[20:21]
	s_andn2_b64 exec, exec, s[20:21]
	s_cbranch_execnz .LBB154_16
; %bb.17:                               ;   in Loop: Header=BB154_2 Depth=1
	s_or_b64 exec, exec, s[20:21]
.LBB154_18:                             ;   in Loop: Header=BB154_2 Depth=1
	s_or_b64 exec, exec, s[18:19]
	v_sub_u32_e32 v10, v48, v6
	v_lshl_add_u32 v8, v6, 3, v83
	v_lshlrev_b32_e32 v12, 3, v10
	ds_read_b64 v[2:3], v8
	ds_read_b64 v[4:5], v12
	v_add_u32_e32 v11, v6, v45
	v_cmp_le_i32_e64 s[18:19], v17, v11
	v_cmp_gt_i32_e64 s[16:17], v18, v10
                                        ; implicit-def: $vgpr6_vgpr7
	s_waitcnt lgkmcnt(0)
	v_cmp_lt_i64_e64 s[20:21], v[4:5], v[2:3]
	s_or_b64 s[18:19], s[18:19], s[20:21]
	s_and_b64 s[16:17], s[16:17], s[18:19]
	s_xor_b64 s[18:19], s[16:17], -1
	s_and_saveexec_b64 s[20:21], s[18:19]
	s_xor_b64 s[18:19], exec, s[20:21]
	s_cbranch_execz .LBB154_20
; %bb.19:                               ;   in Loop: Header=BB154_2 Depth=1
	ds_read_b64 v[6:7], v8 offset:8
                                        ; implicit-def: $vgpr12
.LBB154_20:                             ;   in Loop: Header=BB154_2 Depth=1
	s_or_saveexec_b64 s[18:19], s[18:19]
	v_mov_b64_e32 v[8:9], v[4:5]
	s_xor_b64 exec, exec, s[18:19]
	s_cbranch_execz .LBB154_22
; %bb.21:                               ;   in Loop: Header=BB154_2 Depth=1
	ds_read_b64 v[8:9], v12 offset:8
	s_waitcnt lgkmcnt(1)
	v_mov_b64_e32 v[6:7], v[2:3]
.LBB154_22:                             ;   in Loop: Header=BB154_2 Depth=1
	s_or_b64 exec, exec, s[18:19]
	v_add_u32_e32 v13, 1, v11
	v_add_u32_e32 v12, 1, v10
	v_cndmask_b32_e64 v93, v13, v11, s[16:17]
	v_cndmask_b32_e64 v92, v10, v12, s[16:17]
	v_cmp_ge_i32_e64 s[20:21], v93, v17
	s_waitcnt lgkmcnt(0)
	v_cmp_lt_i64_e64 s[22:23], v[8:9], v[6:7]
	v_cmp_lt_i32_e64 s[18:19], v92, v18
	s_or_b64 s[20:21], s[20:21], s[22:23]
	s_and_b64 s[18:19], s[18:19], s[20:21]
	s_xor_b64 s[20:21], s[18:19], -1
                                        ; implicit-def: $vgpr10_vgpr11
	s_and_saveexec_b64 s[22:23], s[20:21]
	s_xor_b64 s[20:21], exec, s[22:23]
	s_cbranch_execz .LBB154_24
; %bb.23:                               ;   in Loop: Header=BB154_2 Depth=1
	v_lshlrev_b32_e32 v10, 3, v93
	ds_read_b64 v[10:11], v10 offset:8
.LBB154_24:                             ;   in Loop: Header=BB154_2 Depth=1
	s_or_saveexec_b64 s[20:21], s[20:21]
	v_mov_b64_e32 v[12:13], v[8:9]
	s_xor_b64 exec, exec, s[20:21]
	s_cbranch_execz .LBB154_26
; %bb.25:                               ;   in Loop: Header=BB154_2 Depth=1
	s_waitcnt lgkmcnt(0)
	v_lshlrev_b32_e32 v10, 3, v92
	ds_read_b64 v[12:13], v10 offset:8
	v_mov_b64_e32 v[10:11], v[6:7]
.LBB154_26:                             ;   in Loop: Header=BB154_2 Depth=1
	s_or_b64 exec, exec, s[20:21]
	v_cndmask_b32_e64 v7, v7, v9, s[18:19]
	v_add_u32_e32 v9, 1, v93
	v_cndmask_b32_e64 v6, v6, v8, s[18:19]
	v_add_u32_e32 v8, 1, v92
	v_cndmask_b32_e64 v9, v9, v93, s[18:19]
	v_cndmask_b32_e64 v8, v92, v8, s[18:19]
	v_cmp_ge_i32_e64 s[18:19], v9, v17
	s_waitcnt lgkmcnt(0)
	v_cmp_lt_i64_e64 s[20:21], v[12:13], v[10:11]
	v_cndmask_b32_e64 v3, v3, v5, s[16:17]
	v_cndmask_b32_e64 v2, v2, v4, s[16:17]
	v_cmp_lt_i32_e64 s[16:17], v8, v18
	s_or_b64 s[18:19], s[18:19], s[20:21]
	s_and_b64 s[16:17], s[16:17], s[18:19]
	v_cndmask_b32_e64 v5, v11, v13, s[16:17]
	v_cndmask_b32_e64 v4, v10, v12, s[16:17]
	s_barrier
	ds_write2_b64 v80, v[2:3], v[6:7] offset1:1
	ds_write_b64 v80, v[4:5] offset:16
	v_mov_b32_e32 v6, v50
	s_waitcnt lgkmcnt(0)
	s_barrier
	s_and_saveexec_b64 s[18:19], s[2:3]
	s_cbranch_execz .LBB154_30
; %bb.27:                               ;   in Loop: Header=BB154_2 Depth=1
	s_mov_b64 s[20:21], 0
	v_mov_b32_e32 v6, v50
	v_mov_b32_e32 v2, v51
.LBB154_28:                             ;   Parent Loop BB154_2 Depth=1
                                        ; =>  This Inner Loop Header: Depth=2
	v_sub_u32_e32 v3, v2, v6
	v_lshrrev_b32_e32 v4, 31, v3
	v_add_u32_e32 v3, v3, v4
	v_ashrrev_i32_e32 v3, 1, v3
	v_add_u32_e32 v3, v3, v6
	v_lshl_add_u32 v4, v3, 3, v84
	v_xad_u32 v5, v3, -1, v19
	v_lshl_add_u32 v7, v5, 3, v37
	ds_read_b64 v[4:5], v4
	ds_read_b64 v[8:9], v7
	v_add_u32_e32 v7, 1, v3
	s_waitcnt lgkmcnt(0)
	v_cmp_lt_i64_e64 s[16:17], v[8:9], v[4:5]
	s_nop 1
	v_cndmask_b32_e64 v2, v2, v3, s[16:17]
	v_cndmask_b32_e64 v6, v7, v6, s[16:17]
	v_cmp_ge_i32_e64 s[16:17], v6, v2
	s_or_b64 s[20:21], s[16:17], s[20:21]
	s_andn2_b64 exec, exec, s[20:21]
	s_cbranch_execnz .LBB154_28
; %bb.29:                               ;   in Loop: Header=BB154_2 Depth=1
	s_or_b64 exec, exec, s[20:21]
.LBB154_30:                             ;   in Loop: Header=BB154_2 Depth=1
	s_or_b64 exec, exec, s[18:19]
	v_sub_u32_e32 v10, v52, v6
	v_lshl_add_u32 v8, v6, 3, v84
	v_lshlrev_b32_e32 v12, 3, v10
	ds_read_b64 v[2:3], v8
	ds_read_b64 v[4:5], v12
	v_add_u32_e32 v11, v6, v49
	v_cmp_le_i32_e64 s[18:19], v20, v11
	v_cmp_gt_i32_e64 s[16:17], v21, v10
                                        ; implicit-def: $vgpr6_vgpr7
	s_waitcnt lgkmcnt(0)
	v_cmp_lt_i64_e64 s[20:21], v[4:5], v[2:3]
	s_or_b64 s[18:19], s[18:19], s[20:21]
	s_and_b64 s[16:17], s[16:17], s[18:19]
	s_xor_b64 s[18:19], s[16:17], -1
	s_and_saveexec_b64 s[20:21], s[18:19]
	s_xor_b64 s[18:19], exec, s[20:21]
	s_cbranch_execz .LBB154_32
; %bb.31:                               ;   in Loop: Header=BB154_2 Depth=1
	ds_read_b64 v[6:7], v8 offset:8
                                        ; implicit-def: $vgpr12
.LBB154_32:                             ;   in Loop: Header=BB154_2 Depth=1
	s_or_saveexec_b64 s[18:19], s[18:19]
	v_mov_b64_e32 v[8:9], v[4:5]
	s_xor_b64 exec, exec, s[18:19]
	s_cbranch_execz .LBB154_34
; %bb.33:                               ;   in Loop: Header=BB154_2 Depth=1
	ds_read_b64 v[8:9], v12 offset:8
	s_waitcnt lgkmcnt(1)
	v_mov_b64_e32 v[6:7], v[2:3]
.LBB154_34:                             ;   in Loop: Header=BB154_2 Depth=1
	s_or_b64 exec, exec, s[18:19]
	v_add_u32_e32 v13, 1, v11
	v_add_u32_e32 v12, 1, v10
	v_cndmask_b32_e64 v93, v13, v11, s[16:17]
	v_cndmask_b32_e64 v92, v10, v12, s[16:17]
	v_cmp_ge_i32_e64 s[20:21], v93, v20
	s_waitcnt lgkmcnt(0)
	v_cmp_lt_i64_e64 s[22:23], v[8:9], v[6:7]
	v_cmp_lt_i32_e64 s[18:19], v92, v21
	s_or_b64 s[20:21], s[20:21], s[22:23]
	s_and_b64 s[18:19], s[18:19], s[20:21]
	s_xor_b64 s[20:21], s[18:19], -1
                                        ; implicit-def: $vgpr10_vgpr11
	s_and_saveexec_b64 s[22:23], s[20:21]
	s_xor_b64 s[20:21], exec, s[22:23]
	s_cbranch_execz .LBB154_36
; %bb.35:                               ;   in Loop: Header=BB154_2 Depth=1
	v_lshlrev_b32_e32 v10, 3, v93
	ds_read_b64 v[10:11], v10 offset:8
.LBB154_36:                             ;   in Loop: Header=BB154_2 Depth=1
	s_or_saveexec_b64 s[20:21], s[20:21]
	v_mov_b64_e32 v[12:13], v[8:9]
	s_xor_b64 exec, exec, s[20:21]
	s_cbranch_execz .LBB154_38
; %bb.37:                               ;   in Loop: Header=BB154_2 Depth=1
	s_waitcnt lgkmcnt(0)
	v_lshlrev_b32_e32 v10, 3, v92
	ds_read_b64 v[12:13], v10 offset:8
	v_mov_b64_e32 v[10:11], v[6:7]
.LBB154_38:                             ;   in Loop: Header=BB154_2 Depth=1
	s_or_b64 exec, exec, s[20:21]
	v_cndmask_b32_e64 v7, v7, v9, s[18:19]
	v_add_u32_e32 v9, 1, v93
	v_cndmask_b32_e64 v6, v6, v8, s[18:19]
	v_add_u32_e32 v8, 1, v92
	v_cndmask_b32_e64 v9, v9, v93, s[18:19]
	v_cndmask_b32_e64 v8, v92, v8, s[18:19]
	v_cmp_ge_i32_e64 s[18:19], v9, v20
	s_waitcnt lgkmcnt(0)
	v_cmp_lt_i64_e64 s[20:21], v[12:13], v[10:11]
	v_cndmask_b32_e64 v3, v3, v5, s[16:17]
	v_cndmask_b32_e64 v2, v2, v4, s[16:17]
	v_cmp_lt_i32_e64 s[16:17], v8, v21
	s_or_b64 s[18:19], s[18:19], s[20:21]
	s_and_b64 s[16:17], s[16:17], s[18:19]
	v_cndmask_b32_e64 v5, v11, v13, s[16:17]
	v_cndmask_b32_e64 v4, v10, v12, s[16:17]
	s_barrier
	ds_write2_b64 v80, v[2:3], v[6:7] offset1:1
	ds_write_b64 v80, v[4:5] offset:16
	v_mov_b32_e32 v6, v54
	s_waitcnt lgkmcnt(0)
	s_barrier
	s_and_saveexec_b64 s[18:19], s[4:5]
	s_cbranch_execz .LBB154_42
; %bb.39:                               ;   in Loop: Header=BB154_2 Depth=1
	s_mov_b64 s[20:21], 0
	v_mov_b32_e32 v6, v54
	v_mov_b32_e32 v2, v55
.LBB154_40:                             ;   Parent Loop BB154_2 Depth=1
                                        ; =>  This Inner Loop Header: Depth=2
	v_sub_u32_e32 v3, v2, v6
	v_lshrrev_b32_e32 v4, 31, v3
	v_add_u32_e32 v3, v3, v4
	v_ashrrev_i32_e32 v3, 1, v3
	v_add_u32_e32 v3, v3, v6
	v_lshl_add_u32 v4, v3, 3, v85
	v_xad_u32 v5, v3, -1, v22
	v_lshl_add_u32 v7, v5, 3, v38
	ds_read_b64 v[4:5], v4
	ds_read_b64 v[8:9], v7
	v_add_u32_e32 v7, 1, v3
	s_waitcnt lgkmcnt(0)
	v_cmp_lt_i64_e64 s[16:17], v[8:9], v[4:5]
	s_nop 1
	v_cndmask_b32_e64 v2, v2, v3, s[16:17]
	v_cndmask_b32_e64 v6, v7, v6, s[16:17]
	v_cmp_ge_i32_e64 s[16:17], v6, v2
	s_or_b64 s[20:21], s[16:17], s[20:21]
	s_andn2_b64 exec, exec, s[20:21]
	s_cbranch_execnz .LBB154_40
; %bb.41:                               ;   in Loop: Header=BB154_2 Depth=1
	s_or_b64 exec, exec, s[20:21]
.LBB154_42:                             ;   in Loop: Header=BB154_2 Depth=1
	s_or_b64 exec, exec, s[18:19]
	v_sub_u32_e32 v10, v56, v6
	v_lshl_add_u32 v8, v6, 3, v85
	v_lshlrev_b32_e32 v12, 3, v10
	ds_read_b64 v[2:3], v8
	ds_read_b64 v[4:5], v12
	v_add_u32_e32 v11, v6, v53
	v_cmp_le_i32_e64 s[18:19], v23, v11
	v_cmp_gt_i32_e64 s[16:17], v24, v10
                                        ; implicit-def: $vgpr6_vgpr7
	s_waitcnt lgkmcnt(0)
	v_cmp_lt_i64_e64 s[20:21], v[4:5], v[2:3]
	s_or_b64 s[18:19], s[18:19], s[20:21]
	s_and_b64 s[16:17], s[16:17], s[18:19]
	s_xor_b64 s[18:19], s[16:17], -1
	s_and_saveexec_b64 s[20:21], s[18:19]
	s_xor_b64 s[18:19], exec, s[20:21]
	s_cbranch_execz .LBB154_44
; %bb.43:                               ;   in Loop: Header=BB154_2 Depth=1
	ds_read_b64 v[6:7], v8 offset:8
                                        ; implicit-def: $vgpr12
.LBB154_44:                             ;   in Loop: Header=BB154_2 Depth=1
	s_or_saveexec_b64 s[18:19], s[18:19]
	v_mov_b64_e32 v[8:9], v[4:5]
	s_xor_b64 exec, exec, s[18:19]
	s_cbranch_execz .LBB154_46
; %bb.45:                               ;   in Loop: Header=BB154_2 Depth=1
	ds_read_b64 v[8:9], v12 offset:8
	s_waitcnt lgkmcnt(1)
	v_mov_b64_e32 v[6:7], v[2:3]
.LBB154_46:                             ;   in Loop: Header=BB154_2 Depth=1
	s_or_b64 exec, exec, s[18:19]
	v_add_u32_e32 v13, 1, v11
	v_add_u32_e32 v12, 1, v10
	v_cndmask_b32_e64 v93, v13, v11, s[16:17]
	v_cndmask_b32_e64 v92, v10, v12, s[16:17]
	v_cmp_ge_i32_e64 s[20:21], v93, v23
	s_waitcnt lgkmcnt(0)
	v_cmp_lt_i64_e64 s[22:23], v[8:9], v[6:7]
	v_cmp_lt_i32_e64 s[18:19], v92, v24
	s_or_b64 s[20:21], s[20:21], s[22:23]
	s_and_b64 s[18:19], s[18:19], s[20:21]
	s_xor_b64 s[20:21], s[18:19], -1
                                        ; implicit-def: $vgpr10_vgpr11
	s_and_saveexec_b64 s[22:23], s[20:21]
	s_xor_b64 s[20:21], exec, s[22:23]
	s_cbranch_execz .LBB154_48
; %bb.47:                               ;   in Loop: Header=BB154_2 Depth=1
	v_lshlrev_b32_e32 v10, 3, v93
	ds_read_b64 v[10:11], v10 offset:8
.LBB154_48:                             ;   in Loop: Header=BB154_2 Depth=1
	s_or_saveexec_b64 s[20:21], s[20:21]
	v_mov_b64_e32 v[12:13], v[8:9]
	s_xor_b64 exec, exec, s[20:21]
	s_cbranch_execz .LBB154_50
; %bb.49:                               ;   in Loop: Header=BB154_2 Depth=1
	s_waitcnt lgkmcnt(0)
	v_lshlrev_b32_e32 v10, 3, v92
	ds_read_b64 v[12:13], v10 offset:8
	v_mov_b64_e32 v[10:11], v[6:7]
.LBB154_50:                             ;   in Loop: Header=BB154_2 Depth=1
	s_or_b64 exec, exec, s[20:21]
	v_cndmask_b32_e64 v7, v7, v9, s[18:19]
	v_add_u32_e32 v9, 1, v93
	v_cndmask_b32_e64 v6, v6, v8, s[18:19]
	v_add_u32_e32 v8, 1, v92
	v_cndmask_b32_e64 v9, v9, v93, s[18:19]
	v_cndmask_b32_e64 v8, v92, v8, s[18:19]
	v_cmp_ge_i32_e64 s[18:19], v9, v23
	s_waitcnt lgkmcnt(0)
	v_cmp_lt_i64_e64 s[20:21], v[12:13], v[10:11]
	v_cndmask_b32_e64 v3, v3, v5, s[16:17]
	v_cndmask_b32_e64 v2, v2, v4, s[16:17]
	v_cmp_lt_i32_e64 s[16:17], v8, v24
	s_or_b64 s[18:19], s[18:19], s[20:21]
	s_and_b64 s[16:17], s[16:17], s[18:19]
	v_cndmask_b32_e64 v5, v11, v13, s[16:17]
	v_cndmask_b32_e64 v4, v10, v12, s[16:17]
	s_barrier
	ds_write2_b64 v80, v[2:3], v[6:7] offset1:1
	ds_write_b64 v80, v[4:5] offset:16
	v_mov_b32_e32 v6, v58
	s_waitcnt lgkmcnt(0)
	s_barrier
	s_and_saveexec_b64 s[18:19], s[6:7]
	s_cbranch_execz .LBB154_54
; %bb.51:                               ;   in Loop: Header=BB154_2 Depth=1
	s_mov_b64 s[20:21], 0
	v_mov_b32_e32 v6, v58
	v_mov_b32_e32 v2, v59
.LBB154_52:                             ;   Parent Loop BB154_2 Depth=1
                                        ; =>  This Inner Loop Header: Depth=2
	v_sub_u32_e32 v3, v2, v6
	v_lshrrev_b32_e32 v4, 31, v3
	v_add_u32_e32 v3, v3, v4
	v_ashrrev_i32_e32 v3, 1, v3
	v_add_u32_e32 v3, v3, v6
	v_lshl_add_u32 v4, v3, 3, v86
	v_xad_u32 v5, v3, -1, v25
	v_lshl_add_u32 v7, v5, 3, v39
	ds_read_b64 v[4:5], v4
	ds_read_b64 v[8:9], v7
	v_add_u32_e32 v7, 1, v3
	s_waitcnt lgkmcnt(0)
	v_cmp_lt_i64_e64 s[16:17], v[8:9], v[4:5]
	s_nop 1
	v_cndmask_b32_e64 v2, v2, v3, s[16:17]
	v_cndmask_b32_e64 v6, v7, v6, s[16:17]
	v_cmp_ge_i32_e64 s[16:17], v6, v2
	s_or_b64 s[20:21], s[16:17], s[20:21]
	s_andn2_b64 exec, exec, s[20:21]
	s_cbranch_execnz .LBB154_52
; %bb.53:                               ;   in Loop: Header=BB154_2 Depth=1
	s_or_b64 exec, exec, s[20:21]
.LBB154_54:                             ;   in Loop: Header=BB154_2 Depth=1
	s_or_b64 exec, exec, s[18:19]
	v_sub_u32_e32 v10, v60, v6
	v_lshl_add_u32 v8, v6, 3, v86
	v_lshlrev_b32_e32 v12, 3, v10
	ds_read_b64 v[2:3], v8
	ds_read_b64 v[4:5], v12
	v_add_u32_e32 v11, v6, v57
	v_cmp_le_i32_e64 s[18:19], v26, v11
	v_cmp_gt_i32_e64 s[16:17], v27, v10
                                        ; implicit-def: $vgpr6_vgpr7
	s_waitcnt lgkmcnt(0)
	v_cmp_lt_i64_e64 s[20:21], v[4:5], v[2:3]
	s_or_b64 s[18:19], s[18:19], s[20:21]
	s_and_b64 s[16:17], s[16:17], s[18:19]
	s_xor_b64 s[18:19], s[16:17], -1
	s_and_saveexec_b64 s[20:21], s[18:19]
	s_xor_b64 s[18:19], exec, s[20:21]
	s_cbranch_execz .LBB154_56
; %bb.55:                               ;   in Loop: Header=BB154_2 Depth=1
	ds_read_b64 v[6:7], v8 offset:8
                                        ; implicit-def: $vgpr12
.LBB154_56:                             ;   in Loop: Header=BB154_2 Depth=1
	s_or_saveexec_b64 s[18:19], s[18:19]
	v_mov_b64_e32 v[8:9], v[4:5]
	s_xor_b64 exec, exec, s[18:19]
	s_cbranch_execz .LBB154_58
; %bb.57:                               ;   in Loop: Header=BB154_2 Depth=1
	ds_read_b64 v[8:9], v12 offset:8
	s_waitcnt lgkmcnt(1)
	v_mov_b64_e32 v[6:7], v[2:3]
.LBB154_58:                             ;   in Loop: Header=BB154_2 Depth=1
	s_or_b64 exec, exec, s[18:19]
	v_add_u32_e32 v13, 1, v11
	v_add_u32_e32 v12, 1, v10
	v_cndmask_b32_e64 v93, v13, v11, s[16:17]
	v_cndmask_b32_e64 v92, v10, v12, s[16:17]
	v_cmp_ge_i32_e64 s[20:21], v93, v26
	s_waitcnt lgkmcnt(0)
	v_cmp_lt_i64_e64 s[22:23], v[8:9], v[6:7]
	v_cmp_lt_i32_e64 s[18:19], v92, v27
	s_or_b64 s[20:21], s[20:21], s[22:23]
	s_and_b64 s[18:19], s[18:19], s[20:21]
	s_xor_b64 s[20:21], s[18:19], -1
                                        ; implicit-def: $vgpr10_vgpr11
	s_and_saveexec_b64 s[22:23], s[20:21]
	s_xor_b64 s[20:21], exec, s[22:23]
	s_cbranch_execz .LBB154_60
; %bb.59:                               ;   in Loop: Header=BB154_2 Depth=1
	v_lshlrev_b32_e32 v10, 3, v93
	ds_read_b64 v[10:11], v10 offset:8
.LBB154_60:                             ;   in Loop: Header=BB154_2 Depth=1
	s_or_saveexec_b64 s[20:21], s[20:21]
	v_mov_b64_e32 v[12:13], v[8:9]
	s_xor_b64 exec, exec, s[20:21]
	s_cbranch_execz .LBB154_62
; %bb.61:                               ;   in Loop: Header=BB154_2 Depth=1
	s_waitcnt lgkmcnt(0)
	v_lshlrev_b32_e32 v10, 3, v92
	ds_read_b64 v[12:13], v10 offset:8
	v_mov_b64_e32 v[10:11], v[6:7]
.LBB154_62:                             ;   in Loop: Header=BB154_2 Depth=1
	s_or_b64 exec, exec, s[20:21]
	v_cndmask_b32_e64 v7, v7, v9, s[18:19]
	v_add_u32_e32 v9, 1, v93
	v_cndmask_b32_e64 v6, v6, v8, s[18:19]
	v_add_u32_e32 v8, 1, v92
	v_cndmask_b32_e64 v9, v9, v93, s[18:19]
	v_cndmask_b32_e64 v8, v92, v8, s[18:19]
	v_cmp_ge_i32_e64 s[18:19], v9, v26
	s_waitcnt lgkmcnt(0)
	v_cmp_lt_i64_e64 s[20:21], v[12:13], v[10:11]
	v_cndmask_b32_e64 v3, v3, v5, s[16:17]
	v_cndmask_b32_e64 v2, v2, v4, s[16:17]
	v_cmp_lt_i32_e64 s[16:17], v8, v27
	s_or_b64 s[18:19], s[18:19], s[20:21]
	s_and_b64 s[16:17], s[16:17], s[18:19]
	v_cndmask_b32_e64 v5, v11, v13, s[16:17]
	v_cndmask_b32_e64 v4, v10, v12, s[16:17]
	s_barrier
	ds_write2_b64 v80, v[2:3], v[6:7] offset1:1
	ds_write_b64 v80, v[4:5] offset:16
	v_mov_b32_e32 v6, v62
	s_waitcnt lgkmcnt(0)
	s_barrier
	s_and_saveexec_b64 s[18:19], s[8:9]
	s_cbranch_execz .LBB154_66
; %bb.63:                               ;   in Loop: Header=BB154_2 Depth=1
	s_mov_b64 s[20:21], 0
	v_mov_b32_e32 v6, v62
	v_mov_b32_e32 v2, v63
.LBB154_64:                             ;   Parent Loop BB154_2 Depth=1
                                        ; =>  This Inner Loop Header: Depth=2
	v_sub_u32_e32 v3, v2, v6
	v_lshrrev_b32_e32 v4, 31, v3
	v_add_u32_e32 v3, v3, v4
	v_ashrrev_i32_e32 v3, 1, v3
	v_add_u32_e32 v3, v3, v6
	v_lshl_add_u32 v4, v3, 3, v87
	v_xad_u32 v5, v3, -1, v28
	v_lshl_add_u32 v7, v5, 3, v79
	ds_read_b64 v[4:5], v4
	ds_read_b64 v[8:9], v7
	v_add_u32_e32 v7, 1, v3
	s_waitcnt lgkmcnt(0)
	v_cmp_lt_i64_e64 s[16:17], v[8:9], v[4:5]
	s_nop 1
	v_cndmask_b32_e64 v2, v2, v3, s[16:17]
	v_cndmask_b32_e64 v6, v7, v6, s[16:17]
	v_cmp_ge_i32_e64 s[16:17], v6, v2
	s_or_b64 s[20:21], s[16:17], s[20:21]
	s_andn2_b64 exec, exec, s[20:21]
	s_cbranch_execnz .LBB154_64
; %bb.65:                               ;   in Loop: Header=BB154_2 Depth=1
	s_or_b64 exec, exec, s[20:21]
.LBB154_66:                             ;   in Loop: Header=BB154_2 Depth=1
	s_or_b64 exec, exec, s[18:19]
	v_sub_u32_e32 v10, v64, v6
	v_lshl_add_u32 v8, v6, 3, v87
	v_lshlrev_b32_e32 v12, 3, v10
	ds_read_b64 v[2:3], v8
	ds_read_b64 v[4:5], v12
	v_add_u32_e32 v11, v6, v61
	v_cmp_le_i32_e64 s[18:19], v29, v11
	v_cmp_gt_i32_e64 s[16:17], v30, v10
                                        ; implicit-def: $vgpr6_vgpr7
	s_waitcnt lgkmcnt(0)
	v_cmp_lt_i64_e64 s[20:21], v[4:5], v[2:3]
	s_or_b64 s[18:19], s[18:19], s[20:21]
	s_and_b64 s[16:17], s[16:17], s[18:19]
	s_xor_b64 s[18:19], s[16:17], -1
	s_and_saveexec_b64 s[20:21], s[18:19]
	s_xor_b64 s[18:19], exec, s[20:21]
	s_cbranch_execz .LBB154_68
; %bb.67:                               ;   in Loop: Header=BB154_2 Depth=1
	ds_read_b64 v[6:7], v8 offset:8
                                        ; implicit-def: $vgpr12
.LBB154_68:                             ;   in Loop: Header=BB154_2 Depth=1
	s_or_saveexec_b64 s[18:19], s[18:19]
	v_mov_b64_e32 v[8:9], v[4:5]
	s_xor_b64 exec, exec, s[18:19]
	s_cbranch_execz .LBB154_70
; %bb.69:                               ;   in Loop: Header=BB154_2 Depth=1
	ds_read_b64 v[8:9], v12 offset:8
	s_waitcnt lgkmcnt(1)
	v_mov_b64_e32 v[6:7], v[2:3]
.LBB154_70:                             ;   in Loop: Header=BB154_2 Depth=1
	s_or_b64 exec, exec, s[18:19]
	v_add_u32_e32 v13, 1, v11
	v_add_u32_e32 v12, 1, v10
	v_cndmask_b32_e64 v93, v13, v11, s[16:17]
	v_cndmask_b32_e64 v92, v10, v12, s[16:17]
	v_cmp_ge_i32_e64 s[20:21], v93, v29
	s_waitcnt lgkmcnt(0)
	v_cmp_lt_i64_e64 s[22:23], v[8:9], v[6:7]
	v_cmp_lt_i32_e64 s[18:19], v92, v30
	s_or_b64 s[20:21], s[20:21], s[22:23]
	s_and_b64 s[18:19], s[18:19], s[20:21]
	s_xor_b64 s[20:21], s[18:19], -1
                                        ; implicit-def: $vgpr10_vgpr11
	s_and_saveexec_b64 s[22:23], s[20:21]
	s_xor_b64 s[20:21], exec, s[22:23]
	s_cbranch_execz .LBB154_72
; %bb.71:                               ;   in Loop: Header=BB154_2 Depth=1
	v_lshlrev_b32_e32 v10, 3, v93
	ds_read_b64 v[10:11], v10 offset:8
.LBB154_72:                             ;   in Loop: Header=BB154_2 Depth=1
	s_or_saveexec_b64 s[20:21], s[20:21]
	v_mov_b64_e32 v[12:13], v[8:9]
	s_xor_b64 exec, exec, s[20:21]
	s_cbranch_execz .LBB154_74
; %bb.73:                               ;   in Loop: Header=BB154_2 Depth=1
	s_waitcnt lgkmcnt(0)
	v_lshlrev_b32_e32 v10, 3, v92
	ds_read_b64 v[12:13], v10 offset:8
	v_mov_b64_e32 v[10:11], v[6:7]
.LBB154_74:                             ;   in Loop: Header=BB154_2 Depth=1
	s_or_b64 exec, exec, s[20:21]
	v_cndmask_b32_e64 v7, v7, v9, s[18:19]
	v_add_u32_e32 v9, 1, v93
	v_cndmask_b32_e64 v6, v6, v8, s[18:19]
	v_add_u32_e32 v8, 1, v92
	v_cndmask_b32_e64 v9, v9, v93, s[18:19]
	v_cndmask_b32_e64 v8, v92, v8, s[18:19]
	v_cmp_ge_i32_e64 s[18:19], v9, v29
	s_waitcnt lgkmcnt(0)
	v_cmp_lt_i64_e64 s[20:21], v[12:13], v[10:11]
	v_cndmask_b32_e64 v3, v3, v5, s[16:17]
	v_cndmask_b32_e64 v2, v2, v4, s[16:17]
	v_cmp_lt_i32_e64 s[16:17], v8, v30
	s_or_b64 s[18:19], s[18:19], s[20:21]
	s_and_b64 s[16:17], s[16:17], s[18:19]
	v_cndmask_b32_e64 v5, v11, v13, s[16:17]
	v_cndmask_b32_e64 v4, v10, v12, s[16:17]
	s_barrier
	ds_write2_b64 v80, v[2:3], v[6:7] offset1:1
	ds_write_b64 v80, v[4:5] offset:16
	v_mov_b32_e32 v6, v66
	s_waitcnt lgkmcnt(0)
	s_barrier
	s_and_saveexec_b64 s[18:19], s[10:11]
	s_cbranch_execz .LBB154_78
; %bb.75:                               ;   in Loop: Header=BB154_2 Depth=1
	s_mov_b64 s[20:21], 0
	v_mov_b32_e32 v6, v66
	v_mov_b32_e32 v2, v67
.LBB154_76:                             ;   Parent Loop BB154_2 Depth=1
                                        ; =>  This Inner Loop Header: Depth=2
	v_sub_u32_e32 v3, v2, v6
	v_lshrrev_b32_e32 v4, 31, v3
	v_add_u32_e32 v3, v3, v4
	v_ashrrev_i32_e32 v3, 1, v3
	v_add_u32_e32 v3, v3, v6
	v_lshl_add_u32 v4, v3, 3, v88
	v_xad_u32 v5, v3, -1, v31
	v_lshl_add_u32 v7, v5, 3, v40
	ds_read_b64 v[4:5], v4
	ds_read_b64 v[8:9], v7
	v_add_u32_e32 v7, 1, v3
	s_waitcnt lgkmcnt(0)
	v_cmp_lt_i64_e64 s[16:17], v[8:9], v[4:5]
	s_nop 1
	v_cndmask_b32_e64 v2, v2, v3, s[16:17]
	v_cndmask_b32_e64 v6, v7, v6, s[16:17]
	v_cmp_ge_i32_e64 s[16:17], v6, v2
	s_or_b64 s[20:21], s[16:17], s[20:21]
	s_andn2_b64 exec, exec, s[20:21]
	s_cbranch_execnz .LBB154_76
; %bb.77:                               ;   in Loop: Header=BB154_2 Depth=1
	s_or_b64 exec, exec, s[20:21]
.LBB154_78:                             ;   in Loop: Header=BB154_2 Depth=1
	s_or_b64 exec, exec, s[18:19]
	v_sub_u32_e32 v10, v68, v6
	v_lshl_add_u32 v8, v6, 3, v88
	v_lshlrev_b32_e32 v12, 3, v10
	ds_read_b64 v[2:3], v8
	ds_read_b64 v[4:5], v12
	v_add_u32_e32 v11, v6, v65
	v_cmp_le_i32_e64 s[18:19], v32, v11
	v_cmp_gt_i32_e64 s[16:17], v33, v10
                                        ; implicit-def: $vgpr6_vgpr7
	s_waitcnt lgkmcnt(0)
	v_cmp_lt_i64_e64 s[20:21], v[4:5], v[2:3]
	s_or_b64 s[18:19], s[18:19], s[20:21]
	s_and_b64 s[16:17], s[16:17], s[18:19]
	s_xor_b64 s[18:19], s[16:17], -1
	s_and_saveexec_b64 s[20:21], s[18:19]
	s_xor_b64 s[18:19], exec, s[20:21]
	s_cbranch_execz .LBB154_80
; %bb.79:                               ;   in Loop: Header=BB154_2 Depth=1
	ds_read_b64 v[6:7], v8 offset:8
                                        ; implicit-def: $vgpr12
.LBB154_80:                             ;   in Loop: Header=BB154_2 Depth=1
	s_or_saveexec_b64 s[18:19], s[18:19]
	v_mov_b64_e32 v[8:9], v[4:5]
	s_xor_b64 exec, exec, s[18:19]
	s_cbranch_execz .LBB154_82
; %bb.81:                               ;   in Loop: Header=BB154_2 Depth=1
	ds_read_b64 v[8:9], v12 offset:8
	s_waitcnt lgkmcnt(1)
	v_mov_b64_e32 v[6:7], v[2:3]
.LBB154_82:                             ;   in Loop: Header=BB154_2 Depth=1
	s_or_b64 exec, exec, s[18:19]
	v_add_u32_e32 v13, 1, v11
	v_add_u32_e32 v12, 1, v10
	v_cndmask_b32_e64 v93, v13, v11, s[16:17]
	v_cndmask_b32_e64 v92, v10, v12, s[16:17]
	v_cmp_ge_i32_e64 s[20:21], v93, v32
	s_waitcnt lgkmcnt(0)
	v_cmp_lt_i64_e64 s[22:23], v[8:9], v[6:7]
	v_cmp_lt_i32_e64 s[18:19], v92, v33
	s_or_b64 s[20:21], s[20:21], s[22:23]
	s_and_b64 s[18:19], s[18:19], s[20:21]
	s_xor_b64 s[20:21], s[18:19], -1
                                        ; implicit-def: $vgpr10_vgpr11
	s_and_saveexec_b64 s[22:23], s[20:21]
	s_xor_b64 s[20:21], exec, s[22:23]
	s_cbranch_execz .LBB154_84
; %bb.83:                               ;   in Loop: Header=BB154_2 Depth=1
	v_lshlrev_b32_e32 v10, 3, v93
	ds_read_b64 v[10:11], v10 offset:8
.LBB154_84:                             ;   in Loop: Header=BB154_2 Depth=1
	s_or_saveexec_b64 s[20:21], s[20:21]
	v_mov_b64_e32 v[12:13], v[8:9]
	s_xor_b64 exec, exec, s[20:21]
	s_cbranch_execz .LBB154_86
; %bb.85:                               ;   in Loop: Header=BB154_2 Depth=1
	s_waitcnt lgkmcnt(0)
	v_lshlrev_b32_e32 v10, 3, v92
	ds_read_b64 v[12:13], v10 offset:8
	v_mov_b64_e32 v[10:11], v[6:7]
.LBB154_86:                             ;   in Loop: Header=BB154_2 Depth=1
	s_or_b64 exec, exec, s[20:21]
	v_cndmask_b32_e64 v7, v7, v9, s[18:19]
	v_add_u32_e32 v9, 1, v93
	v_cndmask_b32_e64 v6, v6, v8, s[18:19]
	v_add_u32_e32 v8, 1, v92
	v_cndmask_b32_e64 v9, v9, v93, s[18:19]
	v_cndmask_b32_e64 v8, v92, v8, s[18:19]
	v_cmp_ge_i32_e64 s[18:19], v9, v32
	s_waitcnt lgkmcnt(0)
	v_cmp_lt_i64_e64 s[20:21], v[12:13], v[10:11]
	v_cndmask_b32_e64 v3, v3, v5, s[16:17]
	v_cndmask_b32_e64 v2, v2, v4, s[16:17]
	v_cmp_lt_i32_e64 s[16:17], v8, v33
	s_or_b64 s[18:19], s[18:19], s[20:21]
	s_and_b64 s[16:17], s[16:17], s[18:19]
	v_cndmask_b32_e64 v5, v11, v13, s[16:17]
	v_cndmask_b32_e64 v4, v10, v12, s[16:17]
	s_barrier
	ds_write2_b64 v80, v[2:3], v[6:7] offset1:1
	ds_write_b64 v80, v[4:5] offset:16
	v_mov_b32_e32 v6, v70
	s_waitcnt lgkmcnt(0)
	s_barrier
	s_and_saveexec_b64 s[18:19], s[12:13]
	s_cbranch_execz .LBB154_90
; %bb.87:                               ;   in Loop: Header=BB154_2 Depth=1
	s_mov_b64 s[20:21], 0
	v_mov_b32_e32 v6, v70
	v_mov_b32_e32 v2, v71
.LBB154_88:                             ;   Parent Loop BB154_2 Depth=1
                                        ; =>  This Inner Loop Header: Depth=2
	v_sub_u32_e32 v3, v2, v6
	v_lshrrev_b32_e32 v4, 31, v3
	v_add_u32_e32 v3, v3, v4
	v_ashrrev_i32_e32 v3, 1, v3
	v_add_u32_e32 v3, v3, v6
	v_lshl_add_u32 v4, v3, 3, v89
	v_xad_u32 v5, v3, -1, v34
	v_lshl_add_u32 v7, v5, 3, v41
	ds_read_b64 v[4:5], v4
	ds_read_b64 v[8:9], v7
	v_add_u32_e32 v7, 1, v3
	s_waitcnt lgkmcnt(0)
	v_cmp_lt_i64_e64 s[16:17], v[8:9], v[4:5]
	s_nop 1
	v_cndmask_b32_e64 v2, v2, v3, s[16:17]
	v_cndmask_b32_e64 v6, v7, v6, s[16:17]
	v_cmp_ge_i32_e64 s[16:17], v6, v2
	s_or_b64 s[20:21], s[16:17], s[20:21]
	s_andn2_b64 exec, exec, s[20:21]
	s_cbranch_execnz .LBB154_88
; %bb.89:                               ;   in Loop: Header=BB154_2 Depth=1
	s_or_b64 exec, exec, s[20:21]
.LBB154_90:                             ;   in Loop: Header=BB154_2 Depth=1
	s_or_b64 exec, exec, s[18:19]
	v_sub_u32_e32 v10, v72, v6
	v_lshl_add_u32 v8, v6, 3, v89
	v_lshlrev_b32_e32 v12, 3, v10
	ds_read_b64 v[2:3], v8
	ds_read_b64 v[4:5], v12
	v_add_u32_e32 v11, v6, v69
	v_cmp_le_i32_e64 s[18:19], v35, v11
	v_cmp_gt_i32_e64 s[16:17], v36, v10
                                        ; implicit-def: $vgpr6_vgpr7
	s_waitcnt lgkmcnt(0)
	v_cmp_lt_i64_e64 s[20:21], v[4:5], v[2:3]
	s_or_b64 s[18:19], s[18:19], s[20:21]
	s_and_b64 s[16:17], s[16:17], s[18:19]
	s_xor_b64 s[18:19], s[16:17], -1
	s_and_saveexec_b64 s[20:21], s[18:19]
	s_xor_b64 s[18:19], exec, s[20:21]
	s_cbranch_execz .LBB154_92
; %bb.91:                               ;   in Loop: Header=BB154_2 Depth=1
	ds_read_b64 v[6:7], v8 offset:8
                                        ; implicit-def: $vgpr12
.LBB154_92:                             ;   in Loop: Header=BB154_2 Depth=1
	s_or_saveexec_b64 s[18:19], s[18:19]
	v_mov_b64_e32 v[8:9], v[4:5]
	s_xor_b64 exec, exec, s[18:19]
	s_cbranch_execz .LBB154_94
; %bb.93:                               ;   in Loop: Header=BB154_2 Depth=1
	ds_read_b64 v[8:9], v12 offset:8
	s_waitcnt lgkmcnt(1)
	v_mov_b64_e32 v[6:7], v[2:3]
.LBB154_94:                             ;   in Loop: Header=BB154_2 Depth=1
	s_or_b64 exec, exec, s[18:19]
	v_add_u32_e32 v13, 1, v11
	v_add_u32_e32 v12, 1, v10
	v_cndmask_b32_e64 v93, v13, v11, s[16:17]
	v_cndmask_b32_e64 v92, v10, v12, s[16:17]
	v_cmp_ge_i32_e64 s[20:21], v93, v35
	s_waitcnt lgkmcnt(0)
	v_cmp_lt_i64_e64 s[22:23], v[8:9], v[6:7]
	v_cmp_lt_i32_e64 s[18:19], v92, v36
	s_or_b64 s[20:21], s[20:21], s[22:23]
	s_and_b64 s[18:19], s[18:19], s[20:21]
	s_xor_b64 s[20:21], s[18:19], -1
                                        ; implicit-def: $vgpr10_vgpr11
	s_and_saveexec_b64 s[22:23], s[20:21]
	s_xor_b64 s[20:21], exec, s[22:23]
	s_cbranch_execz .LBB154_96
; %bb.95:                               ;   in Loop: Header=BB154_2 Depth=1
	v_lshlrev_b32_e32 v10, 3, v93
	ds_read_b64 v[10:11], v10 offset:8
.LBB154_96:                             ;   in Loop: Header=BB154_2 Depth=1
	s_or_saveexec_b64 s[20:21], s[20:21]
	v_mov_b64_e32 v[12:13], v[8:9]
	s_xor_b64 exec, exec, s[20:21]
	s_cbranch_execz .LBB154_98
; %bb.97:                               ;   in Loop: Header=BB154_2 Depth=1
	s_waitcnt lgkmcnt(0)
	v_lshlrev_b32_e32 v10, 3, v92
	ds_read_b64 v[12:13], v10 offset:8
	v_mov_b64_e32 v[10:11], v[6:7]
.LBB154_98:                             ;   in Loop: Header=BB154_2 Depth=1
	s_or_b64 exec, exec, s[20:21]
	v_cndmask_b32_e64 v7, v7, v9, s[18:19]
	v_add_u32_e32 v9, 1, v93
	v_cndmask_b32_e64 v6, v6, v8, s[18:19]
	v_add_u32_e32 v8, 1, v92
	v_cndmask_b32_e64 v9, v9, v93, s[18:19]
	v_cndmask_b32_e64 v8, v92, v8, s[18:19]
	v_cmp_ge_i32_e64 s[18:19], v9, v35
	s_waitcnt lgkmcnt(0)
	v_cmp_lt_i64_e64 s[20:21], v[12:13], v[10:11]
	v_cndmask_b32_e64 v3, v3, v5, s[16:17]
	v_cndmask_b32_e64 v2, v2, v4, s[16:17]
	v_cmp_lt_i32_e64 s[16:17], v8, v36
	s_or_b64 s[18:19], s[18:19], s[20:21]
	s_and_b64 s[16:17], s[16:17], s[18:19]
	v_cndmask_b32_e64 v4, v10, v12, s[16:17]
	v_mov_b32_e32 v10, v75
	v_cndmask_b32_e64 v5, v11, v13, s[16:17]
	s_barrier
	ds_write2_b64 v80, v[2:3], v[6:7] offset1:1
	ds_write_b64 v80, v[4:5] offset:16
	s_waitcnt lgkmcnt(0)
	s_barrier
	s_and_saveexec_b64 s[18:19], s[14:15]
	s_cbranch_execz .LBB154_102
; %bb.99:                               ;   in Loop: Header=BB154_2 Depth=1
	s_mov_b64 s[20:21], 0
	v_mov_b32_e32 v10, v75
	v_mov_b32_e32 v2, v76
.LBB154_100:                            ;   Parent Loop BB154_2 Depth=1
                                        ; =>  This Inner Loop Header: Depth=2
	v_sub_u32_e32 v3, v2, v10
	v_lshrrev_b32_e32 v4, 31, v3
	v_add_u32_e32 v3, v3, v4
	v_ashrrev_i32_e32 v3, 1, v3
	v_add_u32_e32 v3, v3, v10
	v_xad_u32 v5, v3, -1, v73
	v_lshlrev_b32_e32 v4, 3, v3
	v_lshl_add_u32 v6, v5, 3, v91
	ds_read_b64 v[4:5], v4
	ds_read_b64 v[6:7], v6
	v_add_u32_e32 v8, 1, v3
	s_waitcnt lgkmcnt(0)
	v_cmp_lt_i64_e64 s[16:17], v[6:7], v[4:5]
	s_nop 1
	v_cndmask_b32_e64 v2, v2, v3, s[16:17]
	v_cndmask_b32_e64 v10, v8, v10, s[16:17]
	v_cmp_ge_i32_e64 s[16:17], v10, v2
	s_or_b64 s[20:21], s[16:17], s[20:21]
	s_andn2_b64 exec, exec, s[20:21]
	s_cbranch_execnz .LBB154_100
; %bb.101:                              ;   in Loop: Header=BB154_2 Depth=1
	s_or_b64 exec, exec, s[20:21]
.LBB154_102:                            ;   in Loop: Header=BB154_2 Depth=1
	s_or_b64 exec, exec, s[18:19]
	v_sub_u32_e32 v11, v90, v10
	v_lshlrev_b32_e32 v8, 3, v10
	v_lshlrev_b32_e32 v12, 3, v11
	ds_read_b64 v[2:3], v8
	ds_read_b64 v[4:5], v12
	v_cmp_le_i32_e64 s[18:19], v74, v10
	v_cmp_gt_i32_e64 s[16:17], s24, v11
                                        ; implicit-def: $vgpr6_vgpr7
	s_waitcnt lgkmcnt(0)
	v_cmp_lt_i64_e64 s[20:21], v[4:5], v[2:3]
	s_or_b64 s[18:19], s[18:19], s[20:21]
	s_and_b64 s[16:17], s[16:17], s[18:19]
	s_xor_b64 s[18:19], s[16:17], -1
	s_and_saveexec_b64 s[20:21], s[18:19]
	s_xor_b64 s[18:19], exec, s[20:21]
	s_cbranch_execz .LBB154_104
; %bb.103:                              ;   in Loop: Header=BB154_2 Depth=1
	ds_read_b64 v[6:7], v8 offset:8
                                        ; implicit-def: $vgpr12
.LBB154_104:                            ;   in Loop: Header=BB154_2 Depth=1
	s_or_saveexec_b64 s[18:19], s[18:19]
	v_mov_b64_e32 v[8:9], v[4:5]
	s_xor_b64 exec, exec, s[18:19]
	s_cbranch_execz .LBB154_106
; %bb.105:                              ;   in Loop: Header=BB154_2 Depth=1
	ds_read_b64 v[8:9], v12 offset:8
	s_waitcnt lgkmcnt(1)
	v_mov_b64_e32 v[6:7], v[2:3]
.LBB154_106:                            ;   in Loop: Header=BB154_2 Depth=1
	s_or_b64 exec, exec, s[18:19]
	v_add_u32_e32 v13, 1, v10
	v_add_u32_e32 v12, 1, v11
	v_cndmask_b32_e64 v94, v13, v10, s[16:17]
	v_cndmask_b32_e64 v92, v11, v12, s[16:17]
	v_cmp_ge_i32_e64 s[20:21], v94, v74
	s_waitcnt lgkmcnt(0)
	v_cmp_lt_i64_e64 s[22:23], v[8:9], v[6:7]
	v_cmp_gt_i32_e64 s[18:19], s24, v92
	s_or_b64 s[20:21], s[20:21], s[22:23]
	s_and_b64 s[18:19], s[18:19], s[20:21]
	s_xor_b64 s[20:21], s[18:19], -1
                                        ; implicit-def: $vgpr10_vgpr11
                                        ; implicit-def: $vgpr93
	s_and_saveexec_b64 s[22:23], s[20:21]
	s_xor_b64 s[20:21], exec, s[22:23]
	s_cbranch_execz .LBB154_108
; %bb.107:                              ;   in Loop: Header=BB154_2 Depth=1
	v_lshlrev_b32_e32 v10, 3, v94
	ds_read_b64 v[10:11], v10 offset:8
	v_add_u32_e32 v93, 1, v94
                                        ; implicit-def: $vgpr94
.LBB154_108:                            ;   in Loop: Header=BB154_2 Depth=1
	s_or_saveexec_b64 s[20:21], s[20:21]
	v_mov_b64_e32 v[12:13], v[8:9]
	s_xor_b64 exec, exec, s[20:21]
	s_cbranch_execz .LBB154_1
; %bb.109:                              ;   in Loop: Header=BB154_2 Depth=1
	s_waitcnt lgkmcnt(0)
	v_lshlrev_b32_e32 v10, 3, v92
	ds_read_b64 v[12:13], v10 offset:8
	v_add_u32_e32 v92, 1, v92
	v_mov_b32_e32 v93, v94
	v_mov_b64_e32 v[10:11], v[6:7]
	s_branch .LBB154_1
.LBB154_110:
	s_add_u32 s0, s26, s30
	s_addc_u32 s1, s27, s31
	v_lshlrev_b32_e32 v0, 3, v0
	v_mov_b32_e32 v1, 0
	v_lshl_add_u64 v[8:9], s[0:1], 0, v[0:1]
	global_store_dwordx2 v0, v[4:5], s[0:1]
	v_add_co_u32_e32 v0, vcc, 0x1000, v8
	s_nop 1
	v_addc_co_u32_e32 v1, vcc, 0, v9, vcc
	global_store_dwordx2 v[0:1], v[6:7], off
	v_add_co_u32_e32 v0, vcc, 0x2000, v8
	s_nop 1
	v_addc_co_u32_e32 v1, vcc, 0, v9, vcc
	global_store_dwordx2 v[0:1], v[2:3], off
	s_endpgm
	.section	.rodata,"a",@progbits
	.p2align	6, 0x0
	.amdhsa_kernel _Z16sort_keys_kernelIxLj512ELj3EN10test_utils4lessELj10EEvPKT_PS2_T2_
		.amdhsa_group_segment_fixed_size 12296
		.amdhsa_private_segment_fixed_size 0
		.amdhsa_kernarg_size 20
		.amdhsa_user_sgpr_count 2
		.amdhsa_user_sgpr_dispatch_ptr 0
		.amdhsa_user_sgpr_queue_ptr 0
		.amdhsa_user_sgpr_kernarg_segment_ptr 1
		.amdhsa_user_sgpr_dispatch_id 0
		.amdhsa_user_sgpr_kernarg_preload_length 0
		.amdhsa_user_sgpr_kernarg_preload_offset 0
		.amdhsa_user_sgpr_private_segment_size 0
		.amdhsa_uses_dynamic_stack 0
		.amdhsa_enable_private_segment 0
		.amdhsa_system_sgpr_workgroup_id_x 1
		.amdhsa_system_sgpr_workgroup_id_y 0
		.amdhsa_system_sgpr_workgroup_id_z 0
		.amdhsa_system_sgpr_workgroup_info 0
		.amdhsa_system_vgpr_workitem_id 0
		.amdhsa_next_free_vgpr 95
		.amdhsa_next_free_sgpr 32
		.amdhsa_accum_offset 96
		.amdhsa_reserve_vcc 1
		.amdhsa_float_round_mode_32 0
		.amdhsa_float_round_mode_16_64 0
		.amdhsa_float_denorm_mode_32 3
		.amdhsa_float_denorm_mode_16_64 3
		.amdhsa_dx10_clamp 1
		.amdhsa_ieee_mode 1
		.amdhsa_fp16_overflow 0
		.amdhsa_tg_split 0
		.amdhsa_exception_fp_ieee_invalid_op 0
		.amdhsa_exception_fp_denorm_src 0
		.amdhsa_exception_fp_ieee_div_zero 0
		.amdhsa_exception_fp_ieee_overflow 0
		.amdhsa_exception_fp_ieee_underflow 0
		.amdhsa_exception_fp_ieee_inexact 0
		.amdhsa_exception_int_div_zero 0
	.end_amdhsa_kernel
	.section	.text._Z16sort_keys_kernelIxLj512ELj3EN10test_utils4lessELj10EEvPKT_PS2_T2_,"axG",@progbits,_Z16sort_keys_kernelIxLj512ELj3EN10test_utils4lessELj10EEvPKT_PS2_T2_,comdat
.Lfunc_end154:
	.size	_Z16sort_keys_kernelIxLj512ELj3EN10test_utils4lessELj10EEvPKT_PS2_T2_, .Lfunc_end154-_Z16sort_keys_kernelIxLj512ELj3EN10test_utils4lessELj10EEvPKT_PS2_T2_
                                        ; -- End function
	.section	.AMDGPU.csdata,"",@progbits
; Kernel info:
; codeLenInByte = 6272
; NumSgprs: 38
; NumVgprs: 95
; NumAgprs: 0
; TotalNumVgprs: 95
; ScratchSize: 0
; MemoryBound: 0
; FloatMode: 240
; IeeeMode: 1
; LDSByteSize: 12296 bytes/workgroup (compile time only)
; SGPRBlocks: 4
; VGPRBlocks: 11
; NumSGPRsForWavesPerEU: 38
; NumVGPRsForWavesPerEU: 95
; AccumOffset: 96
; Occupancy: 5
; WaveLimiterHint : 1
; COMPUTE_PGM_RSRC2:SCRATCH_EN: 0
; COMPUTE_PGM_RSRC2:USER_SGPR: 2
; COMPUTE_PGM_RSRC2:TRAP_HANDLER: 0
; COMPUTE_PGM_RSRC2:TGID_X_EN: 1
; COMPUTE_PGM_RSRC2:TGID_Y_EN: 0
; COMPUTE_PGM_RSRC2:TGID_Z_EN: 0
; COMPUTE_PGM_RSRC2:TIDIG_COMP_CNT: 0
; COMPUTE_PGM_RSRC3_GFX90A:ACCUM_OFFSET: 23
; COMPUTE_PGM_RSRC3_GFX90A:TG_SPLIT: 0
	.section	.text._Z17sort_pairs_kernelIxLj512ELj3EN10test_utils4lessELj10EEvPKT_PS2_T2_,"axG",@progbits,_Z17sort_pairs_kernelIxLj512ELj3EN10test_utils4lessELj10EEvPKT_PS2_T2_,comdat
	.protected	_Z17sort_pairs_kernelIxLj512ELj3EN10test_utils4lessELj10EEvPKT_PS2_T2_ ; -- Begin function _Z17sort_pairs_kernelIxLj512ELj3EN10test_utils4lessELj10EEvPKT_PS2_T2_
	.globl	_Z17sort_pairs_kernelIxLj512ELj3EN10test_utils4lessELj10EEvPKT_PS2_T2_
	.p2align	8
	.type	_Z17sort_pairs_kernelIxLj512ELj3EN10test_utils4lessELj10EEvPKT_PS2_T2_,@function
_Z17sort_pairs_kernelIxLj512ELj3EN10test_utils4lessELj10EEvPKT_PS2_T2_: ; @_Z17sort_pairs_kernelIxLj512ELj3EN10test_utils4lessELj10EEvPKT_PS2_T2_
; %bb.0:
	v_and_b32_e32 v8, 0x1fc, v0
	v_mul_u32_u24_e32 v15, 3, v8
	v_min_u32_e32 v8, 0x5f4, v15
	v_add_u32_e32 v24, 12, v8
	v_and_b32_e32 v8, 0x1f8, v0
	v_mul_u32_u24_e32 v55, 3, v8
	v_min_u32_e32 v9, 0x5e8, v55
	v_add_u32_e32 v27, 24, v9
	;; [unrolled: 4-line block ×5, first 2 shown]
	v_and_b32_e32 v11, 0x180, v0
	s_load_dwordx4 s[28:31], s[0:1], 0x0
	v_mul_u32_u24_e32 v71, 3, v11
	v_min_u32_e32 v12, 0x480, v71
	v_add_u32_e32 v39, 0x180, v12
	v_and_b32_e32 v12, 0x100, v0
	s_mul_i32 s36, s2, 0x600
	s_mov_b32 s37, 0
	v_mul_u32_u24_e32 v75, 3, v12
	s_lshl_b64 s[34:35], s[36:37], 3
	v_min_u32_e32 v12, 0x300, v75
	s_waitcnt lgkmcnt(0)
	s_add_u32 s0, s28, s34
	v_min_u32_e32 v8, 0x5f4, v55
	v_add_u32_e32 v42, 0x300, v12
	v_mov_b32_e32 v12, 0x60
	s_addc_u32 s1, s29, s35
	v_mov_b32_e32 v3, 0
	v_lshlrev_b32_e32 v2, 3, v0
	v_add_u32_e32 v26, 12, v8
	v_min_u32_e32 v9, 0x5e8, v59
	v_lshl_add_u32 v43, v8, 3, v12
	v_mov_b32_e32 v8, 0xc0
	v_lshl_add_u64 v[4:5], s[0:1], 0, v[2:3]
	s_movk_i32 s2, 0x2000
	v_min_u32_e32 v10, 0x5d0, v63
	v_lshl_add_u32 v44, v9, 3, v8
	v_mov_b32_e32 v8, 0x180
	v_add_co_u32_e32 v4, vcc, s2, v4
	v_min_u32_e32 v11, 0x540, v71
	v_lshl_add_u32 v45, v10, 3, v8
	v_mov_b32_e32 v8, 0x600
	v_addc_co_u32_e32 v5, vcc, 0, v5, vcc
	v_add_u32_e32 v29, 24, v9
	v_add_u32_e32 v32, 48, v10
	;; [unrolled: 1-line block ×3, first 2 shown]
	v_lshl_add_u32 v46, v11, 3, v8
	global_load_dwordx2 v[8:9], v2, s[0:1]
	global_load_dwordx2 v[10:11], v[4:5], off offset:-4096
	global_load_dwordx2 v[12:13], v[4:5], off
	v_and_b32_e32 v1, 0x1fe, v0
	v_mul_u32_u24_e32 v3, 3, v1
	v_and_b32_e32 v1, 1, v0
	v_min_u32_e32 v6, 0x5fd, v3
	v_min_u32_e32 v47, 0x480, v75
	v_mov_b32_e32 v48, 0xc00
	v_cmp_eq_u32_e32 vcc, 1, v1
	v_add_u32_e32 v20, 3, v6
	v_min_u32_e32 v17, 0x5fa, v15
	v_add_u32_e32 v41, 0x180, v47
	v_lshl_add_u32 v47, v47, 3, v48
	v_min_u32_e32 v48, 0x600, v3
	v_cndmask_b32_e64 v1, 0, 3, vcc
	v_and_b32_e32 v16, 3, v0
	v_add_u32_e32 v23, 6, v17
	v_and_b32_e32 v58, 7, v0
	v_sub_u32_e32 v2, v20, v48
	v_min_u32_e32 v51, 0x600, v15
	v_mul_u32_u24_e32 v22, 3, v16
	v_mul_u32_u24_e32 v25, 3, v58
	v_sub_u32_e32 v56, v27, v26
	v_and_b32_e32 v62, 15, v0
	v_min_i32_e32 v50, v1, v2
	v_sub_u32_e32 v2, v23, v51
	v_min_u32_e32 v55, 0x600, v55
	v_sub_u32_e32 v57, v25, v56
	v_mul_u32_u24_e32 v28, 3, v62
	v_sub_u32_e32 v60, v30, v29
	v_and_b32_e32 v66, 31, v0
	v_min_u32_e32 v85, 0x5a0, v67
	v_min_i32_e32 v53, v22, v2
	v_cmp_ge_i32_e64 s[2:3], v25, v56
	v_sub_u32_e32 v2, v26, v55
	v_min_u32_e32 v59, 0x600, v59
	v_sub_u32_e32 v61, v28, v60
	v_mul_u32_u24_e32 v31, 3, v66
	v_sub_u32_e32 v64, v33, v32
	v_and_b32_e32 v70, 63, v0
	v_add_u32_e32 v35, 0x60, v85
	v_cndmask_b32_e64 v56, 0, v57, s[2:3]
	v_min_i32_e32 v57, v25, v2
	v_cmp_ge_i32_e64 s[4:5], v28, v60
	v_sub_u32_e32 v2, v29, v59
	v_min_u32_e32 v63, 0x600, v63
	v_min_u32_e32 v7, 0x5fa, v3
	v_sub_u32_e32 v65, v31, v64
	v_mul_u32_u24_e32 v34, 3, v70
	v_sub_u32_e32 v68, v36, v35
	v_and_b32_e32 v74, 0x7f, v0
	v_cndmask_b32_e64 v60, 0, v61, s[4:5]
	v_min_i32_e32 v61, v28, v2
	v_cmp_ge_i32_e64 s[6:7], v31, v64
	v_sub_u32_e32 v2, v32, v63
	v_min_u32_e32 v67, 0x600, v67
	v_add_u32_e32 v21, 6, v7
	v_sub_u32_e32 v69, v34, v68
	v_mul_u32_u24_e32 v37, 3, v74
	v_sub_u32_e32 v72, v39, v38
	v_and_b32_e32 v78, 0xff, v0
	v_cndmask_b32_e64 v64, 0, v65, s[6:7]
	v_min_i32_e32 v65, v31, v2
	v_cmp_ge_i32_e64 s[8:9], v34, v68
	v_sub_u32_e32 v2, v35, v67
	v_min_u32_e32 v71, 0x600, v71
	v_sub_u32_e32 v7, v21, v20
	v_sub_u32_e32 v18, v24, v23
	;; [unrolled: 1-line block ×3, first 2 shown]
	v_mul_u32_u24_e32 v40, 3, v78
	v_sub_u32_e32 v76, v42, v41
	v_cndmask_b32_e64 v68, 0, v69, s[8:9]
	v_min_i32_e32 v69, v34, v2
	v_cmp_ge_i32_e64 s[10:11], v37, v72
	v_sub_u32_e32 v2, v38, v71
	v_min_u32_e32 v75, 0x600, v75
	v_sub_u32_e32 v14, v1, v7
	v_sub_u32_e32 v19, v22, v18
	;; [unrolled: 1-line block ×3, first 2 shown]
	v_cmp_ge_i32_e32 vcc, v1, v7
	v_cmp_ge_i32_e64 s[0:1], v22, v18
	v_cndmask_b32_e64 v72, 0, v73, s[10:11]
	v_min_i32_e32 v73, v37, v2
	v_cmp_ge_i32_e64 s[12:13], v40, v76
	v_sub_u32_e32 v2, v41, v75
	v_mul_u32_u24_e32 v79, 3, v0
	v_mov_b32_e32 v80, 0x300
	v_cndmask_b32_e32 v49, 0, v14, vcc
	v_cndmask_b32_e64 v52, 0, v19, s[0:1]
	v_cndmask_b32_e64 v76, 0, v77, s[12:13]
	v_min_i32_e32 v77, v40, v2
	v_sub_u32_e64 v81, v79, v80 clamp
	v_min_i32_e32 v82, 0x300, v79
	s_movk_i32 s33, 0x600
	v_cmp_lt_i32_e32 vcc, v49, v50
	v_cmp_lt_i32_e64 s[0:1], v52, v53
	v_mad_u32_u24 v54, v16, 3, v23
	v_cmp_lt_i32_e64 s[2:3], v56, v57
	v_mad_u32_u24 v58, v58, 3, v26
	;; [unrolled: 2-line block ×7, first 2 shown]
	v_cmp_lt_i32_e64 s[14:15], v81, v82
	v_lshl_add_u32 v83, v6, 3, 24
	v_lshl_add_u32 v84, v17, 3, 48
	;; [unrolled: 1-line block ×3, first 2 shown]
	v_lshlrev_b32_e32 v86, 3, v79
	v_lshlrev_b32_e32 v87, 3, v48
	v_add_u32_e32 v88, v20, v1
	v_lshlrev_b32_e32 v89, 3, v51
	v_lshlrev_b32_e32 v90, 3, v55
	;; [unrolled: 1-line block ×7, first 2 shown]
	v_mad_u32_u24 v96, v0, 3, v80
	s_waitcnt vmcnt(2)
	v_lshl_add_u64 v[4:5], v[8:9], 0, 1
	s_waitcnt vmcnt(1)
	v_lshl_add_u64 v[6:7], v[10:11], 0, 1
	;; [unrolled: 2-line block ×3, first 2 shown]
	s_branch .LBB155_2
.LBB155_1:                              ;   in Loop: Header=BB155_2 Depth=1
	s_or_b64 exec, exec, s[20:21]
	v_cmp_ge_i32_e64 s[20:21], v100, v80
	s_waitcnt lgkmcnt(0)
	v_cmp_lt_i64_e64 s[22:23], v[18:19], v[16:17]
	v_cndmask_b32_e64 v9, v9, v15, s[16:17]
	v_cndmask_b32_e64 v8, v8, v14, s[16:17]
	;; [unrolled: 1-line block ×3, first 2 shown]
	v_cmp_gt_i32_e64 s[16:17], s33, v99
	s_or_b64 s[20:21], s[20:21], s[22:23]
	s_and_b64 s[16:17], s[16:17], s[20:21]
	v_cndmask_b32_e64 v15, v100, v99, s[16:17]
	s_barrier
	ds_write2_b64 v86, v[2:3], v[6:7] offset1:1
	ds_write_b64 v86, v[4:5] offset:16
	v_lshlrev_b32_e32 v2, 3, v14
	v_lshlrev_b32_e32 v3, 3, v101
	s_waitcnt lgkmcnt(0)
	s_barrier
	v_lshlrev_b32_e32 v14, 3, v15
	ds_read_b64 v[4:5], v2
	ds_read_b64 v[6:7], v3
	;; [unrolled: 1-line block ×3, first 2 shown]
	s_add_i32 s37, s37, 1
	v_cndmask_b32_e64 v11, v11, v13, s[18:19]
	v_cndmask_b32_e64 v13, v17, v19, s[16:17]
	;; [unrolled: 1-line block ×3, first 2 shown]
	s_cmp_eq_u32 s37, 10
	v_cndmask_b32_e64 v12, v16, v18, s[16:17]
	s_cbranch_scc1 .LBB155_110
.LBB155_2:                              ; =>This Loop Header: Depth=1
                                        ;     Child Loop BB155_4 Depth 2
                                        ;     Child Loop BB155_16 Depth 2
	;; [unrolled: 1-line block ×9, first 2 shown]
	v_cmp_lt_i64_e64 s[16:17], v[10:11], v[8:9]
	v_cmp_gt_i64_e64 s[18:19], v[10:11], v[8:9]
	s_nop 0
	v_cndmask_b32_e64 v15, v9, v11, s[16:17]
	v_cndmask_b32_e64 v14, v8, v10, s[16:17]
	;; [unrolled: 1-line block ×6, first 2 shown]
	v_cmp_lt_i64_e64 s[18:19], v[12:13], v[8:9]
	s_barrier
	s_nop 0
	v_cndmask_b32_e64 v11, v13, v9, s[18:19]
	v_cndmask_b32_e64 v10, v12, v8, s[18:19]
	;; [unrolled: 1-line block ×6, first 2 shown]
	v_cmp_lt_i64_e64 s[20:21], v[8:9], v[14:15]
	s_nop 1
	v_cndmask_b32_e64 v13, v16, v15, s[20:21]
	v_cndmask_b32_e64 v12, v17, v14, s[20:21]
	;; [unrolled: 1-line block ×4, first 2 shown]
	ds_write2_b64 v86, v[8:9], v[12:13] offset1:1
	ds_write_b64 v86, v[10:11] offset:16
	v_mov_b32_e32 v12, v49
	s_waitcnt lgkmcnt(0)
	s_barrier
	s_and_saveexec_b64 s[24:25], vcc
	s_cbranch_execz .LBB155_6
; %bb.3:                                ;   in Loop: Header=BB155_2 Depth=1
	s_mov_b64 s[26:27], 0
	v_mov_b32_e32 v12, v49
	v_mov_b32_e32 v8, v50
.LBB155_4:                              ;   Parent Loop BB155_2 Depth=1
                                        ; =>  This Inner Loop Header: Depth=2
	v_sub_u32_e32 v9, v8, v12
	v_lshrrev_b32_e32 v10, 31, v9
	v_add_u32_e32 v9, v9, v10
	v_ashrrev_i32_e32 v9, 1, v9
	v_add_u32_e32 v9, v9, v12
	v_lshl_add_u32 v10, v9, 3, v87
	v_xad_u32 v11, v9, -1, v1
	v_lshl_add_u32 v13, v11, 3, v83
	ds_read_b64 v[10:11], v10
	ds_read_b64 v[14:15], v13
	v_add_u32_e32 v13, 1, v9
	s_waitcnt lgkmcnt(0)
	v_cmp_lt_i64_e64 s[22:23], v[14:15], v[10:11]
	s_nop 1
	v_cndmask_b32_e64 v8, v8, v9, s[22:23]
	v_cndmask_b32_e64 v12, v13, v12, s[22:23]
	v_cmp_ge_i32_e64 s[22:23], v12, v8
	s_or_b64 s[26:27], s[22:23], s[26:27]
	s_andn2_b64 exec, exec, s[26:27]
	s_cbranch_execnz .LBB155_4
; %bb.5:                                ;   in Loop: Header=BB155_2 Depth=1
	s_or_b64 exec, exec, s[26:27]
.LBB155_6:                              ;   in Loop: Header=BB155_2 Depth=1
	s_or_b64 exec, exec, s[24:25]
	v_sub_u32_e32 v97, v88, v12
	v_lshl_add_u32 v15, v12, 3, v87
	v_lshlrev_b32_e32 v14, 3, v97
	ds_read_b64 v[8:9], v15
	ds_read_b64 v[10:11], v14
	v_add_u32_e32 v98, v12, v48
	v_cmp_le_i32_e64 s[24:25], v20, v98
	v_cmp_gt_i32_e64 s[22:23], v21, v97
                                        ; implicit-def: $vgpr12_vgpr13
	s_waitcnt lgkmcnt(0)
	v_cmp_lt_i64_e64 s[26:27], v[10:11], v[8:9]
	s_or_b64 s[24:25], s[24:25], s[26:27]
	s_and_b64 s[22:23], s[22:23], s[24:25]
	s_xor_b64 s[24:25], s[22:23], -1
	s_and_saveexec_b64 s[26:27], s[24:25]
	s_xor_b64 s[24:25], exec, s[26:27]
	s_cbranch_execz .LBB155_8
; %bb.7:                                ;   in Loop: Header=BB155_2 Depth=1
	ds_read_b64 v[12:13], v15 offset:8
                                        ; implicit-def: $vgpr14
.LBB155_8:                              ;   in Loop: Header=BB155_2 Depth=1
	s_or_saveexec_b64 s[24:25], s[24:25]
	v_mov_b64_e32 v[16:17], v[10:11]
	s_xor_b64 exec, exec, s[24:25]
	s_cbranch_execz .LBB155_10
; %bb.9:                                ;   in Loop: Header=BB155_2 Depth=1
	ds_read_b64 v[16:17], v14 offset:8
	s_waitcnt lgkmcnt(1)
	v_mov_b64_e32 v[12:13], v[8:9]
.LBB155_10:                             ;   in Loop: Header=BB155_2 Depth=1
	s_or_b64 exec, exec, s[24:25]
	v_add_u32_e32 v15, 1, v98
	v_add_u32_e32 v14, 1, v97
	v_cndmask_b32_e64 v100, v15, v98, s[22:23]
	v_cndmask_b32_e64 v99, v97, v14, s[22:23]
	v_cmp_ge_i32_e64 s[26:27], v100, v20
	s_waitcnt lgkmcnt(0)
	v_cmp_lt_i64_e64 s[28:29], v[16:17], v[12:13]
	v_cmp_lt_i32_e64 s[24:25], v99, v21
	s_or_b64 s[26:27], s[26:27], s[28:29]
	s_and_b64 s[24:25], s[24:25], s[26:27]
	s_xor_b64 s[26:27], s[24:25], -1
                                        ; implicit-def: $vgpr14_vgpr15
	s_and_saveexec_b64 s[28:29], s[26:27]
	s_xor_b64 s[26:27], exec, s[28:29]
	s_cbranch_execz .LBB155_12
; %bb.11:                               ;   in Loop: Header=BB155_2 Depth=1
	v_lshlrev_b32_e32 v14, 3, v100
	ds_read_b64 v[14:15], v14 offset:8
.LBB155_12:                             ;   in Loop: Header=BB155_2 Depth=1
	s_or_saveexec_b64 s[26:27], s[26:27]
	v_mov_b64_e32 v[18:19], v[16:17]
	s_xor_b64 exec, exec, s[26:27]
	s_cbranch_execz .LBB155_14
; %bb.13:                               ;   in Loop: Header=BB155_2 Depth=1
	s_waitcnt lgkmcnt(0)
	v_lshlrev_b32_e32 v14, 3, v99
	ds_read_b64 v[18:19], v14 offset:8
	v_mov_b64_e32 v[14:15], v[12:13]
.LBB155_14:                             ;   in Loop: Header=BB155_2 Depth=1
	s_or_b64 exec, exec, s[26:27]
	v_cndmask_b32_e64 v13, v13, v17, s[24:25]
	v_add_u32_e32 v17, 1, v100
	v_cndmask_b32_e64 v9, v9, v11, s[22:23]
	v_cndmask_b32_e64 v8, v8, v10, s[22:23]
	;; [unrolled: 1-line block ×7, first 2 shown]
	v_add_u32_e32 v16, 1, v99
	v_cndmask_b32_e64 v17, v17, v100, s[24:25]
	v_cndmask_b32_e64 v5, v3, v7, s[18:19]
	;; [unrolled: 1-line block ×10, first 2 shown]
	v_cmp_ge_i32_e64 s[18:19], v17, v20
	s_waitcnt lgkmcnt(0)
	v_cmp_lt_i64_e64 s[20:21], v[18:19], v[14:15]
	v_cmp_lt_i32_e64 s[16:17], v16, v21
	s_or_b64 s[18:19], s[18:19], s[20:21]
	s_and_b64 s[16:17], s[16:17], s[18:19]
	v_cndmask_b32_e64 v99, v100, v99, s[24:25]
	v_cndmask_b32_e64 v97, v98, v97, s[22:23]
	;; [unrolled: 1-line block ×4, first 2 shown]
	s_barrier
	ds_write2_b64 v86, v[6:7], v[2:3] offset1:1
	ds_write_b64 v86, v[4:5] offset:16
	v_lshlrev_b32_e32 v2, 3, v97
	v_lshlrev_b32_e32 v4, 3, v99
	;; [unrolled: 1-line block ×3, first 2 shown]
	s_waitcnt lgkmcnt(0)
	s_barrier
	ds_read_b64 v[2:3], v2
	ds_read_b64 v[6:7], v4
	ds_read_b64 v[4:5], v5
	v_cndmask_b32_e64 v11, v15, v19, s[16:17]
	s_waitcnt lgkmcnt(0)
	s_barrier
	ds_write2_b64 v86, v[8:9], v[12:13] offset1:1
	ds_write_b64 v86, v[10:11] offset:16
	v_mov_b32_e32 v12, v52
	s_waitcnt lgkmcnt(0)
	s_barrier
	s_and_saveexec_b64 s[18:19], s[0:1]
	s_cbranch_execz .LBB155_18
; %bb.15:                               ;   in Loop: Header=BB155_2 Depth=1
	s_mov_b64 s[20:21], 0
	v_mov_b32_e32 v12, v52
	v_mov_b32_e32 v8, v53
.LBB155_16:                             ;   Parent Loop BB155_2 Depth=1
                                        ; =>  This Inner Loop Header: Depth=2
	v_sub_u32_e32 v9, v8, v12
	v_lshrrev_b32_e32 v10, 31, v9
	v_add_u32_e32 v9, v9, v10
	v_ashrrev_i32_e32 v9, 1, v9
	v_add_u32_e32 v9, v9, v12
	v_lshl_add_u32 v10, v9, 3, v89
	v_xad_u32 v11, v9, -1, v22
	v_lshl_add_u32 v13, v11, 3, v84
	ds_read_b64 v[10:11], v10
	ds_read_b64 v[14:15], v13
	v_add_u32_e32 v13, 1, v9
	s_waitcnt lgkmcnt(0)
	v_cmp_lt_i64_e64 s[16:17], v[14:15], v[10:11]
	s_nop 1
	v_cndmask_b32_e64 v8, v8, v9, s[16:17]
	v_cndmask_b32_e64 v12, v13, v12, s[16:17]
	v_cmp_ge_i32_e64 s[16:17], v12, v8
	s_or_b64 s[20:21], s[16:17], s[20:21]
	s_andn2_b64 exec, exec, s[20:21]
	s_cbranch_execnz .LBB155_16
; %bb.17:                               ;   in Loop: Header=BB155_2 Depth=1
	s_or_b64 exec, exec, s[20:21]
.LBB155_18:                             ;   in Loop: Header=BB155_2 Depth=1
	s_or_b64 exec, exec, s[18:19]
	v_sub_u32_e32 v97, v54, v12
	v_lshl_add_u32 v14, v12, 3, v89
	v_lshlrev_b32_e32 v16, 3, v97
	ds_read_b64 v[8:9], v14
	ds_read_b64 v[10:11], v16
	v_add_u32_e32 v98, v12, v51
	v_cmp_le_i32_e64 s[18:19], v23, v98
	v_cmp_gt_i32_e64 s[16:17], v24, v97
                                        ; implicit-def: $vgpr12_vgpr13
	s_waitcnt lgkmcnt(0)
	v_cmp_lt_i64_e64 s[20:21], v[10:11], v[8:9]
	s_or_b64 s[18:19], s[18:19], s[20:21]
	s_and_b64 s[16:17], s[16:17], s[18:19]
	s_xor_b64 s[18:19], s[16:17], -1
	s_and_saveexec_b64 s[20:21], s[18:19]
	s_xor_b64 s[18:19], exec, s[20:21]
	s_cbranch_execz .LBB155_20
; %bb.19:                               ;   in Loop: Header=BB155_2 Depth=1
	ds_read_b64 v[12:13], v14 offset:8
                                        ; implicit-def: $vgpr16
.LBB155_20:                             ;   in Loop: Header=BB155_2 Depth=1
	s_or_saveexec_b64 s[18:19], s[18:19]
	v_mov_b64_e32 v[14:15], v[10:11]
	s_xor_b64 exec, exec, s[18:19]
	s_cbranch_execz .LBB155_22
; %bb.21:                               ;   in Loop: Header=BB155_2 Depth=1
	ds_read_b64 v[14:15], v16 offset:8
	s_waitcnt lgkmcnt(1)
	v_mov_b64_e32 v[12:13], v[8:9]
.LBB155_22:                             ;   in Loop: Header=BB155_2 Depth=1
	s_or_b64 exec, exec, s[18:19]
	v_add_u32_e32 v17, 1, v98
	v_add_u32_e32 v16, 1, v97
	v_cndmask_b32_e64 v100, v17, v98, s[16:17]
	v_cndmask_b32_e64 v99, v97, v16, s[16:17]
	v_cmp_ge_i32_e64 s[20:21], v100, v23
	s_waitcnt lgkmcnt(0)
	v_cmp_lt_i64_e64 s[22:23], v[14:15], v[12:13]
	v_cmp_lt_i32_e64 s[18:19], v99, v24
	s_or_b64 s[20:21], s[20:21], s[22:23]
	s_and_b64 s[18:19], s[18:19], s[20:21]
	s_xor_b64 s[20:21], s[18:19], -1
                                        ; implicit-def: $vgpr16_vgpr17
	s_and_saveexec_b64 s[22:23], s[20:21]
	s_xor_b64 s[20:21], exec, s[22:23]
	s_cbranch_execz .LBB155_24
; %bb.23:                               ;   in Loop: Header=BB155_2 Depth=1
	v_lshlrev_b32_e32 v16, 3, v100
	ds_read_b64 v[16:17], v16 offset:8
.LBB155_24:                             ;   in Loop: Header=BB155_2 Depth=1
	s_or_saveexec_b64 s[20:21], s[20:21]
	v_mov_b64_e32 v[18:19], v[14:15]
	s_xor_b64 exec, exec, s[20:21]
	s_cbranch_execz .LBB155_26
; %bb.25:                               ;   in Loop: Header=BB155_2 Depth=1
	s_waitcnt lgkmcnt(0)
	v_lshlrev_b32_e32 v16, 3, v99
	ds_read_b64 v[18:19], v16 offset:8
	v_mov_b64_e32 v[16:17], v[12:13]
.LBB155_26:                             ;   in Loop: Header=BB155_2 Depth=1
	s_or_b64 exec, exec, s[20:21]
	v_cndmask_b32_e64 v13, v13, v15, s[18:19]
	v_add_u32_e32 v15, 1, v100
	v_cndmask_b32_e64 v12, v12, v14, s[18:19]
	v_add_u32_e32 v14, 1, v99
	v_cndmask_b32_e64 v15, v15, v100, s[18:19]
	v_cndmask_b32_e64 v14, v99, v14, s[18:19]
	;; [unrolled: 1-line block ×3, first 2 shown]
	v_cmp_ge_i32_e64 s[18:19], v15, v23
	s_waitcnt lgkmcnt(0)
	v_cmp_lt_i64_e64 s[20:21], v[18:19], v[16:17]
	v_cndmask_b32_e64 v9, v9, v11, s[16:17]
	v_cndmask_b32_e64 v8, v8, v10, s[16:17]
	;; [unrolled: 1-line block ×3, first 2 shown]
	v_cmp_lt_i32_e64 s[16:17], v14, v24
	s_or_b64 s[18:19], s[18:19], s[20:21]
	s_and_b64 s[16:17], s[16:17], s[18:19]
	v_cndmask_b32_e64 v14, v15, v14, s[16:17]
	s_barrier
	ds_write2_b64 v86, v[2:3], v[6:7] offset1:1
	ds_write_b64 v86, v[4:5] offset:16
	v_lshlrev_b32_e32 v2, 3, v97
	v_lshlrev_b32_e32 v4, 3, v99
	;; [unrolled: 1-line block ×3, first 2 shown]
	s_waitcnt lgkmcnt(0)
	s_barrier
	ds_read_b64 v[2:3], v2
	ds_read_b64 v[6:7], v4
	;; [unrolled: 1-line block ×3, first 2 shown]
	v_cndmask_b32_e64 v11, v17, v19, s[16:17]
	v_cndmask_b32_e64 v10, v16, v18, s[16:17]
	s_waitcnt lgkmcnt(0)
	s_barrier
	ds_write2_b64 v86, v[8:9], v[12:13] offset1:1
	ds_write_b64 v86, v[10:11] offset:16
	v_mov_b32_e32 v12, v56
	s_waitcnt lgkmcnt(0)
	s_barrier
	s_and_saveexec_b64 s[18:19], s[2:3]
	s_cbranch_execz .LBB155_30
; %bb.27:                               ;   in Loop: Header=BB155_2 Depth=1
	s_mov_b64 s[20:21], 0
	v_mov_b32_e32 v12, v56
	v_mov_b32_e32 v8, v57
.LBB155_28:                             ;   Parent Loop BB155_2 Depth=1
                                        ; =>  This Inner Loop Header: Depth=2
	v_sub_u32_e32 v9, v8, v12
	v_lshrrev_b32_e32 v10, 31, v9
	v_add_u32_e32 v9, v9, v10
	v_ashrrev_i32_e32 v9, 1, v9
	v_add_u32_e32 v9, v9, v12
	v_lshl_add_u32 v10, v9, 3, v90
	v_xad_u32 v11, v9, -1, v25
	v_lshl_add_u32 v13, v11, 3, v43
	ds_read_b64 v[10:11], v10
	ds_read_b64 v[14:15], v13
	v_add_u32_e32 v13, 1, v9
	s_waitcnt lgkmcnt(0)
	v_cmp_lt_i64_e64 s[16:17], v[14:15], v[10:11]
	s_nop 1
	v_cndmask_b32_e64 v8, v8, v9, s[16:17]
	v_cndmask_b32_e64 v12, v13, v12, s[16:17]
	v_cmp_ge_i32_e64 s[16:17], v12, v8
	s_or_b64 s[20:21], s[16:17], s[20:21]
	s_andn2_b64 exec, exec, s[20:21]
	s_cbranch_execnz .LBB155_28
; %bb.29:                               ;   in Loop: Header=BB155_2 Depth=1
	s_or_b64 exec, exec, s[20:21]
.LBB155_30:                             ;   in Loop: Header=BB155_2 Depth=1
	s_or_b64 exec, exec, s[18:19]
	v_sub_u32_e32 v97, v58, v12
	v_lshl_add_u32 v14, v12, 3, v90
	v_lshlrev_b32_e32 v16, 3, v97
	ds_read_b64 v[8:9], v14
	ds_read_b64 v[10:11], v16
	v_add_u32_e32 v98, v12, v55
	v_cmp_le_i32_e64 s[18:19], v26, v98
	v_cmp_gt_i32_e64 s[16:17], v27, v97
                                        ; implicit-def: $vgpr12_vgpr13
	s_waitcnt lgkmcnt(0)
	v_cmp_lt_i64_e64 s[20:21], v[10:11], v[8:9]
	s_or_b64 s[18:19], s[18:19], s[20:21]
	s_and_b64 s[16:17], s[16:17], s[18:19]
	s_xor_b64 s[18:19], s[16:17], -1
	s_and_saveexec_b64 s[20:21], s[18:19]
	s_xor_b64 s[18:19], exec, s[20:21]
	s_cbranch_execz .LBB155_32
; %bb.31:                               ;   in Loop: Header=BB155_2 Depth=1
	ds_read_b64 v[12:13], v14 offset:8
                                        ; implicit-def: $vgpr16
.LBB155_32:                             ;   in Loop: Header=BB155_2 Depth=1
	s_or_saveexec_b64 s[18:19], s[18:19]
	v_mov_b64_e32 v[14:15], v[10:11]
	s_xor_b64 exec, exec, s[18:19]
	s_cbranch_execz .LBB155_34
; %bb.33:                               ;   in Loop: Header=BB155_2 Depth=1
	ds_read_b64 v[14:15], v16 offset:8
	s_waitcnt lgkmcnt(1)
	v_mov_b64_e32 v[12:13], v[8:9]
.LBB155_34:                             ;   in Loop: Header=BB155_2 Depth=1
	s_or_b64 exec, exec, s[18:19]
	v_add_u32_e32 v17, 1, v98
	v_add_u32_e32 v16, 1, v97
	v_cndmask_b32_e64 v100, v17, v98, s[16:17]
	v_cndmask_b32_e64 v99, v97, v16, s[16:17]
	v_cmp_ge_i32_e64 s[20:21], v100, v26
	s_waitcnt lgkmcnt(0)
	v_cmp_lt_i64_e64 s[22:23], v[14:15], v[12:13]
	v_cmp_lt_i32_e64 s[18:19], v99, v27
	s_or_b64 s[20:21], s[20:21], s[22:23]
	s_and_b64 s[18:19], s[18:19], s[20:21]
	s_xor_b64 s[20:21], s[18:19], -1
                                        ; implicit-def: $vgpr16_vgpr17
	s_and_saveexec_b64 s[22:23], s[20:21]
	s_xor_b64 s[20:21], exec, s[22:23]
	s_cbranch_execz .LBB155_36
; %bb.35:                               ;   in Loop: Header=BB155_2 Depth=1
	v_lshlrev_b32_e32 v16, 3, v100
	ds_read_b64 v[16:17], v16 offset:8
.LBB155_36:                             ;   in Loop: Header=BB155_2 Depth=1
	s_or_saveexec_b64 s[20:21], s[20:21]
	v_mov_b64_e32 v[18:19], v[14:15]
	s_xor_b64 exec, exec, s[20:21]
	s_cbranch_execz .LBB155_38
; %bb.37:                               ;   in Loop: Header=BB155_2 Depth=1
	s_waitcnt lgkmcnt(0)
	v_lshlrev_b32_e32 v16, 3, v99
	ds_read_b64 v[18:19], v16 offset:8
	v_mov_b64_e32 v[16:17], v[12:13]
.LBB155_38:                             ;   in Loop: Header=BB155_2 Depth=1
	s_or_b64 exec, exec, s[20:21]
	v_cndmask_b32_e64 v13, v13, v15, s[18:19]
	v_add_u32_e32 v15, 1, v100
	v_cndmask_b32_e64 v12, v12, v14, s[18:19]
	v_add_u32_e32 v14, 1, v99
	v_cndmask_b32_e64 v15, v15, v100, s[18:19]
	v_cndmask_b32_e64 v14, v99, v14, s[18:19]
	;; [unrolled: 1-line block ×3, first 2 shown]
	v_cmp_ge_i32_e64 s[18:19], v15, v26
	s_waitcnt lgkmcnt(0)
	v_cmp_lt_i64_e64 s[20:21], v[18:19], v[16:17]
	v_cndmask_b32_e64 v9, v9, v11, s[16:17]
	v_cndmask_b32_e64 v8, v8, v10, s[16:17]
	;; [unrolled: 1-line block ×3, first 2 shown]
	v_cmp_lt_i32_e64 s[16:17], v14, v27
	s_or_b64 s[18:19], s[18:19], s[20:21]
	s_and_b64 s[16:17], s[16:17], s[18:19]
	v_cndmask_b32_e64 v14, v15, v14, s[16:17]
	s_barrier
	ds_write2_b64 v86, v[2:3], v[6:7] offset1:1
	ds_write_b64 v86, v[4:5] offset:16
	v_lshlrev_b32_e32 v2, 3, v97
	v_lshlrev_b32_e32 v4, 3, v99
	;; [unrolled: 1-line block ×3, first 2 shown]
	s_waitcnt lgkmcnt(0)
	s_barrier
	ds_read_b64 v[2:3], v2
	ds_read_b64 v[6:7], v4
	;; [unrolled: 1-line block ×3, first 2 shown]
	v_cndmask_b32_e64 v11, v17, v19, s[16:17]
	v_cndmask_b32_e64 v10, v16, v18, s[16:17]
	s_waitcnt lgkmcnt(0)
	s_barrier
	ds_write2_b64 v86, v[8:9], v[12:13] offset1:1
	ds_write_b64 v86, v[10:11] offset:16
	v_mov_b32_e32 v12, v60
	s_waitcnt lgkmcnt(0)
	s_barrier
	s_and_saveexec_b64 s[18:19], s[4:5]
	s_cbranch_execz .LBB155_42
; %bb.39:                               ;   in Loop: Header=BB155_2 Depth=1
	s_mov_b64 s[20:21], 0
	v_mov_b32_e32 v12, v60
	v_mov_b32_e32 v8, v61
.LBB155_40:                             ;   Parent Loop BB155_2 Depth=1
                                        ; =>  This Inner Loop Header: Depth=2
	v_sub_u32_e32 v9, v8, v12
	v_lshrrev_b32_e32 v10, 31, v9
	v_add_u32_e32 v9, v9, v10
	v_ashrrev_i32_e32 v9, 1, v9
	v_add_u32_e32 v9, v9, v12
	v_lshl_add_u32 v10, v9, 3, v91
	v_xad_u32 v11, v9, -1, v28
	v_lshl_add_u32 v13, v11, 3, v44
	ds_read_b64 v[10:11], v10
	ds_read_b64 v[14:15], v13
	v_add_u32_e32 v13, 1, v9
	s_waitcnt lgkmcnt(0)
	v_cmp_lt_i64_e64 s[16:17], v[14:15], v[10:11]
	s_nop 1
	v_cndmask_b32_e64 v8, v8, v9, s[16:17]
	v_cndmask_b32_e64 v12, v13, v12, s[16:17]
	v_cmp_ge_i32_e64 s[16:17], v12, v8
	s_or_b64 s[20:21], s[16:17], s[20:21]
	s_andn2_b64 exec, exec, s[20:21]
	s_cbranch_execnz .LBB155_40
; %bb.41:                               ;   in Loop: Header=BB155_2 Depth=1
	s_or_b64 exec, exec, s[20:21]
.LBB155_42:                             ;   in Loop: Header=BB155_2 Depth=1
	s_or_b64 exec, exec, s[18:19]
	v_sub_u32_e32 v97, v62, v12
	v_lshl_add_u32 v14, v12, 3, v91
	v_lshlrev_b32_e32 v16, 3, v97
	ds_read_b64 v[8:9], v14
	ds_read_b64 v[10:11], v16
	v_add_u32_e32 v98, v12, v59
	v_cmp_le_i32_e64 s[18:19], v29, v98
	v_cmp_gt_i32_e64 s[16:17], v30, v97
                                        ; implicit-def: $vgpr12_vgpr13
	s_waitcnt lgkmcnt(0)
	v_cmp_lt_i64_e64 s[20:21], v[10:11], v[8:9]
	s_or_b64 s[18:19], s[18:19], s[20:21]
	s_and_b64 s[16:17], s[16:17], s[18:19]
	s_xor_b64 s[18:19], s[16:17], -1
	s_and_saveexec_b64 s[20:21], s[18:19]
	s_xor_b64 s[18:19], exec, s[20:21]
	s_cbranch_execz .LBB155_44
; %bb.43:                               ;   in Loop: Header=BB155_2 Depth=1
	ds_read_b64 v[12:13], v14 offset:8
                                        ; implicit-def: $vgpr16
.LBB155_44:                             ;   in Loop: Header=BB155_2 Depth=1
	s_or_saveexec_b64 s[18:19], s[18:19]
	v_mov_b64_e32 v[14:15], v[10:11]
	s_xor_b64 exec, exec, s[18:19]
	s_cbranch_execz .LBB155_46
; %bb.45:                               ;   in Loop: Header=BB155_2 Depth=1
	ds_read_b64 v[14:15], v16 offset:8
	s_waitcnt lgkmcnt(1)
	v_mov_b64_e32 v[12:13], v[8:9]
.LBB155_46:                             ;   in Loop: Header=BB155_2 Depth=1
	s_or_b64 exec, exec, s[18:19]
	v_add_u32_e32 v17, 1, v98
	v_add_u32_e32 v16, 1, v97
	v_cndmask_b32_e64 v100, v17, v98, s[16:17]
	v_cndmask_b32_e64 v99, v97, v16, s[16:17]
	v_cmp_ge_i32_e64 s[20:21], v100, v29
	s_waitcnt lgkmcnt(0)
	v_cmp_lt_i64_e64 s[22:23], v[14:15], v[12:13]
	v_cmp_lt_i32_e64 s[18:19], v99, v30
	s_or_b64 s[20:21], s[20:21], s[22:23]
	s_and_b64 s[18:19], s[18:19], s[20:21]
	s_xor_b64 s[20:21], s[18:19], -1
                                        ; implicit-def: $vgpr16_vgpr17
	s_and_saveexec_b64 s[22:23], s[20:21]
	s_xor_b64 s[20:21], exec, s[22:23]
	s_cbranch_execz .LBB155_48
; %bb.47:                               ;   in Loop: Header=BB155_2 Depth=1
	v_lshlrev_b32_e32 v16, 3, v100
	ds_read_b64 v[16:17], v16 offset:8
.LBB155_48:                             ;   in Loop: Header=BB155_2 Depth=1
	s_or_saveexec_b64 s[20:21], s[20:21]
	v_mov_b64_e32 v[18:19], v[14:15]
	s_xor_b64 exec, exec, s[20:21]
	s_cbranch_execz .LBB155_50
; %bb.49:                               ;   in Loop: Header=BB155_2 Depth=1
	s_waitcnt lgkmcnt(0)
	v_lshlrev_b32_e32 v16, 3, v99
	ds_read_b64 v[18:19], v16 offset:8
	v_mov_b64_e32 v[16:17], v[12:13]
.LBB155_50:                             ;   in Loop: Header=BB155_2 Depth=1
	s_or_b64 exec, exec, s[20:21]
	v_cndmask_b32_e64 v13, v13, v15, s[18:19]
	v_add_u32_e32 v15, 1, v100
	v_cndmask_b32_e64 v12, v12, v14, s[18:19]
	v_add_u32_e32 v14, 1, v99
	v_cndmask_b32_e64 v15, v15, v100, s[18:19]
	v_cndmask_b32_e64 v14, v99, v14, s[18:19]
	;; [unrolled: 1-line block ×3, first 2 shown]
	v_cmp_ge_i32_e64 s[18:19], v15, v29
	s_waitcnt lgkmcnt(0)
	v_cmp_lt_i64_e64 s[20:21], v[18:19], v[16:17]
	v_cndmask_b32_e64 v9, v9, v11, s[16:17]
	v_cndmask_b32_e64 v8, v8, v10, s[16:17]
	;; [unrolled: 1-line block ×3, first 2 shown]
	v_cmp_lt_i32_e64 s[16:17], v14, v30
	s_or_b64 s[18:19], s[18:19], s[20:21]
	s_and_b64 s[16:17], s[16:17], s[18:19]
	v_cndmask_b32_e64 v14, v15, v14, s[16:17]
	s_barrier
	ds_write2_b64 v86, v[2:3], v[6:7] offset1:1
	ds_write_b64 v86, v[4:5] offset:16
	v_lshlrev_b32_e32 v2, 3, v97
	v_lshlrev_b32_e32 v4, 3, v99
	;; [unrolled: 1-line block ×3, first 2 shown]
	s_waitcnt lgkmcnt(0)
	s_barrier
	ds_read_b64 v[2:3], v2
	ds_read_b64 v[6:7], v4
	;; [unrolled: 1-line block ×3, first 2 shown]
	v_cndmask_b32_e64 v11, v17, v19, s[16:17]
	v_cndmask_b32_e64 v10, v16, v18, s[16:17]
	s_waitcnt lgkmcnt(0)
	s_barrier
	ds_write2_b64 v86, v[8:9], v[12:13] offset1:1
	ds_write_b64 v86, v[10:11] offset:16
	v_mov_b32_e32 v12, v64
	s_waitcnt lgkmcnt(0)
	s_barrier
	s_and_saveexec_b64 s[18:19], s[6:7]
	s_cbranch_execz .LBB155_54
; %bb.51:                               ;   in Loop: Header=BB155_2 Depth=1
	s_mov_b64 s[20:21], 0
	v_mov_b32_e32 v12, v64
	v_mov_b32_e32 v8, v65
.LBB155_52:                             ;   Parent Loop BB155_2 Depth=1
                                        ; =>  This Inner Loop Header: Depth=2
	v_sub_u32_e32 v9, v8, v12
	v_lshrrev_b32_e32 v10, 31, v9
	v_add_u32_e32 v9, v9, v10
	v_ashrrev_i32_e32 v9, 1, v9
	v_add_u32_e32 v9, v9, v12
	v_lshl_add_u32 v10, v9, 3, v92
	v_xad_u32 v11, v9, -1, v31
	v_lshl_add_u32 v13, v11, 3, v45
	ds_read_b64 v[10:11], v10
	ds_read_b64 v[14:15], v13
	v_add_u32_e32 v13, 1, v9
	s_waitcnt lgkmcnt(0)
	v_cmp_lt_i64_e64 s[16:17], v[14:15], v[10:11]
	s_nop 1
	v_cndmask_b32_e64 v8, v8, v9, s[16:17]
	v_cndmask_b32_e64 v12, v13, v12, s[16:17]
	v_cmp_ge_i32_e64 s[16:17], v12, v8
	s_or_b64 s[20:21], s[16:17], s[20:21]
	s_andn2_b64 exec, exec, s[20:21]
	s_cbranch_execnz .LBB155_52
; %bb.53:                               ;   in Loop: Header=BB155_2 Depth=1
	s_or_b64 exec, exec, s[20:21]
.LBB155_54:                             ;   in Loop: Header=BB155_2 Depth=1
	s_or_b64 exec, exec, s[18:19]
	v_sub_u32_e32 v97, v66, v12
	v_lshl_add_u32 v14, v12, 3, v92
	v_lshlrev_b32_e32 v16, 3, v97
	ds_read_b64 v[8:9], v14
	ds_read_b64 v[10:11], v16
	v_add_u32_e32 v98, v12, v63
	v_cmp_le_i32_e64 s[18:19], v32, v98
	v_cmp_gt_i32_e64 s[16:17], v33, v97
                                        ; implicit-def: $vgpr12_vgpr13
	s_waitcnt lgkmcnt(0)
	v_cmp_lt_i64_e64 s[20:21], v[10:11], v[8:9]
	s_or_b64 s[18:19], s[18:19], s[20:21]
	s_and_b64 s[16:17], s[16:17], s[18:19]
	s_xor_b64 s[18:19], s[16:17], -1
	s_and_saveexec_b64 s[20:21], s[18:19]
	s_xor_b64 s[18:19], exec, s[20:21]
	s_cbranch_execz .LBB155_56
; %bb.55:                               ;   in Loop: Header=BB155_2 Depth=1
	ds_read_b64 v[12:13], v14 offset:8
                                        ; implicit-def: $vgpr16
.LBB155_56:                             ;   in Loop: Header=BB155_2 Depth=1
	s_or_saveexec_b64 s[18:19], s[18:19]
	v_mov_b64_e32 v[14:15], v[10:11]
	s_xor_b64 exec, exec, s[18:19]
	s_cbranch_execz .LBB155_58
; %bb.57:                               ;   in Loop: Header=BB155_2 Depth=1
	ds_read_b64 v[14:15], v16 offset:8
	s_waitcnt lgkmcnt(1)
	v_mov_b64_e32 v[12:13], v[8:9]
.LBB155_58:                             ;   in Loop: Header=BB155_2 Depth=1
	s_or_b64 exec, exec, s[18:19]
	v_add_u32_e32 v17, 1, v98
	v_add_u32_e32 v16, 1, v97
	v_cndmask_b32_e64 v100, v17, v98, s[16:17]
	v_cndmask_b32_e64 v99, v97, v16, s[16:17]
	v_cmp_ge_i32_e64 s[20:21], v100, v32
	s_waitcnt lgkmcnt(0)
	v_cmp_lt_i64_e64 s[22:23], v[14:15], v[12:13]
	v_cmp_lt_i32_e64 s[18:19], v99, v33
	s_or_b64 s[20:21], s[20:21], s[22:23]
	s_and_b64 s[18:19], s[18:19], s[20:21]
	s_xor_b64 s[20:21], s[18:19], -1
                                        ; implicit-def: $vgpr16_vgpr17
	s_and_saveexec_b64 s[22:23], s[20:21]
	s_xor_b64 s[20:21], exec, s[22:23]
	s_cbranch_execz .LBB155_60
; %bb.59:                               ;   in Loop: Header=BB155_2 Depth=1
	v_lshlrev_b32_e32 v16, 3, v100
	ds_read_b64 v[16:17], v16 offset:8
.LBB155_60:                             ;   in Loop: Header=BB155_2 Depth=1
	s_or_saveexec_b64 s[20:21], s[20:21]
	v_mov_b64_e32 v[18:19], v[14:15]
	s_xor_b64 exec, exec, s[20:21]
	s_cbranch_execz .LBB155_62
; %bb.61:                               ;   in Loop: Header=BB155_2 Depth=1
	s_waitcnt lgkmcnt(0)
	v_lshlrev_b32_e32 v16, 3, v99
	ds_read_b64 v[18:19], v16 offset:8
	v_mov_b64_e32 v[16:17], v[12:13]
.LBB155_62:                             ;   in Loop: Header=BB155_2 Depth=1
	s_or_b64 exec, exec, s[20:21]
	v_cndmask_b32_e64 v13, v13, v15, s[18:19]
	v_add_u32_e32 v15, 1, v100
	v_cndmask_b32_e64 v12, v12, v14, s[18:19]
	v_add_u32_e32 v14, 1, v99
	v_cndmask_b32_e64 v15, v15, v100, s[18:19]
	v_cndmask_b32_e64 v14, v99, v14, s[18:19]
	;; [unrolled: 1-line block ×3, first 2 shown]
	v_cmp_ge_i32_e64 s[18:19], v15, v32
	s_waitcnt lgkmcnt(0)
	v_cmp_lt_i64_e64 s[20:21], v[18:19], v[16:17]
	v_cndmask_b32_e64 v9, v9, v11, s[16:17]
	v_cndmask_b32_e64 v8, v8, v10, s[16:17]
	;; [unrolled: 1-line block ×3, first 2 shown]
	v_cmp_lt_i32_e64 s[16:17], v14, v33
	s_or_b64 s[18:19], s[18:19], s[20:21]
	s_and_b64 s[16:17], s[16:17], s[18:19]
	v_cndmask_b32_e64 v14, v15, v14, s[16:17]
	s_barrier
	ds_write2_b64 v86, v[2:3], v[6:7] offset1:1
	ds_write_b64 v86, v[4:5] offset:16
	v_lshlrev_b32_e32 v2, 3, v97
	v_lshlrev_b32_e32 v4, 3, v99
	;; [unrolled: 1-line block ×3, first 2 shown]
	s_waitcnt lgkmcnt(0)
	s_barrier
	ds_read_b64 v[2:3], v2
	ds_read_b64 v[6:7], v4
	;; [unrolled: 1-line block ×3, first 2 shown]
	v_cndmask_b32_e64 v11, v17, v19, s[16:17]
	v_cndmask_b32_e64 v10, v16, v18, s[16:17]
	s_waitcnt lgkmcnt(0)
	s_barrier
	ds_write2_b64 v86, v[8:9], v[12:13] offset1:1
	ds_write_b64 v86, v[10:11] offset:16
	v_mov_b32_e32 v12, v68
	s_waitcnt lgkmcnt(0)
	s_barrier
	s_and_saveexec_b64 s[18:19], s[8:9]
	s_cbranch_execz .LBB155_66
; %bb.63:                               ;   in Loop: Header=BB155_2 Depth=1
	s_mov_b64 s[20:21], 0
	v_mov_b32_e32 v12, v68
	v_mov_b32_e32 v8, v69
.LBB155_64:                             ;   Parent Loop BB155_2 Depth=1
                                        ; =>  This Inner Loop Header: Depth=2
	v_sub_u32_e32 v9, v8, v12
	v_lshrrev_b32_e32 v10, 31, v9
	v_add_u32_e32 v9, v9, v10
	v_ashrrev_i32_e32 v9, 1, v9
	v_add_u32_e32 v9, v9, v12
	v_lshl_add_u32 v10, v9, 3, v93
	v_xad_u32 v11, v9, -1, v34
	v_lshl_add_u32 v13, v11, 3, v85
	ds_read_b64 v[10:11], v10
	ds_read_b64 v[14:15], v13
	v_add_u32_e32 v13, 1, v9
	s_waitcnt lgkmcnt(0)
	v_cmp_lt_i64_e64 s[16:17], v[14:15], v[10:11]
	s_nop 1
	v_cndmask_b32_e64 v8, v8, v9, s[16:17]
	v_cndmask_b32_e64 v12, v13, v12, s[16:17]
	v_cmp_ge_i32_e64 s[16:17], v12, v8
	s_or_b64 s[20:21], s[16:17], s[20:21]
	s_andn2_b64 exec, exec, s[20:21]
	s_cbranch_execnz .LBB155_64
; %bb.65:                               ;   in Loop: Header=BB155_2 Depth=1
	s_or_b64 exec, exec, s[20:21]
.LBB155_66:                             ;   in Loop: Header=BB155_2 Depth=1
	s_or_b64 exec, exec, s[18:19]
	v_sub_u32_e32 v97, v70, v12
	v_lshl_add_u32 v14, v12, 3, v93
	v_lshlrev_b32_e32 v16, 3, v97
	ds_read_b64 v[8:9], v14
	ds_read_b64 v[10:11], v16
	v_add_u32_e32 v98, v12, v67
	v_cmp_le_i32_e64 s[18:19], v35, v98
	v_cmp_gt_i32_e64 s[16:17], v36, v97
                                        ; implicit-def: $vgpr12_vgpr13
	s_waitcnt lgkmcnt(0)
	v_cmp_lt_i64_e64 s[20:21], v[10:11], v[8:9]
	s_or_b64 s[18:19], s[18:19], s[20:21]
	s_and_b64 s[16:17], s[16:17], s[18:19]
	s_xor_b64 s[18:19], s[16:17], -1
	s_and_saveexec_b64 s[20:21], s[18:19]
	s_xor_b64 s[18:19], exec, s[20:21]
	s_cbranch_execz .LBB155_68
; %bb.67:                               ;   in Loop: Header=BB155_2 Depth=1
	ds_read_b64 v[12:13], v14 offset:8
                                        ; implicit-def: $vgpr16
.LBB155_68:                             ;   in Loop: Header=BB155_2 Depth=1
	s_or_saveexec_b64 s[18:19], s[18:19]
	v_mov_b64_e32 v[14:15], v[10:11]
	s_xor_b64 exec, exec, s[18:19]
	s_cbranch_execz .LBB155_70
; %bb.69:                               ;   in Loop: Header=BB155_2 Depth=1
	ds_read_b64 v[14:15], v16 offset:8
	s_waitcnt lgkmcnt(1)
	v_mov_b64_e32 v[12:13], v[8:9]
.LBB155_70:                             ;   in Loop: Header=BB155_2 Depth=1
	s_or_b64 exec, exec, s[18:19]
	v_add_u32_e32 v17, 1, v98
	v_add_u32_e32 v16, 1, v97
	v_cndmask_b32_e64 v100, v17, v98, s[16:17]
	v_cndmask_b32_e64 v99, v97, v16, s[16:17]
	v_cmp_ge_i32_e64 s[20:21], v100, v35
	s_waitcnt lgkmcnt(0)
	v_cmp_lt_i64_e64 s[22:23], v[14:15], v[12:13]
	v_cmp_lt_i32_e64 s[18:19], v99, v36
	s_or_b64 s[20:21], s[20:21], s[22:23]
	s_and_b64 s[18:19], s[18:19], s[20:21]
	s_xor_b64 s[20:21], s[18:19], -1
                                        ; implicit-def: $vgpr16_vgpr17
	s_and_saveexec_b64 s[22:23], s[20:21]
	s_xor_b64 s[20:21], exec, s[22:23]
	s_cbranch_execz .LBB155_72
; %bb.71:                               ;   in Loop: Header=BB155_2 Depth=1
	v_lshlrev_b32_e32 v16, 3, v100
	ds_read_b64 v[16:17], v16 offset:8
.LBB155_72:                             ;   in Loop: Header=BB155_2 Depth=1
	s_or_saveexec_b64 s[20:21], s[20:21]
	v_mov_b64_e32 v[18:19], v[14:15]
	s_xor_b64 exec, exec, s[20:21]
	s_cbranch_execz .LBB155_74
; %bb.73:                               ;   in Loop: Header=BB155_2 Depth=1
	s_waitcnt lgkmcnt(0)
	v_lshlrev_b32_e32 v16, 3, v99
	ds_read_b64 v[18:19], v16 offset:8
	v_mov_b64_e32 v[16:17], v[12:13]
.LBB155_74:                             ;   in Loop: Header=BB155_2 Depth=1
	s_or_b64 exec, exec, s[20:21]
	v_cndmask_b32_e64 v13, v13, v15, s[18:19]
	v_add_u32_e32 v15, 1, v100
	v_cndmask_b32_e64 v12, v12, v14, s[18:19]
	v_add_u32_e32 v14, 1, v99
	v_cndmask_b32_e64 v15, v15, v100, s[18:19]
	v_cndmask_b32_e64 v14, v99, v14, s[18:19]
	;; [unrolled: 1-line block ×3, first 2 shown]
	v_cmp_ge_i32_e64 s[18:19], v15, v35
	s_waitcnt lgkmcnt(0)
	v_cmp_lt_i64_e64 s[20:21], v[18:19], v[16:17]
	v_cndmask_b32_e64 v9, v9, v11, s[16:17]
	v_cndmask_b32_e64 v8, v8, v10, s[16:17]
	;; [unrolled: 1-line block ×3, first 2 shown]
	v_cmp_lt_i32_e64 s[16:17], v14, v36
	s_or_b64 s[18:19], s[18:19], s[20:21]
	s_and_b64 s[16:17], s[16:17], s[18:19]
	v_cndmask_b32_e64 v14, v15, v14, s[16:17]
	s_barrier
	ds_write2_b64 v86, v[2:3], v[6:7] offset1:1
	ds_write_b64 v86, v[4:5] offset:16
	v_lshlrev_b32_e32 v2, 3, v97
	v_lshlrev_b32_e32 v4, 3, v99
	;; [unrolled: 1-line block ×3, first 2 shown]
	s_waitcnt lgkmcnt(0)
	s_barrier
	ds_read_b64 v[2:3], v2
	ds_read_b64 v[6:7], v4
	ds_read_b64 v[4:5], v5
	v_cndmask_b32_e64 v11, v17, v19, s[16:17]
	v_cndmask_b32_e64 v10, v16, v18, s[16:17]
	s_waitcnt lgkmcnt(0)
	s_barrier
	ds_write2_b64 v86, v[8:9], v[12:13] offset1:1
	ds_write_b64 v86, v[10:11] offset:16
	v_mov_b32_e32 v12, v72
	s_waitcnt lgkmcnt(0)
	s_barrier
	s_and_saveexec_b64 s[18:19], s[10:11]
	s_cbranch_execz .LBB155_78
; %bb.75:                               ;   in Loop: Header=BB155_2 Depth=1
	s_mov_b64 s[20:21], 0
	v_mov_b32_e32 v12, v72
	v_mov_b32_e32 v8, v73
.LBB155_76:                             ;   Parent Loop BB155_2 Depth=1
                                        ; =>  This Inner Loop Header: Depth=2
	v_sub_u32_e32 v9, v8, v12
	v_lshrrev_b32_e32 v10, 31, v9
	v_add_u32_e32 v9, v9, v10
	v_ashrrev_i32_e32 v9, 1, v9
	v_add_u32_e32 v9, v9, v12
	v_lshl_add_u32 v10, v9, 3, v94
	v_xad_u32 v11, v9, -1, v37
	v_lshl_add_u32 v13, v11, 3, v46
	ds_read_b64 v[10:11], v10
	ds_read_b64 v[14:15], v13
	v_add_u32_e32 v13, 1, v9
	s_waitcnt lgkmcnt(0)
	v_cmp_lt_i64_e64 s[16:17], v[14:15], v[10:11]
	s_nop 1
	v_cndmask_b32_e64 v8, v8, v9, s[16:17]
	v_cndmask_b32_e64 v12, v13, v12, s[16:17]
	v_cmp_ge_i32_e64 s[16:17], v12, v8
	s_or_b64 s[20:21], s[16:17], s[20:21]
	s_andn2_b64 exec, exec, s[20:21]
	s_cbranch_execnz .LBB155_76
; %bb.77:                               ;   in Loop: Header=BB155_2 Depth=1
	s_or_b64 exec, exec, s[20:21]
.LBB155_78:                             ;   in Loop: Header=BB155_2 Depth=1
	s_or_b64 exec, exec, s[18:19]
	v_sub_u32_e32 v97, v74, v12
	v_lshl_add_u32 v14, v12, 3, v94
	v_lshlrev_b32_e32 v16, 3, v97
	ds_read_b64 v[8:9], v14
	ds_read_b64 v[10:11], v16
	v_add_u32_e32 v98, v12, v71
	v_cmp_le_i32_e64 s[18:19], v38, v98
	v_cmp_gt_i32_e64 s[16:17], v39, v97
                                        ; implicit-def: $vgpr12_vgpr13
	s_waitcnt lgkmcnt(0)
	v_cmp_lt_i64_e64 s[20:21], v[10:11], v[8:9]
	s_or_b64 s[18:19], s[18:19], s[20:21]
	s_and_b64 s[16:17], s[16:17], s[18:19]
	s_xor_b64 s[18:19], s[16:17], -1
	s_and_saveexec_b64 s[20:21], s[18:19]
	s_xor_b64 s[18:19], exec, s[20:21]
	s_cbranch_execz .LBB155_80
; %bb.79:                               ;   in Loop: Header=BB155_2 Depth=1
	ds_read_b64 v[12:13], v14 offset:8
                                        ; implicit-def: $vgpr16
.LBB155_80:                             ;   in Loop: Header=BB155_2 Depth=1
	s_or_saveexec_b64 s[18:19], s[18:19]
	v_mov_b64_e32 v[14:15], v[10:11]
	s_xor_b64 exec, exec, s[18:19]
	s_cbranch_execz .LBB155_82
; %bb.81:                               ;   in Loop: Header=BB155_2 Depth=1
	ds_read_b64 v[14:15], v16 offset:8
	s_waitcnt lgkmcnt(1)
	v_mov_b64_e32 v[12:13], v[8:9]
.LBB155_82:                             ;   in Loop: Header=BB155_2 Depth=1
	s_or_b64 exec, exec, s[18:19]
	v_add_u32_e32 v17, 1, v98
	v_add_u32_e32 v16, 1, v97
	v_cndmask_b32_e64 v100, v17, v98, s[16:17]
	v_cndmask_b32_e64 v99, v97, v16, s[16:17]
	v_cmp_ge_i32_e64 s[20:21], v100, v38
	s_waitcnt lgkmcnt(0)
	v_cmp_lt_i64_e64 s[22:23], v[14:15], v[12:13]
	v_cmp_lt_i32_e64 s[18:19], v99, v39
	s_or_b64 s[20:21], s[20:21], s[22:23]
	s_and_b64 s[18:19], s[18:19], s[20:21]
	s_xor_b64 s[20:21], s[18:19], -1
                                        ; implicit-def: $vgpr16_vgpr17
	s_and_saveexec_b64 s[22:23], s[20:21]
	s_xor_b64 s[20:21], exec, s[22:23]
	s_cbranch_execz .LBB155_84
; %bb.83:                               ;   in Loop: Header=BB155_2 Depth=1
	v_lshlrev_b32_e32 v16, 3, v100
	ds_read_b64 v[16:17], v16 offset:8
.LBB155_84:                             ;   in Loop: Header=BB155_2 Depth=1
	s_or_saveexec_b64 s[20:21], s[20:21]
	v_mov_b64_e32 v[18:19], v[14:15]
	s_xor_b64 exec, exec, s[20:21]
	s_cbranch_execz .LBB155_86
; %bb.85:                               ;   in Loop: Header=BB155_2 Depth=1
	s_waitcnt lgkmcnt(0)
	v_lshlrev_b32_e32 v16, 3, v99
	ds_read_b64 v[18:19], v16 offset:8
	v_mov_b64_e32 v[16:17], v[12:13]
.LBB155_86:                             ;   in Loop: Header=BB155_2 Depth=1
	s_or_b64 exec, exec, s[20:21]
	v_cndmask_b32_e64 v13, v13, v15, s[18:19]
	v_add_u32_e32 v15, 1, v100
	v_cndmask_b32_e64 v12, v12, v14, s[18:19]
	v_add_u32_e32 v14, 1, v99
	v_cndmask_b32_e64 v15, v15, v100, s[18:19]
	v_cndmask_b32_e64 v14, v99, v14, s[18:19]
	;; [unrolled: 1-line block ×3, first 2 shown]
	v_cmp_ge_i32_e64 s[18:19], v15, v38
	s_waitcnt lgkmcnt(0)
	v_cmp_lt_i64_e64 s[20:21], v[18:19], v[16:17]
	v_cndmask_b32_e64 v9, v9, v11, s[16:17]
	v_cndmask_b32_e64 v8, v8, v10, s[16:17]
	;; [unrolled: 1-line block ×3, first 2 shown]
	v_cmp_lt_i32_e64 s[16:17], v14, v39
	s_or_b64 s[18:19], s[18:19], s[20:21]
	s_and_b64 s[16:17], s[16:17], s[18:19]
	v_cndmask_b32_e64 v14, v15, v14, s[16:17]
	s_barrier
	ds_write2_b64 v86, v[2:3], v[6:7] offset1:1
	ds_write_b64 v86, v[4:5] offset:16
	v_lshlrev_b32_e32 v2, 3, v97
	v_lshlrev_b32_e32 v4, 3, v99
	;; [unrolled: 1-line block ×3, first 2 shown]
	s_waitcnt lgkmcnt(0)
	s_barrier
	ds_read_b64 v[2:3], v2
	ds_read_b64 v[6:7], v4
	;; [unrolled: 1-line block ×3, first 2 shown]
	v_cndmask_b32_e64 v11, v17, v19, s[16:17]
	v_cndmask_b32_e64 v10, v16, v18, s[16:17]
	s_waitcnt lgkmcnt(0)
	s_barrier
	ds_write2_b64 v86, v[8:9], v[12:13] offset1:1
	ds_write_b64 v86, v[10:11] offset:16
	v_mov_b32_e32 v12, v76
	s_waitcnt lgkmcnt(0)
	s_barrier
	s_and_saveexec_b64 s[18:19], s[12:13]
	s_cbranch_execz .LBB155_90
; %bb.87:                               ;   in Loop: Header=BB155_2 Depth=1
	s_mov_b64 s[20:21], 0
	v_mov_b32_e32 v12, v76
	v_mov_b32_e32 v8, v77
.LBB155_88:                             ;   Parent Loop BB155_2 Depth=1
                                        ; =>  This Inner Loop Header: Depth=2
	v_sub_u32_e32 v9, v8, v12
	v_lshrrev_b32_e32 v10, 31, v9
	v_add_u32_e32 v9, v9, v10
	v_ashrrev_i32_e32 v9, 1, v9
	v_add_u32_e32 v9, v9, v12
	v_lshl_add_u32 v10, v9, 3, v95
	v_xad_u32 v11, v9, -1, v40
	v_lshl_add_u32 v13, v11, 3, v47
	ds_read_b64 v[10:11], v10
	ds_read_b64 v[14:15], v13
	v_add_u32_e32 v13, 1, v9
	s_waitcnt lgkmcnt(0)
	v_cmp_lt_i64_e64 s[16:17], v[14:15], v[10:11]
	s_nop 1
	v_cndmask_b32_e64 v8, v8, v9, s[16:17]
	v_cndmask_b32_e64 v12, v13, v12, s[16:17]
	v_cmp_ge_i32_e64 s[16:17], v12, v8
	s_or_b64 s[20:21], s[16:17], s[20:21]
	s_andn2_b64 exec, exec, s[20:21]
	s_cbranch_execnz .LBB155_88
; %bb.89:                               ;   in Loop: Header=BB155_2 Depth=1
	s_or_b64 exec, exec, s[20:21]
.LBB155_90:                             ;   in Loop: Header=BB155_2 Depth=1
	s_or_b64 exec, exec, s[18:19]
	v_sub_u32_e32 v97, v78, v12
	v_lshl_add_u32 v14, v12, 3, v95
	v_lshlrev_b32_e32 v16, 3, v97
	ds_read_b64 v[8:9], v14
	ds_read_b64 v[10:11], v16
	v_add_u32_e32 v98, v12, v75
	v_cmp_le_i32_e64 s[18:19], v41, v98
	v_cmp_gt_i32_e64 s[16:17], v42, v97
                                        ; implicit-def: $vgpr12_vgpr13
	s_waitcnt lgkmcnt(0)
	v_cmp_lt_i64_e64 s[20:21], v[10:11], v[8:9]
	s_or_b64 s[18:19], s[18:19], s[20:21]
	s_and_b64 s[16:17], s[16:17], s[18:19]
	s_xor_b64 s[18:19], s[16:17], -1
	s_and_saveexec_b64 s[20:21], s[18:19]
	s_xor_b64 s[18:19], exec, s[20:21]
	s_cbranch_execz .LBB155_92
; %bb.91:                               ;   in Loop: Header=BB155_2 Depth=1
	ds_read_b64 v[12:13], v14 offset:8
                                        ; implicit-def: $vgpr16
.LBB155_92:                             ;   in Loop: Header=BB155_2 Depth=1
	s_or_saveexec_b64 s[18:19], s[18:19]
	v_mov_b64_e32 v[14:15], v[10:11]
	s_xor_b64 exec, exec, s[18:19]
	s_cbranch_execz .LBB155_94
; %bb.93:                               ;   in Loop: Header=BB155_2 Depth=1
	ds_read_b64 v[14:15], v16 offset:8
	s_waitcnt lgkmcnt(1)
	v_mov_b64_e32 v[12:13], v[8:9]
.LBB155_94:                             ;   in Loop: Header=BB155_2 Depth=1
	s_or_b64 exec, exec, s[18:19]
	v_add_u32_e32 v17, 1, v98
	v_add_u32_e32 v16, 1, v97
	v_cndmask_b32_e64 v100, v17, v98, s[16:17]
	v_cndmask_b32_e64 v99, v97, v16, s[16:17]
	v_cmp_ge_i32_e64 s[20:21], v100, v41
	s_waitcnt lgkmcnt(0)
	v_cmp_lt_i64_e64 s[22:23], v[14:15], v[12:13]
	v_cmp_lt_i32_e64 s[18:19], v99, v42
	s_or_b64 s[20:21], s[20:21], s[22:23]
	s_and_b64 s[18:19], s[18:19], s[20:21]
	s_xor_b64 s[20:21], s[18:19], -1
                                        ; implicit-def: $vgpr16_vgpr17
	s_and_saveexec_b64 s[22:23], s[20:21]
	s_xor_b64 s[20:21], exec, s[22:23]
	s_cbranch_execz .LBB155_96
; %bb.95:                               ;   in Loop: Header=BB155_2 Depth=1
	v_lshlrev_b32_e32 v16, 3, v100
	ds_read_b64 v[16:17], v16 offset:8
.LBB155_96:                             ;   in Loop: Header=BB155_2 Depth=1
	s_or_saveexec_b64 s[20:21], s[20:21]
	v_mov_b64_e32 v[18:19], v[14:15]
	s_xor_b64 exec, exec, s[20:21]
	s_cbranch_execz .LBB155_98
; %bb.97:                               ;   in Loop: Header=BB155_2 Depth=1
	s_waitcnt lgkmcnt(0)
	v_lshlrev_b32_e32 v16, 3, v99
	ds_read_b64 v[18:19], v16 offset:8
	v_mov_b64_e32 v[16:17], v[12:13]
.LBB155_98:                             ;   in Loop: Header=BB155_2 Depth=1
	s_or_b64 exec, exec, s[20:21]
	v_cndmask_b32_e64 v13, v13, v15, s[18:19]
	v_add_u32_e32 v15, 1, v100
	v_cndmask_b32_e64 v12, v12, v14, s[18:19]
	v_add_u32_e32 v14, 1, v99
	v_cndmask_b32_e64 v15, v15, v100, s[18:19]
	v_cndmask_b32_e64 v14, v99, v14, s[18:19]
	;; [unrolled: 1-line block ×3, first 2 shown]
	v_cmp_ge_i32_e64 s[18:19], v15, v41
	s_waitcnt lgkmcnt(0)
	v_cmp_lt_i64_e64 s[20:21], v[18:19], v[16:17]
	v_cndmask_b32_e64 v9, v9, v11, s[16:17]
	v_cndmask_b32_e64 v8, v8, v10, s[16:17]
	;; [unrolled: 1-line block ×3, first 2 shown]
	v_cmp_lt_i32_e64 s[16:17], v14, v42
	s_or_b64 s[18:19], s[18:19], s[20:21]
	s_and_b64 s[16:17], s[16:17], s[18:19]
	v_cndmask_b32_e64 v14, v15, v14, s[16:17]
	s_barrier
	ds_write2_b64 v86, v[2:3], v[6:7] offset1:1
	ds_write_b64 v86, v[4:5] offset:16
	v_lshlrev_b32_e32 v2, 3, v97
	v_lshlrev_b32_e32 v4, 3, v99
	;; [unrolled: 1-line block ×3, first 2 shown]
	s_waitcnt lgkmcnt(0)
	s_barrier
	ds_read_b64 v[2:3], v2
	ds_read_b64 v[6:7], v4
	;; [unrolled: 1-line block ×3, first 2 shown]
	v_mov_b32_e32 v97, v81
	v_cndmask_b32_e64 v11, v17, v19, s[16:17]
	v_cndmask_b32_e64 v10, v16, v18, s[16:17]
	s_waitcnt lgkmcnt(0)
	s_barrier
	ds_write2_b64 v86, v[8:9], v[12:13] offset1:1
	ds_write_b64 v86, v[10:11] offset:16
	s_waitcnt lgkmcnt(0)
	s_barrier
	s_and_saveexec_b64 s[18:19], s[14:15]
	s_cbranch_execz .LBB155_102
; %bb.99:                               ;   in Loop: Header=BB155_2 Depth=1
	s_mov_b64 s[20:21], 0
	v_mov_b32_e32 v97, v81
	v_mov_b32_e32 v8, v82
.LBB155_100:                            ;   Parent Loop BB155_2 Depth=1
                                        ; =>  This Inner Loop Header: Depth=2
	v_sub_u32_e32 v9, v8, v97
	v_lshrrev_b32_e32 v10, 31, v9
	v_add_u32_e32 v9, v9, v10
	v_ashrrev_i32_e32 v9, 1, v9
	v_add_u32_e32 v9, v9, v97
	v_xad_u32 v11, v9, -1, v79
	v_mov_b32_e32 v12, 0x1800
	v_lshlrev_b32_e32 v10, 3, v9
	v_lshl_add_u32 v12, v11, 3, v12
	ds_read_b64 v[10:11], v10
	ds_read_b64 v[12:13], v12
	v_add_u32_e32 v14, 1, v9
	s_waitcnt lgkmcnt(0)
	v_cmp_lt_i64_e64 s[16:17], v[12:13], v[10:11]
	s_nop 1
	v_cndmask_b32_e64 v8, v8, v9, s[16:17]
	v_cndmask_b32_e64 v97, v14, v97, s[16:17]
	v_cmp_ge_i32_e64 s[16:17], v97, v8
	s_or_b64 s[20:21], s[16:17], s[20:21]
	s_andn2_b64 exec, exec, s[20:21]
	s_cbranch_execnz .LBB155_100
; %bb.101:                              ;   in Loop: Header=BB155_2 Depth=1
	s_or_b64 exec, exec, s[20:21]
.LBB155_102:                            ;   in Loop: Header=BB155_2 Depth=1
	s_or_b64 exec, exec, s[18:19]
	v_sub_u32_e32 v98, v96, v97
	v_lshlrev_b32_e32 v12, 3, v97
	v_lshlrev_b32_e32 v16, 3, v98
	ds_read_b64 v[8:9], v12
	ds_read_b64 v[14:15], v16
	v_cmp_le_i32_e64 s[18:19], v80, v97
	v_cmp_gt_i32_e64 s[16:17], s33, v98
                                        ; implicit-def: $vgpr10_vgpr11
	s_waitcnt lgkmcnt(0)
	v_cmp_lt_i64_e64 s[20:21], v[14:15], v[8:9]
	s_or_b64 s[18:19], s[18:19], s[20:21]
	s_and_b64 s[16:17], s[16:17], s[18:19]
	s_xor_b64 s[18:19], s[16:17], -1
	s_and_saveexec_b64 s[20:21], s[18:19]
	s_xor_b64 s[18:19], exec, s[20:21]
	s_cbranch_execz .LBB155_104
; %bb.103:                              ;   in Loop: Header=BB155_2 Depth=1
	ds_read_b64 v[10:11], v12 offset:8
                                        ; implicit-def: $vgpr16
.LBB155_104:                            ;   in Loop: Header=BB155_2 Depth=1
	s_or_saveexec_b64 s[18:19], s[18:19]
	v_mov_b64_e32 v[12:13], v[14:15]
	s_xor_b64 exec, exec, s[18:19]
	s_cbranch_execz .LBB155_106
; %bb.105:                              ;   in Loop: Header=BB155_2 Depth=1
	ds_read_b64 v[12:13], v16 offset:8
	s_waitcnt lgkmcnt(1)
	v_mov_b64_e32 v[10:11], v[8:9]
.LBB155_106:                            ;   in Loop: Header=BB155_2 Depth=1
	s_or_b64 exec, exec, s[18:19]
	v_add_u32_e32 v17, 1, v97
	v_add_u32_e32 v16, 1, v98
	v_cndmask_b32_e64 v102, v17, v97, s[16:17]
	v_cndmask_b32_e64 v99, v98, v16, s[16:17]
	v_cmp_ge_i32_e64 s[20:21], v102, v80
	s_waitcnt lgkmcnt(0)
	v_cmp_lt_i64_e64 s[22:23], v[12:13], v[10:11]
	v_cmp_gt_i32_e64 s[18:19], s33, v99
	s_or_b64 s[20:21], s[20:21], s[22:23]
	s_and_b64 s[18:19], s[18:19], s[20:21]
	s_xor_b64 s[20:21], s[18:19], -1
                                        ; implicit-def: $vgpr16_vgpr17
                                        ; implicit-def: $vgpr100
	s_and_saveexec_b64 s[22:23], s[20:21]
	s_xor_b64 s[20:21], exec, s[22:23]
	s_cbranch_execz .LBB155_108
; %bb.107:                              ;   in Loop: Header=BB155_2 Depth=1
	v_lshlrev_b32_e32 v16, 3, v102
	ds_read_b64 v[16:17], v16 offset:8
	v_add_u32_e32 v100, 1, v102
.LBB155_108:                            ;   in Loop: Header=BB155_2 Depth=1
	s_or_saveexec_b64 s[20:21], s[20:21]
	v_mov_b32_e32 v101, v102
	v_mov_b64_e32 v[18:19], v[12:13]
	s_xor_b64 exec, exec, s[20:21]
	s_cbranch_execz .LBB155_1
; %bb.109:                              ;   in Loop: Header=BB155_2 Depth=1
	s_waitcnt lgkmcnt(0)
	v_lshlrev_b32_e32 v17, 3, v99
	ds_read_b64 v[18:19], v17 offset:8
	v_add_u32_e32 v16, 1, v99
	v_mov_b32_e32 v101, v99
	v_mov_b32_e32 v100, v102
	;; [unrolled: 1-line block ×3, first 2 shown]
	v_mov_b64_e32 v[16:17], v[10:11]
	s_branch .LBB155_1
.LBB155_110:
	s_add_u32 s0, s30, s34
	s_addc_u32 s1, s31, s35
	v_lshlrev_b32_e32 v0, 3, v0
	v_mov_b32_e32 v1, 0
	s_waitcnt lgkmcnt(2)
	v_lshl_add_u64 v[4:5], v[8:9], 0, v[4:5]
	v_lshl_add_u64 v[8:9], s[0:1], 0, v[0:1]
	global_store_dwordx2 v0, v[4:5], s[0:1]
	v_add_co_u32_e32 v0, vcc, 0x1000, v8
	s_waitcnt lgkmcnt(1)
	v_lshl_add_u64 v[6:7], v[10:11], 0, v[6:7]
	v_addc_co_u32_e32 v1, vcc, 0, v9, vcc
	global_store_dwordx2 v[0:1], v[6:7], off
	v_add_co_u32_e32 v0, vcc, 0x2000, v8
	s_waitcnt lgkmcnt(0)
	v_lshl_add_u64 v[2:3], v[12:13], 0, v[2:3]
	v_addc_co_u32_e32 v1, vcc, 0, v9, vcc
	global_store_dwordx2 v[0:1], v[2:3], off
	s_endpgm
	.section	.rodata,"a",@progbits
	.p2align	6, 0x0
	.amdhsa_kernel _Z17sort_pairs_kernelIxLj512ELj3EN10test_utils4lessELj10EEvPKT_PS2_T2_
		.amdhsa_group_segment_fixed_size 12296
		.amdhsa_private_segment_fixed_size 0
		.amdhsa_kernarg_size 20
		.amdhsa_user_sgpr_count 2
		.amdhsa_user_sgpr_dispatch_ptr 0
		.amdhsa_user_sgpr_queue_ptr 0
		.amdhsa_user_sgpr_kernarg_segment_ptr 1
		.amdhsa_user_sgpr_dispatch_id 0
		.amdhsa_user_sgpr_kernarg_preload_length 0
		.amdhsa_user_sgpr_kernarg_preload_offset 0
		.amdhsa_user_sgpr_private_segment_size 0
		.amdhsa_uses_dynamic_stack 0
		.amdhsa_enable_private_segment 0
		.amdhsa_system_sgpr_workgroup_id_x 1
		.amdhsa_system_sgpr_workgroup_id_y 0
		.amdhsa_system_sgpr_workgroup_id_z 0
		.amdhsa_system_sgpr_workgroup_info 0
		.amdhsa_system_vgpr_workitem_id 0
		.amdhsa_next_free_vgpr 103
		.amdhsa_next_free_sgpr 38
		.amdhsa_accum_offset 104
		.amdhsa_reserve_vcc 1
		.amdhsa_float_round_mode_32 0
		.amdhsa_float_round_mode_16_64 0
		.amdhsa_float_denorm_mode_32 3
		.amdhsa_float_denorm_mode_16_64 3
		.amdhsa_dx10_clamp 1
		.amdhsa_ieee_mode 1
		.amdhsa_fp16_overflow 0
		.amdhsa_tg_split 0
		.amdhsa_exception_fp_ieee_invalid_op 0
		.amdhsa_exception_fp_denorm_src 0
		.amdhsa_exception_fp_ieee_div_zero 0
		.amdhsa_exception_fp_ieee_overflow 0
		.amdhsa_exception_fp_ieee_underflow 0
		.amdhsa_exception_fp_ieee_inexact 0
		.amdhsa_exception_int_div_zero 0
	.end_amdhsa_kernel
	.section	.text._Z17sort_pairs_kernelIxLj512ELj3EN10test_utils4lessELj10EEvPKT_PS2_T2_,"axG",@progbits,_Z17sort_pairs_kernelIxLj512ELj3EN10test_utils4lessELj10EEvPKT_PS2_T2_,comdat
.Lfunc_end155:
	.size	_Z17sort_pairs_kernelIxLj512ELj3EN10test_utils4lessELj10EEvPKT_PS2_T2_, .Lfunc_end155-_Z17sort_pairs_kernelIxLj512ELj3EN10test_utils4lessELj10EEvPKT_PS2_T2_
                                        ; -- End function
	.section	.AMDGPU.csdata,"",@progbits
; Kernel info:
; codeLenInByte = 7248
; NumSgprs: 44
; NumVgprs: 103
; NumAgprs: 0
; TotalNumVgprs: 103
; ScratchSize: 0
; MemoryBound: 0
; FloatMode: 240
; IeeeMode: 1
; LDSByteSize: 12296 bytes/workgroup (compile time only)
; SGPRBlocks: 5
; VGPRBlocks: 12
; NumSGPRsForWavesPerEU: 44
; NumVGPRsForWavesPerEU: 103
; AccumOffset: 104
; Occupancy: 4
; WaveLimiterHint : 1
; COMPUTE_PGM_RSRC2:SCRATCH_EN: 0
; COMPUTE_PGM_RSRC2:USER_SGPR: 2
; COMPUTE_PGM_RSRC2:TRAP_HANDLER: 0
; COMPUTE_PGM_RSRC2:TGID_X_EN: 1
; COMPUTE_PGM_RSRC2:TGID_Y_EN: 0
; COMPUTE_PGM_RSRC2:TGID_Z_EN: 0
; COMPUTE_PGM_RSRC2:TIDIG_COMP_CNT: 0
; COMPUTE_PGM_RSRC3_GFX90A:ACCUM_OFFSET: 25
; COMPUTE_PGM_RSRC3_GFX90A:TG_SPLIT: 0
	.section	.text._Z16sort_keys_kernelIxLj512ELj4EN10test_utils4lessELj10EEvPKT_PS2_T2_,"axG",@progbits,_Z16sort_keys_kernelIxLj512ELj4EN10test_utils4lessELj10EEvPKT_PS2_T2_,comdat
	.protected	_Z16sort_keys_kernelIxLj512ELj4EN10test_utils4lessELj10EEvPKT_PS2_T2_ ; -- Begin function _Z16sort_keys_kernelIxLj512ELj4EN10test_utils4lessELj10EEvPKT_PS2_T2_
	.globl	_Z16sort_keys_kernelIxLj512ELj4EN10test_utils4lessELj10EEvPKT_PS2_T2_
	.p2align	8
	.type	_Z16sort_keys_kernelIxLj512ELj4EN10test_utils4lessELj10EEvPKT_PS2_T2_,@function
_Z16sort_keys_kernelIxLj512ELj4EN10test_utils4lessELj10EEvPKT_PS2_T2_: ; @_Z16sort_keys_kernelIxLj512ELj4EN10test_utils4lessELj10EEvPKT_PS2_T2_
; %bb.0:
	s_load_dwordx4 s[24:27], s[0:1], 0x0
	s_lshl_b32 s28, s2, 11
	s_mov_b32 s29, 0
	s_lshl_b64 s[30:31], s[28:29], 3
	v_mov_b32_e32 v11, 0
	s_waitcnt lgkmcnt(0)
	s_add_u32 s0, s24, s30
	s_addc_u32 s1, s25, s31
	v_lshlrev_b32_e32 v10, 3, v0
	v_lshl_add_u64 v[4:5], s[0:1], 0, v[10:11]
	s_movk_i32 s2, 0x2000
	v_add_co_u32_e32 v12, vcc, s2, v4
	s_movk_i32 s2, 0x3000
	s_nop 0
	v_addc_co_u32_e32 v13, vcc, 0, v5, vcc
	v_add_co_u32_e32 v14, vcc, s2, v4
	global_load_dwordx2 v[2:3], v[12:13], off
	s_nop 0
	v_addc_co_u32_e32 v15, vcc, 0, v5, vcc
	global_load_dwordx2 v[6:7], v[12:13], off offset:-4096
	global_load_dwordx2 v[8:9], v10, s[0:1]
	global_load_dwordx2 v[4:5], v[14:15], off
	v_lshlrev_b32_e32 v1, 2, v0
	v_and_b32_e32 v21, 0x7f8, v1
	v_or_b32_e32 v23, 4, v21
	v_add_u32_e32 v24, 8, v21
	v_and_b32_e32 v30, 0x7f0, v1
	v_and_b32_e32 v22, 4, v1
	v_sub_u32_e32 v11, v24, v23
	v_or_b32_e32 v32, 8, v30
	v_add_u32_e32 v33, 16, v30
	v_and_b32_e32 v39, 0x7e0, v1
	v_sub_u32_e32 v10, v23, v21
	v_sub_u32_e32 v12, v22, v11
	v_cmp_ge_i32_e32 vcc, v22, v11
	v_and_b32_e32 v31, 12, v1
	v_sub_u32_e32 v11, v33, v32
	v_or_b32_e32 v41, 16, v39
	v_add_u32_e32 v42, 32, v39
	v_and_b32_e32 v48, 0x7c0, v1
	v_cndmask_b32_e32 v27, 0, v12, vcc
	v_min_i32_e32 v28, v22, v10
	v_sub_u32_e32 v10, v32, v30
	v_sub_u32_e32 v12, v31, v11
	v_cmp_ge_i32_e64 s[0:1], v31, v11
	v_and_b32_e32 v40, 28, v1
	v_sub_u32_e32 v11, v42, v41
	v_or_b32_e32 v50, 32, v48
	v_add_u32_e32 v51, 64, v48
	v_and_b32_e32 v57, 0x780, v1
	v_cndmask_b32_e64 v36, 0, v12, s[0:1]
	v_min_i32_e32 v37, v31, v10
	v_sub_u32_e32 v10, v41, v39
	v_sub_u32_e32 v12, v40, v11
	v_cmp_ge_i32_e64 s[2:3], v40, v11
	v_and_b32_e32 v49, 60, v1
	v_sub_u32_e32 v11, v51, v50
	v_or_b32_e32 v59, 64, v57
	v_add_u32_e32 v60, 0x80, v57
	v_and_b32_e32 v64, 0x700, v1
	v_cndmask_b32_e64 v45, 0, v12, s[2:3]
	;; [unrolled: 10-line block ×4, first 2 shown]
	v_min_i32_e32 v63, v58, v10
	v_sub_u32_e32 v10, v66, v64
	v_sub_u32_e32 v12, v65, v11
	v_cmp_ge_i32_e64 s[8:9], v65, v11
	v_and_b32_e32 v71, 0x1fc, v1
	v_sub_u32_e32 v11, v73, v72
	v_or_b32_e32 v79, 0x200, v77
	v_add_u32_e32 v80, 0x400, v77
	v_cndmask_b32_e64 v68, 0, v12, s[8:9]
	v_min_i32_e32 v69, v65, v10
	v_sub_u32_e32 v10, v72, v70
	v_sub_u32_e32 v12, v71, v11
	v_cmp_ge_i32_e64 s[10:11], v71, v11
	v_and_b32_e32 v78, 0x3fc, v1
	v_sub_u32_e32 v11, v80, v79
	v_cndmask_b32_e64 v74, 0, v12, s[10:11]
	v_min_i32_e32 v75, v71, v10
	v_mov_b32_e32 v76, 0x400
	v_sub_u32_e32 v10, v79, v77
	v_sub_u32_e32 v12, v78, v11
	v_cmp_ge_i32_e64 s[12:13], v78, v11
	v_min_i32_e32 v82, v78, v10
	v_sub_u32_e64 v83, v1, v76 clamp
	v_cndmask_b32_e64 v81, 0, v12, s[12:13]
	v_min_i32_e32 v84, 0x400, v1
	v_lshlrev_b32_e32 v20, 5, v0
	v_lshlrev_b32_e32 v25, 3, v21
	;; [unrolled: 1-line block ×3, first 2 shown]
	v_cmp_lt_i32_e32 vcc, v27, v28
	v_add_u32_e32 v29, v23, v22
	v_lshlrev_b32_e32 v34, 3, v30
	v_lshlrev_b32_e32 v35, 3, v32
	v_cmp_lt_i32_e64 s[0:1], v36, v37
	v_add_u32_e32 v38, v32, v31
	v_lshlrev_b32_e32 v43, 3, v39
	v_lshlrev_b32_e32 v44, 3, v41
	v_cmp_lt_i32_e64 s[2:3], v45, v46
	;; [unrolled: 4-line block ×3, first 2 shown]
	v_add_u32_e32 v56, v50, v49
	v_lshlrev_b32_e32 v61, 3, v57
	v_cmp_lt_i32_e64 s[6:7], v62, v63
	v_cmp_lt_i32_e64 s[8:9], v68, v69
	;; [unrolled: 1-line block ×5, first 2 shown]
	s_movk_i32 s28, 0x800
	v_lshlrev_b32_e32 v85, 3, v59
	v_add_u32_e32 v86, v59, v58
	v_lshlrev_b32_e32 v87, 3, v64
	v_lshlrev_b32_e32 v88, 3, v66
	v_add_u32_e32 v89, v66, v65
	v_lshlrev_b32_e32 v90, 3, v70
	;; [unrolled: 3-line block ×3, first 2 shown]
	v_lshlrev_b32_e32 v94, 3, v79
	v_add_u32_e32 v95, v79, v78
	v_mov_b32_e32 v96, 0x2000
	v_add_u32_e32 v97, 0x400, v1
	s_branch .LBB156_2
.LBB156_1:                              ;   in Loop: Header=BB156_2 Depth=1
	s_or_b64 exec, exec, s[22:23]
	v_cndmask_b32_e64 v9, v3, v5, s[16:17]
	v_cndmask_b32_e64 v8, v2, v4, s[16:17]
	;; [unrolled: 1-line block ×6, first 2 shown]
	v_cmp_ge_i32_e64 s[18:19], v99, v76
	s_waitcnt lgkmcnt(0)
	v_cmp_lt_i64_e64 s[20:21], v[18:19], v[16:17]
	v_cmp_gt_i32_e64 s[16:17], s28, v98
	s_or_b64 s[18:19], s[18:19], s[20:21]
	s_and_b64 s[16:17], s[16:17], s[18:19]
	s_add_i32 s29, s29, 1
	v_cndmask_b32_e64 v5, v17, v19, s[16:17]
	s_cmp_eq_u32 s29, 10
	v_cndmask_b32_e64 v4, v16, v18, s[16:17]
	s_cbranch_scc1 .LBB156_146
.LBB156_2:                              ; =>This Loop Header: Depth=1
                                        ;     Child Loop BB156_4 Depth 2
                                        ;     Child Loop BB156_20 Depth 2
	;; [unrolled: 1-line block ×9, first 2 shown]
	s_waitcnt vmcnt(1)
	v_cmp_lt_i64_e64 s[16:17], v[6:7], v[8:9]
	s_barrier
	s_nop 0
	v_cndmask_b32_e64 v11, v9, v7, s[16:17]
	v_cndmask_b32_e64 v10, v8, v6, s[16:17]
	;; [unrolled: 1-line block ×4, first 2 shown]
	v_cmp_gt_i64_e64 s[16:17], v[6:7], v[8:9]
	s_nop 1
	v_cndmask_b32_e64 v7, v9, v7, s[16:17]
	v_cndmask_b32_e64 v6, v8, v6, s[16:17]
	s_waitcnt vmcnt(0)
	v_cmp_lt_i64_e64 s[16:17], v[4:5], v[2:3]
	s_nop 1
	v_cndmask_b32_e64 v9, v3, v5, s[16:17]
	v_cndmask_b32_e64 v8, v2, v4, s[16:17]
	;; [unrolled: 1-line block ×4, first 2 shown]
	v_cmp_gt_i64_e64 s[16:17], v[4:5], v[2:3]
	v_cmp_gt_i64_e64 s[18:19], v[8:9], v[6:7]
	s_nop 0
	v_cndmask_b32_e64 v3, v3, v5, s[16:17]
	v_cndmask_b32_e64 v2, v2, v4, s[16:17]
	v_cmp_lt_i64_e64 s[16:17], v[8:9], v[6:7]
	v_cndmask_b32_e64 v18, v6, v8, s[18:19]
	v_cndmask_b32_e64 v19, v7, v9, s[18:19]
	;; [unrolled: 1-line block ×8, first 2 shown]
	v_cmp_lt_i64_e64 s[16:17], v[8:9], v[10:11]
	s_nop 1
	v_cndmask_b32_e64 v5, v11, v99, s[16:17]
	v_cndmask_b32_e64 v4, v10, v98, s[16:17]
	;; [unrolled: 1-line block ×6, first 2 shown]
	v_cmp_gt_i64_e64 s[16:17], v[6:7], v[2:3]
	s_nop 1
	v_cndmask_b32_e64 v10, v17, v2, s[16:17]
	v_cndmask_b32_e64 v11, v16, v3, s[16:17]
	;; [unrolled: 1-line block ×6, first 2 shown]
	v_cmp_lt_i64_e64 s[16:17], v[2:3], v[8:9]
	s_nop 1
	v_cndmask_b32_e64 v3, v13, v3, s[16:17]
	v_cndmask_b32_e64 v2, v12, v2, s[16:17]
	;; [unrolled: 1-line block ×4, first 2 shown]
	ds_write2_b64 v20, v[4:5], v[2:3] offset1:1
	ds_write2_b64 v20, v[8:9], v[6:7] offset0:2 offset1:3
	v_mov_b32_e32 v6, v27
	s_waitcnt lgkmcnt(0)
	s_barrier
	s_and_saveexec_b64 s[18:19], vcc
	s_cbranch_execz .LBB156_6
; %bb.3:                                ;   in Loop: Header=BB156_2 Depth=1
	s_mov_b64 s[20:21], 0
	v_mov_b32_e32 v6, v27
	v_mov_b32_e32 v2, v28
.LBB156_4:                              ;   Parent Loop BB156_2 Depth=1
                                        ; =>  This Inner Loop Header: Depth=2
	v_sub_u32_e32 v3, v2, v6
	v_lshrrev_b32_e32 v4, 31, v3
	v_add_u32_e32 v3, v3, v4
	v_ashrrev_i32_e32 v3, 1, v3
	v_add_u32_e32 v3, v3, v6
	v_lshl_add_u32 v4, v3, 3, v25
	v_xad_u32 v5, v3, -1, v22
	v_lshl_add_u32 v7, v5, 3, v26
	ds_read_b64 v[4:5], v4
	ds_read_b64 v[8:9], v7
	v_add_u32_e32 v7, 1, v3
	s_waitcnt lgkmcnt(0)
	v_cmp_lt_i64_e64 s[16:17], v[8:9], v[4:5]
	s_nop 1
	v_cndmask_b32_e64 v2, v2, v3, s[16:17]
	v_cndmask_b32_e64 v6, v7, v6, s[16:17]
	v_cmp_ge_i32_e64 s[16:17], v6, v2
	s_or_b64 s[20:21], s[16:17], s[20:21]
	s_andn2_b64 exec, exec, s[20:21]
	s_cbranch_execnz .LBB156_4
; %bb.5:                                ;   in Loop: Header=BB156_2 Depth=1
	s_or_b64 exec, exec, s[20:21]
.LBB156_6:                              ;   in Loop: Header=BB156_2 Depth=1
	s_or_b64 exec, exec, s[18:19]
	v_sub_u32_e32 v10, v29, v6
	v_lshl_add_u32 v8, v6, 3, v25
	v_lshlrev_b32_e32 v12, 3, v10
	ds_read_b64 v[2:3], v8
	ds_read_b64 v[4:5], v12
	v_add_u32_e32 v11, v6, v21
	v_cmp_le_i32_e64 s[18:19], v23, v11
	v_cmp_gt_i32_e64 s[16:17], v24, v10
                                        ; implicit-def: $vgpr6_vgpr7
	s_waitcnt lgkmcnt(0)
	v_cmp_lt_i64_e64 s[20:21], v[4:5], v[2:3]
	s_or_b64 s[18:19], s[18:19], s[20:21]
	s_and_b64 s[16:17], s[16:17], s[18:19]
	s_xor_b64 s[18:19], s[16:17], -1
	s_and_saveexec_b64 s[20:21], s[18:19]
	s_xor_b64 s[18:19], exec, s[20:21]
	s_cbranch_execz .LBB156_8
; %bb.7:                                ;   in Loop: Header=BB156_2 Depth=1
	ds_read_b64 v[6:7], v8 offset:8
                                        ; implicit-def: $vgpr12
.LBB156_8:                              ;   in Loop: Header=BB156_2 Depth=1
	s_or_saveexec_b64 s[18:19], s[18:19]
	v_mov_b64_e32 v[8:9], v[4:5]
	s_xor_b64 exec, exec, s[18:19]
	s_cbranch_execz .LBB156_10
; %bb.9:                                ;   in Loop: Header=BB156_2 Depth=1
	ds_read_b64 v[8:9], v12 offset:8
	s_waitcnt lgkmcnt(1)
	v_mov_b64_e32 v[6:7], v[2:3]
.LBB156_10:                             ;   in Loop: Header=BB156_2 Depth=1
	s_or_b64 exec, exec, s[18:19]
	v_add_u32_e32 v13, 1, v11
	v_add_u32_e32 v12, 1, v10
	v_cndmask_b32_e64 v15, v13, v11, s[16:17]
	v_cndmask_b32_e64 v14, v10, v12, s[16:17]
	v_cmp_ge_i32_e64 s[20:21], v15, v23
	s_waitcnt lgkmcnt(0)
	v_cmp_lt_i64_e64 s[22:23], v[8:9], v[6:7]
	v_cmp_lt_i32_e64 s[18:19], v14, v24
	s_or_b64 s[20:21], s[20:21], s[22:23]
	s_and_b64 s[18:19], s[18:19], s[20:21]
	s_xor_b64 s[20:21], s[18:19], -1
                                        ; implicit-def: $vgpr10_vgpr11
	s_and_saveexec_b64 s[22:23], s[20:21]
	s_xor_b64 s[20:21], exec, s[22:23]
	s_cbranch_execz .LBB156_12
; %bb.11:                               ;   in Loop: Header=BB156_2 Depth=1
	v_lshlrev_b32_e32 v10, 3, v15
	ds_read_b64 v[10:11], v10 offset:8
.LBB156_12:                             ;   in Loop: Header=BB156_2 Depth=1
	s_or_saveexec_b64 s[20:21], s[20:21]
	v_mov_b64_e32 v[12:13], v[8:9]
	s_xor_b64 exec, exec, s[20:21]
	s_cbranch_execz .LBB156_14
; %bb.13:                               ;   in Loop: Header=BB156_2 Depth=1
	s_waitcnt lgkmcnt(0)
	v_lshlrev_b32_e32 v10, 3, v14
	ds_read_b64 v[12:13], v10 offset:8
	v_mov_b64_e32 v[10:11], v[6:7]
.LBB156_14:                             ;   in Loop: Header=BB156_2 Depth=1
	s_or_b64 exec, exec, s[20:21]
	v_add_u32_e32 v17, 1, v15
	v_add_u32_e32 v16, 1, v14
	v_cndmask_b32_e64 v19, v17, v15, s[18:19]
	v_cndmask_b32_e64 v18, v14, v16, s[18:19]
	v_cmp_ge_i32_e64 s[22:23], v19, v23
	s_waitcnt lgkmcnt(0)
	v_cmp_lt_i64_e64 s[24:25], v[12:13], v[10:11]
	v_cmp_lt_i32_e64 s[20:21], v18, v24
	s_or_b64 s[22:23], s[22:23], s[24:25]
	s_and_b64 s[20:21], s[20:21], s[22:23]
	s_xor_b64 s[22:23], s[20:21], -1
                                        ; implicit-def: $vgpr14_vgpr15
	s_and_saveexec_b64 s[24:25], s[22:23]
	s_xor_b64 s[22:23], exec, s[24:25]
	s_cbranch_execz .LBB156_16
; %bb.15:                               ;   in Loop: Header=BB156_2 Depth=1
	v_lshlrev_b32_e32 v14, 3, v19
	ds_read_b64 v[14:15], v14 offset:8
.LBB156_16:                             ;   in Loop: Header=BB156_2 Depth=1
	s_or_saveexec_b64 s[22:23], s[22:23]
	v_mov_b64_e32 v[16:17], v[12:13]
	s_xor_b64 exec, exec, s[22:23]
	s_cbranch_execz .LBB156_18
; %bb.17:                               ;   in Loop: Header=BB156_2 Depth=1
	s_waitcnt lgkmcnt(0)
	v_lshlrev_b32_e32 v14, 3, v18
	ds_read_b64 v[16:17], v14 offset:8
	v_mov_b64_e32 v[14:15], v[10:11]
.LBB156_18:                             ;   in Loop: Header=BB156_2 Depth=1
	s_or_b64 exec, exec, s[22:23]
	v_cndmask_b32_e64 v11, v11, v13, s[20:21]
	v_add_u32_e32 v13, 1, v19
	v_cndmask_b32_e64 v10, v10, v12, s[20:21]
	v_add_u32_e32 v12, 1, v18
	v_cndmask_b32_e64 v13, v13, v19, s[20:21]
	v_cndmask_b32_e64 v12, v18, v12, s[20:21]
	;; [unrolled: 1-line block ×4, first 2 shown]
	v_cmp_ge_i32_e64 s[18:19], v13, v23
	s_waitcnt lgkmcnt(0)
	v_cmp_lt_i64_e64 s[20:21], v[16:17], v[14:15]
	v_cndmask_b32_e64 v3, v3, v5, s[16:17]
	v_cndmask_b32_e64 v2, v2, v4, s[16:17]
	v_cmp_lt_i32_e64 s[16:17], v12, v24
	s_or_b64 s[18:19], s[18:19], s[20:21]
	s_and_b64 s[16:17], s[16:17], s[18:19]
	v_cndmask_b32_e64 v5, v15, v17, s[16:17]
	v_cndmask_b32_e64 v4, v14, v16, s[16:17]
	s_barrier
	ds_write2_b64 v20, v[2:3], v[6:7] offset1:1
	ds_write2_b64 v20, v[10:11], v[4:5] offset0:2 offset1:3
	v_mov_b32_e32 v6, v36
	s_waitcnt lgkmcnt(0)
	s_barrier
	s_and_saveexec_b64 s[18:19], s[0:1]
	s_cbranch_execz .LBB156_22
; %bb.19:                               ;   in Loop: Header=BB156_2 Depth=1
	s_mov_b64 s[20:21], 0
	v_mov_b32_e32 v6, v36
	v_mov_b32_e32 v2, v37
.LBB156_20:                             ;   Parent Loop BB156_2 Depth=1
                                        ; =>  This Inner Loop Header: Depth=2
	v_sub_u32_e32 v3, v2, v6
	v_lshrrev_b32_e32 v4, 31, v3
	v_add_u32_e32 v3, v3, v4
	v_ashrrev_i32_e32 v3, 1, v3
	v_add_u32_e32 v3, v3, v6
	v_lshl_add_u32 v4, v3, 3, v34
	v_xad_u32 v5, v3, -1, v31
	v_lshl_add_u32 v7, v5, 3, v35
	ds_read_b64 v[4:5], v4
	ds_read_b64 v[8:9], v7
	v_add_u32_e32 v7, 1, v3
	s_waitcnt lgkmcnt(0)
	v_cmp_lt_i64_e64 s[16:17], v[8:9], v[4:5]
	s_nop 1
	v_cndmask_b32_e64 v2, v2, v3, s[16:17]
	v_cndmask_b32_e64 v6, v7, v6, s[16:17]
	v_cmp_ge_i32_e64 s[16:17], v6, v2
	s_or_b64 s[20:21], s[16:17], s[20:21]
	s_andn2_b64 exec, exec, s[20:21]
	s_cbranch_execnz .LBB156_20
; %bb.21:                               ;   in Loop: Header=BB156_2 Depth=1
	s_or_b64 exec, exec, s[20:21]
.LBB156_22:                             ;   in Loop: Header=BB156_2 Depth=1
	s_or_b64 exec, exec, s[18:19]
	v_sub_u32_e32 v10, v38, v6
	v_lshl_add_u32 v8, v6, 3, v34
	v_lshlrev_b32_e32 v12, 3, v10
	ds_read_b64 v[2:3], v8
	ds_read_b64 v[4:5], v12
	v_add_u32_e32 v11, v6, v30
	v_cmp_le_i32_e64 s[18:19], v32, v11
	v_cmp_gt_i32_e64 s[16:17], v33, v10
                                        ; implicit-def: $vgpr6_vgpr7
	s_waitcnt lgkmcnt(0)
	v_cmp_lt_i64_e64 s[20:21], v[4:5], v[2:3]
	s_or_b64 s[18:19], s[18:19], s[20:21]
	s_and_b64 s[16:17], s[16:17], s[18:19]
	s_xor_b64 s[18:19], s[16:17], -1
	s_and_saveexec_b64 s[20:21], s[18:19]
	s_xor_b64 s[18:19], exec, s[20:21]
	s_cbranch_execz .LBB156_24
; %bb.23:                               ;   in Loop: Header=BB156_2 Depth=1
	ds_read_b64 v[6:7], v8 offset:8
                                        ; implicit-def: $vgpr12
.LBB156_24:                             ;   in Loop: Header=BB156_2 Depth=1
	s_or_saveexec_b64 s[18:19], s[18:19]
	v_mov_b64_e32 v[8:9], v[4:5]
	s_xor_b64 exec, exec, s[18:19]
	s_cbranch_execz .LBB156_26
; %bb.25:                               ;   in Loop: Header=BB156_2 Depth=1
	ds_read_b64 v[8:9], v12 offset:8
	s_waitcnt lgkmcnt(1)
	v_mov_b64_e32 v[6:7], v[2:3]
.LBB156_26:                             ;   in Loop: Header=BB156_2 Depth=1
	s_or_b64 exec, exec, s[18:19]
	v_add_u32_e32 v13, 1, v11
	v_add_u32_e32 v12, 1, v10
	v_cndmask_b32_e64 v15, v13, v11, s[16:17]
	v_cndmask_b32_e64 v14, v10, v12, s[16:17]
	v_cmp_ge_i32_e64 s[20:21], v15, v32
	s_waitcnt lgkmcnt(0)
	v_cmp_lt_i64_e64 s[22:23], v[8:9], v[6:7]
	v_cmp_lt_i32_e64 s[18:19], v14, v33
	s_or_b64 s[20:21], s[20:21], s[22:23]
	s_and_b64 s[18:19], s[18:19], s[20:21]
	s_xor_b64 s[20:21], s[18:19], -1
                                        ; implicit-def: $vgpr10_vgpr11
	s_and_saveexec_b64 s[22:23], s[20:21]
	s_xor_b64 s[20:21], exec, s[22:23]
	s_cbranch_execz .LBB156_28
; %bb.27:                               ;   in Loop: Header=BB156_2 Depth=1
	v_lshlrev_b32_e32 v10, 3, v15
	ds_read_b64 v[10:11], v10 offset:8
.LBB156_28:                             ;   in Loop: Header=BB156_2 Depth=1
	s_or_saveexec_b64 s[20:21], s[20:21]
	v_mov_b64_e32 v[12:13], v[8:9]
	s_xor_b64 exec, exec, s[20:21]
	s_cbranch_execz .LBB156_30
; %bb.29:                               ;   in Loop: Header=BB156_2 Depth=1
	s_waitcnt lgkmcnt(0)
	v_lshlrev_b32_e32 v10, 3, v14
	ds_read_b64 v[12:13], v10 offset:8
	v_mov_b64_e32 v[10:11], v[6:7]
.LBB156_30:                             ;   in Loop: Header=BB156_2 Depth=1
	s_or_b64 exec, exec, s[20:21]
	v_add_u32_e32 v17, 1, v15
	v_add_u32_e32 v16, 1, v14
	v_cndmask_b32_e64 v19, v17, v15, s[18:19]
	v_cndmask_b32_e64 v18, v14, v16, s[18:19]
	v_cmp_ge_i32_e64 s[22:23], v19, v32
	s_waitcnt lgkmcnt(0)
	v_cmp_lt_i64_e64 s[24:25], v[12:13], v[10:11]
	v_cmp_lt_i32_e64 s[20:21], v18, v33
	s_or_b64 s[22:23], s[22:23], s[24:25]
	s_and_b64 s[20:21], s[20:21], s[22:23]
	s_xor_b64 s[22:23], s[20:21], -1
                                        ; implicit-def: $vgpr14_vgpr15
	s_and_saveexec_b64 s[24:25], s[22:23]
	s_xor_b64 s[22:23], exec, s[24:25]
	s_cbranch_execz .LBB156_32
; %bb.31:                               ;   in Loop: Header=BB156_2 Depth=1
	v_lshlrev_b32_e32 v14, 3, v19
	ds_read_b64 v[14:15], v14 offset:8
.LBB156_32:                             ;   in Loop: Header=BB156_2 Depth=1
	s_or_saveexec_b64 s[22:23], s[22:23]
	v_mov_b64_e32 v[16:17], v[12:13]
	s_xor_b64 exec, exec, s[22:23]
	s_cbranch_execz .LBB156_34
; %bb.33:                               ;   in Loop: Header=BB156_2 Depth=1
	s_waitcnt lgkmcnt(0)
	v_lshlrev_b32_e32 v14, 3, v18
	ds_read_b64 v[16:17], v14 offset:8
	v_mov_b64_e32 v[14:15], v[10:11]
.LBB156_34:                             ;   in Loop: Header=BB156_2 Depth=1
	s_or_b64 exec, exec, s[22:23]
	v_cndmask_b32_e64 v11, v11, v13, s[20:21]
	v_add_u32_e32 v13, 1, v19
	v_cndmask_b32_e64 v10, v10, v12, s[20:21]
	v_add_u32_e32 v12, 1, v18
	v_cndmask_b32_e64 v13, v13, v19, s[20:21]
	v_cndmask_b32_e64 v12, v18, v12, s[20:21]
	;; [unrolled: 1-line block ×4, first 2 shown]
	v_cmp_ge_i32_e64 s[18:19], v13, v32
	s_waitcnt lgkmcnt(0)
	v_cmp_lt_i64_e64 s[20:21], v[16:17], v[14:15]
	v_cndmask_b32_e64 v3, v3, v5, s[16:17]
	v_cndmask_b32_e64 v2, v2, v4, s[16:17]
	v_cmp_lt_i32_e64 s[16:17], v12, v33
	s_or_b64 s[18:19], s[18:19], s[20:21]
	s_and_b64 s[16:17], s[16:17], s[18:19]
	v_cndmask_b32_e64 v5, v15, v17, s[16:17]
	v_cndmask_b32_e64 v4, v14, v16, s[16:17]
	s_barrier
	ds_write2_b64 v20, v[2:3], v[6:7] offset1:1
	ds_write2_b64 v20, v[10:11], v[4:5] offset0:2 offset1:3
	v_mov_b32_e32 v6, v45
	s_waitcnt lgkmcnt(0)
	s_barrier
	s_and_saveexec_b64 s[18:19], s[2:3]
	s_cbranch_execz .LBB156_38
; %bb.35:                               ;   in Loop: Header=BB156_2 Depth=1
	s_mov_b64 s[20:21], 0
	v_mov_b32_e32 v6, v45
	v_mov_b32_e32 v2, v46
.LBB156_36:                             ;   Parent Loop BB156_2 Depth=1
                                        ; =>  This Inner Loop Header: Depth=2
	v_sub_u32_e32 v3, v2, v6
	v_lshrrev_b32_e32 v4, 31, v3
	v_add_u32_e32 v3, v3, v4
	v_ashrrev_i32_e32 v3, 1, v3
	v_add_u32_e32 v3, v3, v6
	v_lshl_add_u32 v4, v3, 3, v43
	v_xad_u32 v5, v3, -1, v40
	v_lshl_add_u32 v7, v5, 3, v44
	ds_read_b64 v[4:5], v4
	ds_read_b64 v[8:9], v7
	v_add_u32_e32 v7, 1, v3
	s_waitcnt lgkmcnt(0)
	v_cmp_lt_i64_e64 s[16:17], v[8:9], v[4:5]
	s_nop 1
	v_cndmask_b32_e64 v2, v2, v3, s[16:17]
	v_cndmask_b32_e64 v6, v7, v6, s[16:17]
	v_cmp_ge_i32_e64 s[16:17], v6, v2
	s_or_b64 s[20:21], s[16:17], s[20:21]
	s_andn2_b64 exec, exec, s[20:21]
	s_cbranch_execnz .LBB156_36
; %bb.37:                               ;   in Loop: Header=BB156_2 Depth=1
	s_or_b64 exec, exec, s[20:21]
.LBB156_38:                             ;   in Loop: Header=BB156_2 Depth=1
	s_or_b64 exec, exec, s[18:19]
	v_sub_u32_e32 v10, v47, v6
	v_lshl_add_u32 v8, v6, 3, v43
	v_lshlrev_b32_e32 v12, 3, v10
	ds_read_b64 v[2:3], v8
	ds_read_b64 v[4:5], v12
	v_add_u32_e32 v11, v6, v39
	v_cmp_le_i32_e64 s[18:19], v41, v11
	v_cmp_gt_i32_e64 s[16:17], v42, v10
                                        ; implicit-def: $vgpr6_vgpr7
	s_waitcnt lgkmcnt(0)
	v_cmp_lt_i64_e64 s[20:21], v[4:5], v[2:3]
	s_or_b64 s[18:19], s[18:19], s[20:21]
	s_and_b64 s[16:17], s[16:17], s[18:19]
	s_xor_b64 s[18:19], s[16:17], -1
	s_and_saveexec_b64 s[20:21], s[18:19]
	s_xor_b64 s[18:19], exec, s[20:21]
	s_cbranch_execz .LBB156_40
; %bb.39:                               ;   in Loop: Header=BB156_2 Depth=1
	ds_read_b64 v[6:7], v8 offset:8
                                        ; implicit-def: $vgpr12
.LBB156_40:                             ;   in Loop: Header=BB156_2 Depth=1
	s_or_saveexec_b64 s[18:19], s[18:19]
	v_mov_b64_e32 v[8:9], v[4:5]
	s_xor_b64 exec, exec, s[18:19]
	s_cbranch_execz .LBB156_42
; %bb.41:                               ;   in Loop: Header=BB156_2 Depth=1
	ds_read_b64 v[8:9], v12 offset:8
	s_waitcnt lgkmcnt(1)
	v_mov_b64_e32 v[6:7], v[2:3]
.LBB156_42:                             ;   in Loop: Header=BB156_2 Depth=1
	s_or_b64 exec, exec, s[18:19]
	v_add_u32_e32 v13, 1, v11
	v_add_u32_e32 v12, 1, v10
	v_cndmask_b32_e64 v15, v13, v11, s[16:17]
	v_cndmask_b32_e64 v14, v10, v12, s[16:17]
	v_cmp_ge_i32_e64 s[20:21], v15, v41
	s_waitcnt lgkmcnt(0)
	v_cmp_lt_i64_e64 s[22:23], v[8:9], v[6:7]
	v_cmp_lt_i32_e64 s[18:19], v14, v42
	s_or_b64 s[20:21], s[20:21], s[22:23]
	s_and_b64 s[18:19], s[18:19], s[20:21]
	s_xor_b64 s[20:21], s[18:19], -1
                                        ; implicit-def: $vgpr10_vgpr11
	s_and_saveexec_b64 s[22:23], s[20:21]
	s_xor_b64 s[20:21], exec, s[22:23]
	s_cbranch_execz .LBB156_44
; %bb.43:                               ;   in Loop: Header=BB156_2 Depth=1
	v_lshlrev_b32_e32 v10, 3, v15
	ds_read_b64 v[10:11], v10 offset:8
.LBB156_44:                             ;   in Loop: Header=BB156_2 Depth=1
	s_or_saveexec_b64 s[20:21], s[20:21]
	v_mov_b64_e32 v[12:13], v[8:9]
	s_xor_b64 exec, exec, s[20:21]
	s_cbranch_execz .LBB156_46
; %bb.45:                               ;   in Loop: Header=BB156_2 Depth=1
	s_waitcnt lgkmcnt(0)
	v_lshlrev_b32_e32 v10, 3, v14
	ds_read_b64 v[12:13], v10 offset:8
	v_mov_b64_e32 v[10:11], v[6:7]
.LBB156_46:                             ;   in Loop: Header=BB156_2 Depth=1
	s_or_b64 exec, exec, s[20:21]
	v_add_u32_e32 v17, 1, v15
	v_add_u32_e32 v16, 1, v14
	v_cndmask_b32_e64 v19, v17, v15, s[18:19]
	v_cndmask_b32_e64 v18, v14, v16, s[18:19]
	v_cmp_ge_i32_e64 s[22:23], v19, v41
	s_waitcnt lgkmcnt(0)
	v_cmp_lt_i64_e64 s[24:25], v[12:13], v[10:11]
	v_cmp_lt_i32_e64 s[20:21], v18, v42
	s_or_b64 s[22:23], s[22:23], s[24:25]
	s_and_b64 s[20:21], s[20:21], s[22:23]
	s_xor_b64 s[22:23], s[20:21], -1
                                        ; implicit-def: $vgpr14_vgpr15
	s_and_saveexec_b64 s[24:25], s[22:23]
	s_xor_b64 s[22:23], exec, s[24:25]
	s_cbranch_execz .LBB156_48
; %bb.47:                               ;   in Loop: Header=BB156_2 Depth=1
	v_lshlrev_b32_e32 v14, 3, v19
	ds_read_b64 v[14:15], v14 offset:8
.LBB156_48:                             ;   in Loop: Header=BB156_2 Depth=1
	s_or_saveexec_b64 s[22:23], s[22:23]
	v_mov_b64_e32 v[16:17], v[12:13]
	s_xor_b64 exec, exec, s[22:23]
	s_cbranch_execz .LBB156_50
; %bb.49:                               ;   in Loop: Header=BB156_2 Depth=1
	s_waitcnt lgkmcnt(0)
	v_lshlrev_b32_e32 v14, 3, v18
	ds_read_b64 v[16:17], v14 offset:8
	v_mov_b64_e32 v[14:15], v[10:11]
.LBB156_50:                             ;   in Loop: Header=BB156_2 Depth=1
	s_or_b64 exec, exec, s[22:23]
	v_cndmask_b32_e64 v11, v11, v13, s[20:21]
	v_add_u32_e32 v13, 1, v19
	v_cndmask_b32_e64 v10, v10, v12, s[20:21]
	v_add_u32_e32 v12, 1, v18
	v_cndmask_b32_e64 v13, v13, v19, s[20:21]
	v_cndmask_b32_e64 v12, v18, v12, s[20:21]
	;; [unrolled: 1-line block ×4, first 2 shown]
	v_cmp_ge_i32_e64 s[18:19], v13, v41
	s_waitcnt lgkmcnt(0)
	v_cmp_lt_i64_e64 s[20:21], v[16:17], v[14:15]
	v_cndmask_b32_e64 v3, v3, v5, s[16:17]
	v_cndmask_b32_e64 v2, v2, v4, s[16:17]
	v_cmp_lt_i32_e64 s[16:17], v12, v42
	s_or_b64 s[18:19], s[18:19], s[20:21]
	s_and_b64 s[16:17], s[16:17], s[18:19]
	v_cndmask_b32_e64 v5, v15, v17, s[16:17]
	v_cndmask_b32_e64 v4, v14, v16, s[16:17]
	s_barrier
	ds_write2_b64 v20, v[2:3], v[6:7] offset1:1
	ds_write2_b64 v20, v[10:11], v[4:5] offset0:2 offset1:3
	v_mov_b32_e32 v6, v54
	s_waitcnt lgkmcnt(0)
	s_barrier
	s_and_saveexec_b64 s[18:19], s[4:5]
	s_cbranch_execz .LBB156_54
; %bb.51:                               ;   in Loop: Header=BB156_2 Depth=1
	s_mov_b64 s[20:21], 0
	v_mov_b32_e32 v6, v54
	v_mov_b32_e32 v2, v55
.LBB156_52:                             ;   Parent Loop BB156_2 Depth=1
                                        ; =>  This Inner Loop Header: Depth=2
	v_sub_u32_e32 v3, v2, v6
	v_lshrrev_b32_e32 v4, 31, v3
	v_add_u32_e32 v3, v3, v4
	v_ashrrev_i32_e32 v3, 1, v3
	v_add_u32_e32 v3, v3, v6
	v_lshl_add_u32 v4, v3, 3, v52
	v_xad_u32 v5, v3, -1, v49
	v_lshl_add_u32 v7, v5, 3, v53
	ds_read_b64 v[4:5], v4
	ds_read_b64 v[8:9], v7
	v_add_u32_e32 v7, 1, v3
	s_waitcnt lgkmcnt(0)
	v_cmp_lt_i64_e64 s[16:17], v[8:9], v[4:5]
	s_nop 1
	v_cndmask_b32_e64 v2, v2, v3, s[16:17]
	v_cndmask_b32_e64 v6, v7, v6, s[16:17]
	v_cmp_ge_i32_e64 s[16:17], v6, v2
	s_or_b64 s[20:21], s[16:17], s[20:21]
	s_andn2_b64 exec, exec, s[20:21]
	s_cbranch_execnz .LBB156_52
; %bb.53:                               ;   in Loop: Header=BB156_2 Depth=1
	s_or_b64 exec, exec, s[20:21]
.LBB156_54:                             ;   in Loop: Header=BB156_2 Depth=1
	s_or_b64 exec, exec, s[18:19]
	v_sub_u32_e32 v10, v56, v6
	v_lshl_add_u32 v8, v6, 3, v52
	v_lshlrev_b32_e32 v12, 3, v10
	ds_read_b64 v[2:3], v8
	ds_read_b64 v[4:5], v12
	v_add_u32_e32 v11, v6, v48
	v_cmp_le_i32_e64 s[18:19], v50, v11
	v_cmp_gt_i32_e64 s[16:17], v51, v10
                                        ; implicit-def: $vgpr6_vgpr7
	s_waitcnt lgkmcnt(0)
	v_cmp_lt_i64_e64 s[20:21], v[4:5], v[2:3]
	s_or_b64 s[18:19], s[18:19], s[20:21]
	s_and_b64 s[16:17], s[16:17], s[18:19]
	s_xor_b64 s[18:19], s[16:17], -1
	s_and_saveexec_b64 s[20:21], s[18:19]
	s_xor_b64 s[18:19], exec, s[20:21]
	s_cbranch_execz .LBB156_56
; %bb.55:                               ;   in Loop: Header=BB156_2 Depth=1
	ds_read_b64 v[6:7], v8 offset:8
                                        ; implicit-def: $vgpr12
.LBB156_56:                             ;   in Loop: Header=BB156_2 Depth=1
	s_or_saveexec_b64 s[18:19], s[18:19]
	v_mov_b64_e32 v[8:9], v[4:5]
	s_xor_b64 exec, exec, s[18:19]
	s_cbranch_execz .LBB156_58
; %bb.57:                               ;   in Loop: Header=BB156_2 Depth=1
	ds_read_b64 v[8:9], v12 offset:8
	s_waitcnt lgkmcnt(1)
	v_mov_b64_e32 v[6:7], v[2:3]
.LBB156_58:                             ;   in Loop: Header=BB156_2 Depth=1
	s_or_b64 exec, exec, s[18:19]
	v_add_u32_e32 v13, 1, v11
	v_add_u32_e32 v12, 1, v10
	v_cndmask_b32_e64 v15, v13, v11, s[16:17]
	v_cndmask_b32_e64 v14, v10, v12, s[16:17]
	v_cmp_ge_i32_e64 s[20:21], v15, v50
	s_waitcnt lgkmcnt(0)
	v_cmp_lt_i64_e64 s[22:23], v[8:9], v[6:7]
	v_cmp_lt_i32_e64 s[18:19], v14, v51
	s_or_b64 s[20:21], s[20:21], s[22:23]
	s_and_b64 s[18:19], s[18:19], s[20:21]
	s_xor_b64 s[20:21], s[18:19], -1
                                        ; implicit-def: $vgpr10_vgpr11
	s_and_saveexec_b64 s[22:23], s[20:21]
	s_xor_b64 s[20:21], exec, s[22:23]
	s_cbranch_execz .LBB156_60
; %bb.59:                               ;   in Loop: Header=BB156_2 Depth=1
	v_lshlrev_b32_e32 v10, 3, v15
	ds_read_b64 v[10:11], v10 offset:8
.LBB156_60:                             ;   in Loop: Header=BB156_2 Depth=1
	s_or_saveexec_b64 s[20:21], s[20:21]
	v_mov_b64_e32 v[12:13], v[8:9]
	s_xor_b64 exec, exec, s[20:21]
	s_cbranch_execz .LBB156_62
; %bb.61:                               ;   in Loop: Header=BB156_2 Depth=1
	s_waitcnt lgkmcnt(0)
	v_lshlrev_b32_e32 v10, 3, v14
	ds_read_b64 v[12:13], v10 offset:8
	v_mov_b64_e32 v[10:11], v[6:7]
.LBB156_62:                             ;   in Loop: Header=BB156_2 Depth=1
	s_or_b64 exec, exec, s[20:21]
	v_add_u32_e32 v17, 1, v15
	v_add_u32_e32 v16, 1, v14
	v_cndmask_b32_e64 v19, v17, v15, s[18:19]
	v_cndmask_b32_e64 v18, v14, v16, s[18:19]
	v_cmp_ge_i32_e64 s[22:23], v19, v50
	s_waitcnt lgkmcnt(0)
	v_cmp_lt_i64_e64 s[24:25], v[12:13], v[10:11]
	v_cmp_lt_i32_e64 s[20:21], v18, v51
	s_or_b64 s[22:23], s[22:23], s[24:25]
	s_and_b64 s[20:21], s[20:21], s[22:23]
	s_xor_b64 s[22:23], s[20:21], -1
                                        ; implicit-def: $vgpr14_vgpr15
	s_and_saveexec_b64 s[24:25], s[22:23]
	s_xor_b64 s[22:23], exec, s[24:25]
	s_cbranch_execz .LBB156_64
; %bb.63:                               ;   in Loop: Header=BB156_2 Depth=1
	v_lshlrev_b32_e32 v14, 3, v19
	ds_read_b64 v[14:15], v14 offset:8
.LBB156_64:                             ;   in Loop: Header=BB156_2 Depth=1
	s_or_saveexec_b64 s[22:23], s[22:23]
	v_mov_b64_e32 v[16:17], v[12:13]
	s_xor_b64 exec, exec, s[22:23]
	s_cbranch_execz .LBB156_66
; %bb.65:                               ;   in Loop: Header=BB156_2 Depth=1
	s_waitcnt lgkmcnt(0)
	v_lshlrev_b32_e32 v14, 3, v18
	ds_read_b64 v[16:17], v14 offset:8
	v_mov_b64_e32 v[14:15], v[10:11]
.LBB156_66:                             ;   in Loop: Header=BB156_2 Depth=1
	s_or_b64 exec, exec, s[22:23]
	v_cndmask_b32_e64 v11, v11, v13, s[20:21]
	v_add_u32_e32 v13, 1, v19
	v_cndmask_b32_e64 v10, v10, v12, s[20:21]
	v_add_u32_e32 v12, 1, v18
	v_cndmask_b32_e64 v13, v13, v19, s[20:21]
	v_cndmask_b32_e64 v12, v18, v12, s[20:21]
	;; [unrolled: 1-line block ×4, first 2 shown]
	v_cmp_ge_i32_e64 s[18:19], v13, v50
	s_waitcnt lgkmcnt(0)
	v_cmp_lt_i64_e64 s[20:21], v[16:17], v[14:15]
	v_cndmask_b32_e64 v3, v3, v5, s[16:17]
	v_cndmask_b32_e64 v2, v2, v4, s[16:17]
	v_cmp_lt_i32_e64 s[16:17], v12, v51
	s_or_b64 s[18:19], s[18:19], s[20:21]
	s_and_b64 s[16:17], s[16:17], s[18:19]
	v_cndmask_b32_e64 v5, v15, v17, s[16:17]
	v_cndmask_b32_e64 v4, v14, v16, s[16:17]
	s_barrier
	ds_write2_b64 v20, v[2:3], v[6:7] offset1:1
	ds_write2_b64 v20, v[10:11], v[4:5] offset0:2 offset1:3
	v_mov_b32_e32 v6, v62
	s_waitcnt lgkmcnt(0)
	s_barrier
	s_and_saveexec_b64 s[18:19], s[6:7]
	s_cbranch_execz .LBB156_70
; %bb.67:                               ;   in Loop: Header=BB156_2 Depth=1
	s_mov_b64 s[20:21], 0
	v_mov_b32_e32 v6, v62
	v_mov_b32_e32 v2, v63
.LBB156_68:                             ;   Parent Loop BB156_2 Depth=1
                                        ; =>  This Inner Loop Header: Depth=2
	v_sub_u32_e32 v3, v2, v6
	v_lshrrev_b32_e32 v4, 31, v3
	v_add_u32_e32 v3, v3, v4
	v_ashrrev_i32_e32 v3, 1, v3
	v_add_u32_e32 v3, v3, v6
	v_lshl_add_u32 v4, v3, 3, v61
	v_xad_u32 v5, v3, -1, v58
	v_lshl_add_u32 v7, v5, 3, v85
	ds_read_b64 v[4:5], v4
	ds_read_b64 v[8:9], v7
	v_add_u32_e32 v7, 1, v3
	s_waitcnt lgkmcnt(0)
	v_cmp_lt_i64_e64 s[16:17], v[8:9], v[4:5]
	s_nop 1
	v_cndmask_b32_e64 v2, v2, v3, s[16:17]
	v_cndmask_b32_e64 v6, v7, v6, s[16:17]
	v_cmp_ge_i32_e64 s[16:17], v6, v2
	s_or_b64 s[20:21], s[16:17], s[20:21]
	s_andn2_b64 exec, exec, s[20:21]
	s_cbranch_execnz .LBB156_68
; %bb.69:                               ;   in Loop: Header=BB156_2 Depth=1
	s_or_b64 exec, exec, s[20:21]
.LBB156_70:                             ;   in Loop: Header=BB156_2 Depth=1
	s_or_b64 exec, exec, s[18:19]
	v_sub_u32_e32 v10, v86, v6
	v_lshl_add_u32 v8, v6, 3, v61
	v_lshlrev_b32_e32 v12, 3, v10
	ds_read_b64 v[2:3], v8
	ds_read_b64 v[4:5], v12
	v_add_u32_e32 v11, v6, v57
	v_cmp_le_i32_e64 s[18:19], v59, v11
	v_cmp_gt_i32_e64 s[16:17], v60, v10
                                        ; implicit-def: $vgpr6_vgpr7
	s_waitcnt lgkmcnt(0)
	v_cmp_lt_i64_e64 s[20:21], v[4:5], v[2:3]
	s_or_b64 s[18:19], s[18:19], s[20:21]
	s_and_b64 s[16:17], s[16:17], s[18:19]
	s_xor_b64 s[18:19], s[16:17], -1
	s_and_saveexec_b64 s[20:21], s[18:19]
	s_xor_b64 s[18:19], exec, s[20:21]
	s_cbranch_execz .LBB156_72
; %bb.71:                               ;   in Loop: Header=BB156_2 Depth=1
	ds_read_b64 v[6:7], v8 offset:8
                                        ; implicit-def: $vgpr12
.LBB156_72:                             ;   in Loop: Header=BB156_2 Depth=1
	s_or_saveexec_b64 s[18:19], s[18:19]
	v_mov_b64_e32 v[8:9], v[4:5]
	s_xor_b64 exec, exec, s[18:19]
	s_cbranch_execz .LBB156_74
; %bb.73:                               ;   in Loop: Header=BB156_2 Depth=1
	ds_read_b64 v[8:9], v12 offset:8
	s_waitcnt lgkmcnt(1)
	v_mov_b64_e32 v[6:7], v[2:3]
.LBB156_74:                             ;   in Loop: Header=BB156_2 Depth=1
	s_or_b64 exec, exec, s[18:19]
	v_add_u32_e32 v13, 1, v11
	v_add_u32_e32 v12, 1, v10
	v_cndmask_b32_e64 v15, v13, v11, s[16:17]
	v_cndmask_b32_e64 v14, v10, v12, s[16:17]
	v_cmp_ge_i32_e64 s[20:21], v15, v59
	s_waitcnt lgkmcnt(0)
	v_cmp_lt_i64_e64 s[22:23], v[8:9], v[6:7]
	v_cmp_lt_i32_e64 s[18:19], v14, v60
	s_or_b64 s[20:21], s[20:21], s[22:23]
	s_and_b64 s[18:19], s[18:19], s[20:21]
	s_xor_b64 s[20:21], s[18:19], -1
                                        ; implicit-def: $vgpr10_vgpr11
	s_and_saveexec_b64 s[22:23], s[20:21]
	s_xor_b64 s[20:21], exec, s[22:23]
	s_cbranch_execz .LBB156_76
; %bb.75:                               ;   in Loop: Header=BB156_2 Depth=1
	v_lshlrev_b32_e32 v10, 3, v15
	ds_read_b64 v[10:11], v10 offset:8
.LBB156_76:                             ;   in Loop: Header=BB156_2 Depth=1
	s_or_saveexec_b64 s[20:21], s[20:21]
	v_mov_b64_e32 v[12:13], v[8:9]
	s_xor_b64 exec, exec, s[20:21]
	s_cbranch_execz .LBB156_78
; %bb.77:                               ;   in Loop: Header=BB156_2 Depth=1
	s_waitcnt lgkmcnt(0)
	v_lshlrev_b32_e32 v10, 3, v14
	ds_read_b64 v[12:13], v10 offset:8
	v_mov_b64_e32 v[10:11], v[6:7]
.LBB156_78:                             ;   in Loop: Header=BB156_2 Depth=1
	s_or_b64 exec, exec, s[20:21]
	v_add_u32_e32 v17, 1, v15
	v_add_u32_e32 v16, 1, v14
	v_cndmask_b32_e64 v19, v17, v15, s[18:19]
	v_cndmask_b32_e64 v18, v14, v16, s[18:19]
	v_cmp_ge_i32_e64 s[22:23], v19, v59
	s_waitcnt lgkmcnt(0)
	v_cmp_lt_i64_e64 s[24:25], v[12:13], v[10:11]
	v_cmp_lt_i32_e64 s[20:21], v18, v60
	s_or_b64 s[22:23], s[22:23], s[24:25]
	s_and_b64 s[20:21], s[20:21], s[22:23]
	s_xor_b64 s[22:23], s[20:21], -1
                                        ; implicit-def: $vgpr14_vgpr15
	s_and_saveexec_b64 s[24:25], s[22:23]
	s_xor_b64 s[22:23], exec, s[24:25]
	s_cbranch_execz .LBB156_80
; %bb.79:                               ;   in Loop: Header=BB156_2 Depth=1
	v_lshlrev_b32_e32 v14, 3, v19
	ds_read_b64 v[14:15], v14 offset:8
.LBB156_80:                             ;   in Loop: Header=BB156_2 Depth=1
	s_or_saveexec_b64 s[22:23], s[22:23]
	v_mov_b64_e32 v[16:17], v[12:13]
	s_xor_b64 exec, exec, s[22:23]
	s_cbranch_execz .LBB156_82
; %bb.81:                               ;   in Loop: Header=BB156_2 Depth=1
	s_waitcnt lgkmcnt(0)
	v_lshlrev_b32_e32 v14, 3, v18
	ds_read_b64 v[16:17], v14 offset:8
	v_mov_b64_e32 v[14:15], v[10:11]
.LBB156_82:                             ;   in Loop: Header=BB156_2 Depth=1
	s_or_b64 exec, exec, s[22:23]
	v_cndmask_b32_e64 v11, v11, v13, s[20:21]
	v_add_u32_e32 v13, 1, v19
	v_cndmask_b32_e64 v10, v10, v12, s[20:21]
	v_add_u32_e32 v12, 1, v18
	v_cndmask_b32_e64 v13, v13, v19, s[20:21]
	v_cndmask_b32_e64 v12, v18, v12, s[20:21]
	;; [unrolled: 1-line block ×4, first 2 shown]
	v_cmp_ge_i32_e64 s[18:19], v13, v59
	s_waitcnt lgkmcnt(0)
	v_cmp_lt_i64_e64 s[20:21], v[16:17], v[14:15]
	v_cndmask_b32_e64 v3, v3, v5, s[16:17]
	v_cndmask_b32_e64 v2, v2, v4, s[16:17]
	v_cmp_lt_i32_e64 s[16:17], v12, v60
	s_or_b64 s[18:19], s[18:19], s[20:21]
	s_and_b64 s[16:17], s[16:17], s[18:19]
	v_cndmask_b32_e64 v5, v15, v17, s[16:17]
	v_cndmask_b32_e64 v4, v14, v16, s[16:17]
	s_barrier
	ds_write2_b64 v20, v[2:3], v[6:7] offset1:1
	ds_write2_b64 v20, v[10:11], v[4:5] offset0:2 offset1:3
	v_mov_b32_e32 v6, v68
	s_waitcnt lgkmcnt(0)
	s_barrier
	s_and_saveexec_b64 s[18:19], s[8:9]
	s_cbranch_execz .LBB156_86
; %bb.83:                               ;   in Loop: Header=BB156_2 Depth=1
	s_mov_b64 s[20:21], 0
	v_mov_b32_e32 v6, v68
	v_mov_b32_e32 v2, v69
.LBB156_84:                             ;   Parent Loop BB156_2 Depth=1
                                        ; =>  This Inner Loop Header: Depth=2
	v_sub_u32_e32 v3, v2, v6
	v_lshrrev_b32_e32 v4, 31, v3
	v_add_u32_e32 v3, v3, v4
	v_ashrrev_i32_e32 v3, 1, v3
	v_add_u32_e32 v3, v3, v6
	v_lshl_add_u32 v4, v3, 3, v87
	v_xad_u32 v5, v3, -1, v65
	v_lshl_add_u32 v7, v5, 3, v88
	ds_read_b64 v[4:5], v4
	ds_read_b64 v[8:9], v7
	v_add_u32_e32 v7, 1, v3
	s_waitcnt lgkmcnt(0)
	v_cmp_lt_i64_e64 s[16:17], v[8:9], v[4:5]
	s_nop 1
	v_cndmask_b32_e64 v2, v2, v3, s[16:17]
	v_cndmask_b32_e64 v6, v7, v6, s[16:17]
	v_cmp_ge_i32_e64 s[16:17], v6, v2
	s_or_b64 s[20:21], s[16:17], s[20:21]
	s_andn2_b64 exec, exec, s[20:21]
	s_cbranch_execnz .LBB156_84
; %bb.85:                               ;   in Loop: Header=BB156_2 Depth=1
	s_or_b64 exec, exec, s[20:21]
.LBB156_86:                             ;   in Loop: Header=BB156_2 Depth=1
	s_or_b64 exec, exec, s[18:19]
	v_sub_u32_e32 v10, v89, v6
	v_lshl_add_u32 v8, v6, 3, v87
	v_lshlrev_b32_e32 v12, 3, v10
	ds_read_b64 v[2:3], v8
	ds_read_b64 v[4:5], v12
	v_add_u32_e32 v11, v6, v64
	v_cmp_le_i32_e64 s[18:19], v66, v11
	v_cmp_gt_i32_e64 s[16:17], v67, v10
                                        ; implicit-def: $vgpr6_vgpr7
	s_waitcnt lgkmcnt(0)
	v_cmp_lt_i64_e64 s[20:21], v[4:5], v[2:3]
	s_or_b64 s[18:19], s[18:19], s[20:21]
	s_and_b64 s[16:17], s[16:17], s[18:19]
	s_xor_b64 s[18:19], s[16:17], -1
	s_and_saveexec_b64 s[20:21], s[18:19]
	s_xor_b64 s[18:19], exec, s[20:21]
	s_cbranch_execz .LBB156_88
; %bb.87:                               ;   in Loop: Header=BB156_2 Depth=1
	ds_read_b64 v[6:7], v8 offset:8
                                        ; implicit-def: $vgpr12
.LBB156_88:                             ;   in Loop: Header=BB156_2 Depth=1
	s_or_saveexec_b64 s[18:19], s[18:19]
	v_mov_b64_e32 v[8:9], v[4:5]
	s_xor_b64 exec, exec, s[18:19]
	s_cbranch_execz .LBB156_90
; %bb.89:                               ;   in Loop: Header=BB156_2 Depth=1
	ds_read_b64 v[8:9], v12 offset:8
	s_waitcnt lgkmcnt(1)
	v_mov_b64_e32 v[6:7], v[2:3]
.LBB156_90:                             ;   in Loop: Header=BB156_2 Depth=1
	s_or_b64 exec, exec, s[18:19]
	v_add_u32_e32 v13, 1, v11
	v_add_u32_e32 v12, 1, v10
	v_cndmask_b32_e64 v15, v13, v11, s[16:17]
	v_cndmask_b32_e64 v14, v10, v12, s[16:17]
	v_cmp_ge_i32_e64 s[20:21], v15, v66
	s_waitcnt lgkmcnt(0)
	v_cmp_lt_i64_e64 s[22:23], v[8:9], v[6:7]
	v_cmp_lt_i32_e64 s[18:19], v14, v67
	s_or_b64 s[20:21], s[20:21], s[22:23]
	s_and_b64 s[18:19], s[18:19], s[20:21]
	s_xor_b64 s[20:21], s[18:19], -1
                                        ; implicit-def: $vgpr10_vgpr11
	s_and_saveexec_b64 s[22:23], s[20:21]
	s_xor_b64 s[20:21], exec, s[22:23]
	s_cbranch_execz .LBB156_92
; %bb.91:                               ;   in Loop: Header=BB156_2 Depth=1
	v_lshlrev_b32_e32 v10, 3, v15
	ds_read_b64 v[10:11], v10 offset:8
.LBB156_92:                             ;   in Loop: Header=BB156_2 Depth=1
	s_or_saveexec_b64 s[20:21], s[20:21]
	v_mov_b64_e32 v[12:13], v[8:9]
	s_xor_b64 exec, exec, s[20:21]
	s_cbranch_execz .LBB156_94
; %bb.93:                               ;   in Loop: Header=BB156_2 Depth=1
	s_waitcnt lgkmcnt(0)
	v_lshlrev_b32_e32 v10, 3, v14
	ds_read_b64 v[12:13], v10 offset:8
	v_mov_b64_e32 v[10:11], v[6:7]
.LBB156_94:                             ;   in Loop: Header=BB156_2 Depth=1
	s_or_b64 exec, exec, s[20:21]
	v_add_u32_e32 v17, 1, v15
	v_add_u32_e32 v16, 1, v14
	v_cndmask_b32_e64 v19, v17, v15, s[18:19]
	v_cndmask_b32_e64 v18, v14, v16, s[18:19]
	v_cmp_ge_i32_e64 s[22:23], v19, v66
	s_waitcnt lgkmcnt(0)
	v_cmp_lt_i64_e64 s[24:25], v[12:13], v[10:11]
	v_cmp_lt_i32_e64 s[20:21], v18, v67
	s_or_b64 s[22:23], s[22:23], s[24:25]
	s_and_b64 s[20:21], s[20:21], s[22:23]
	s_xor_b64 s[22:23], s[20:21], -1
                                        ; implicit-def: $vgpr14_vgpr15
	s_and_saveexec_b64 s[24:25], s[22:23]
	s_xor_b64 s[22:23], exec, s[24:25]
	s_cbranch_execz .LBB156_96
; %bb.95:                               ;   in Loop: Header=BB156_2 Depth=1
	v_lshlrev_b32_e32 v14, 3, v19
	ds_read_b64 v[14:15], v14 offset:8
.LBB156_96:                             ;   in Loop: Header=BB156_2 Depth=1
	s_or_saveexec_b64 s[22:23], s[22:23]
	v_mov_b64_e32 v[16:17], v[12:13]
	s_xor_b64 exec, exec, s[22:23]
	s_cbranch_execz .LBB156_98
; %bb.97:                               ;   in Loop: Header=BB156_2 Depth=1
	s_waitcnt lgkmcnt(0)
	v_lshlrev_b32_e32 v14, 3, v18
	ds_read_b64 v[16:17], v14 offset:8
	v_mov_b64_e32 v[14:15], v[10:11]
.LBB156_98:                             ;   in Loop: Header=BB156_2 Depth=1
	s_or_b64 exec, exec, s[22:23]
	v_cndmask_b32_e64 v11, v11, v13, s[20:21]
	v_add_u32_e32 v13, 1, v19
	v_cndmask_b32_e64 v10, v10, v12, s[20:21]
	v_add_u32_e32 v12, 1, v18
	v_cndmask_b32_e64 v13, v13, v19, s[20:21]
	v_cndmask_b32_e64 v12, v18, v12, s[20:21]
	;; [unrolled: 1-line block ×4, first 2 shown]
	v_cmp_ge_i32_e64 s[18:19], v13, v66
	s_waitcnt lgkmcnt(0)
	v_cmp_lt_i64_e64 s[20:21], v[16:17], v[14:15]
	v_cndmask_b32_e64 v3, v3, v5, s[16:17]
	v_cndmask_b32_e64 v2, v2, v4, s[16:17]
	v_cmp_lt_i32_e64 s[16:17], v12, v67
	s_or_b64 s[18:19], s[18:19], s[20:21]
	s_and_b64 s[16:17], s[16:17], s[18:19]
	v_cndmask_b32_e64 v5, v15, v17, s[16:17]
	v_cndmask_b32_e64 v4, v14, v16, s[16:17]
	s_barrier
	ds_write2_b64 v20, v[2:3], v[6:7] offset1:1
	ds_write2_b64 v20, v[10:11], v[4:5] offset0:2 offset1:3
	v_mov_b32_e32 v6, v74
	s_waitcnt lgkmcnt(0)
	s_barrier
	s_and_saveexec_b64 s[18:19], s[10:11]
	s_cbranch_execz .LBB156_102
; %bb.99:                               ;   in Loop: Header=BB156_2 Depth=1
	s_mov_b64 s[20:21], 0
	v_mov_b32_e32 v6, v74
	v_mov_b32_e32 v2, v75
.LBB156_100:                            ;   Parent Loop BB156_2 Depth=1
                                        ; =>  This Inner Loop Header: Depth=2
	v_sub_u32_e32 v3, v2, v6
	v_lshrrev_b32_e32 v4, 31, v3
	v_add_u32_e32 v3, v3, v4
	v_ashrrev_i32_e32 v3, 1, v3
	v_add_u32_e32 v3, v3, v6
	v_lshl_add_u32 v4, v3, 3, v90
	v_xad_u32 v5, v3, -1, v71
	v_lshl_add_u32 v7, v5, 3, v91
	ds_read_b64 v[4:5], v4
	ds_read_b64 v[8:9], v7
	v_add_u32_e32 v7, 1, v3
	s_waitcnt lgkmcnt(0)
	v_cmp_lt_i64_e64 s[16:17], v[8:9], v[4:5]
	s_nop 1
	v_cndmask_b32_e64 v2, v2, v3, s[16:17]
	v_cndmask_b32_e64 v6, v7, v6, s[16:17]
	v_cmp_ge_i32_e64 s[16:17], v6, v2
	s_or_b64 s[20:21], s[16:17], s[20:21]
	s_andn2_b64 exec, exec, s[20:21]
	s_cbranch_execnz .LBB156_100
; %bb.101:                              ;   in Loop: Header=BB156_2 Depth=1
	s_or_b64 exec, exec, s[20:21]
.LBB156_102:                            ;   in Loop: Header=BB156_2 Depth=1
	s_or_b64 exec, exec, s[18:19]
	v_sub_u32_e32 v10, v92, v6
	v_lshl_add_u32 v8, v6, 3, v90
	v_lshlrev_b32_e32 v12, 3, v10
	ds_read_b64 v[2:3], v8
	ds_read_b64 v[4:5], v12
	v_add_u32_e32 v11, v6, v70
	v_cmp_le_i32_e64 s[18:19], v72, v11
	v_cmp_gt_i32_e64 s[16:17], v73, v10
                                        ; implicit-def: $vgpr6_vgpr7
	s_waitcnt lgkmcnt(0)
	v_cmp_lt_i64_e64 s[20:21], v[4:5], v[2:3]
	s_or_b64 s[18:19], s[18:19], s[20:21]
	s_and_b64 s[16:17], s[16:17], s[18:19]
	s_xor_b64 s[18:19], s[16:17], -1
	s_and_saveexec_b64 s[20:21], s[18:19]
	s_xor_b64 s[18:19], exec, s[20:21]
	s_cbranch_execz .LBB156_104
; %bb.103:                              ;   in Loop: Header=BB156_2 Depth=1
	ds_read_b64 v[6:7], v8 offset:8
                                        ; implicit-def: $vgpr12
.LBB156_104:                            ;   in Loop: Header=BB156_2 Depth=1
	s_or_saveexec_b64 s[18:19], s[18:19]
	v_mov_b64_e32 v[8:9], v[4:5]
	s_xor_b64 exec, exec, s[18:19]
	s_cbranch_execz .LBB156_106
; %bb.105:                              ;   in Loop: Header=BB156_2 Depth=1
	ds_read_b64 v[8:9], v12 offset:8
	s_waitcnt lgkmcnt(1)
	v_mov_b64_e32 v[6:7], v[2:3]
.LBB156_106:                            ;   in Loop: Header=BB156_2 Depth=1
	s_or_b64 exec, exec, s[18:19]
	v_add_u32_e32 v13, 1, v11
	v_add_u32_e32 v12, 1, v10
	v_cndmask_b32_e64 v15, v13, v11, s[16:17]
	v_cndmask_b32_e64 v14, v10, v12, s[16:17]
	v_cmp_ge_i32_e64 s[20:21], v15, v72
	s_waitcnt lgkmcnt(0)
	v_cmp_lt_i64_e64 s[22:23], v[8:9], v[6:7]
	v_cmp_lt_i32_e64 s[18:19], v14, v73
	s_or_b64 s[20:21], s[20:21], s[22:23]
	s_and_b64 s[18:19], s[18:19], s[20:21]
	s_xor_b64 s[20:21], s[18:19], -1
                                        ; implicit-def: $vgpr10_vgpr11
	s_and_saveexec_b64 s[22:23], s[20:21]
	s_xor_b64 s[20:21], exec, s[22:23]
	s_cbranch_execz .LBB156_108
; %bb.107:                              ;   in Loop: Header=BB156_2 Depth=1
	v_lshlrev_b32_e32 v10, 3, v15
	ds_read_b64 v[10:11], v10 offset:8
.LBB156_108:                            ;   in Loop: Header=BB156_2 Depth=1
	s_or_saveexec_b64 s[20:21], s[20:21]
	v_mov_b64_e32 v[12:13], v[8:9]
	s_xor_b64 exec, exec, s[20:21]
	s_cbranch_execz .LBB156_110
; %bb.109:                              ;   in Loop: Header=BB156_2 Depth=1
	s_waitcnt lgkmcnt(0)
	v_lshlrev_b32_e32 v10, 3, v14
	ds_read_b64 v[12:13], v10 offset:8
	v_mov_b64_e32 v[10:11], v[6:7]
.LBB156_110:                            ;   in Loop: Header=BB156_2 Depth=1
	s_or_b64 exec, exec, s[20:21]
	v_add_u32_e32 v17, 1, v15
	v_add_u32_e32 v16, 1, v14
	v_cndmask_b32_e64 v19, v17, v15, s[18:19]
	v_cndmask_b32_e64 v18, v14, v16, s[18:19]
	v_cmp_ge_i32_e64 s[22:23], v19, v72
	s_waitcnt lgkmcnt(0)
	v_cmp_lt_i64_e64 s[24:25], v[12:13], v[10:11]
	v_cmp_lt_i32_e64 s[20:21], v18, v73
	s_or_b64 s[22:23], s[22:23], s[24:25]
	s_and_b64 s[20:21], s[20:21], s[22:23]
	s_xor_b64 s[22:23], s[20:21], -1
                                        ; implicit-def: $vgpr14_vgpr15
	s_and_saveexec_b64 s[24:25], s[22:23]
	s_xor_b64 s[22:23], exec, s[24:25]
	s_cbranch_execz .LBB156_112
; %bb.111:                              ;   in Loop: Header=BB156_2 Depth=1
	v_lshlrev_b32_e32 v14, 3, v19
	ds_read_b64 v[14:15], v14 offset:8
.LBB156_112:                            ;   in Loop: Header=BB156_2 Depth=1
	s_or_saveexec_b64 s[22:23], s[22:23]
	v_mov_b64_e32 v[16:17], v[12:13]
	s_xor_b64 exec, exec, s[22:23]
	s_cbranch_execz .LBB156_114
; %bb.113:                              ;   in Loop: Header=BB156_2 Depth=1
	s_waitcnt lgkmcnt(0)
	v_lshlrev_b32_e32 v14, 3, v18
	ds_read_b64 v[16:17], v14 offset:8
	v_mov_b64_e32 v[14:15], v[10:11]
.LBB156_114:                            ;   in Loop: Header=BB156_2 Depth=1
	s_or_b64 exec, exec, s[22:23]
	v_cndmask_b32_e64 v11, v11, v13, s[20:21]
	v_add_u32_e32 v13, 1, v19
	v_cndmask_b32_e64 v10, v10, v12, s[20:21]
	v_add_u32_e32 v12, 1, v18
	v_cndmask_b32_e64 v13, v13, v19, s[20:21]
	v_cndmask_b32_e64 v12, v18, v12, s[20:21]
	;; [unrolled: 1-line block ×4, first 2 shown]
	v_cmp_ge_i32_e64 s[18:19], v13, v72
	s_waitcnt lgkmcnt(0)
	v_cmp_lt_i64_e64 s[20:21], v[16:17], v[14:15]
	v_cndmask_b32_e64 v3, v3, v5, s[16:17]
	v_cndmask_b32_e64 v2, v2, v4, s[16:17]
	v_cmp_lt_i32_e64 s[16:17], v12, v73
	s_or_b64 s[18:19], s[18:19], s[20:21]
	s_and_b64 s[16:17], s[16:17], s[18:19]
	v_cndmask_b32_e64 v5, v15, v17, s[16:17]
	v_cndmask_b32_e64 v4, v14, v16, s[16:17]
	s_barrier
	ds_write2_b64 v20, v[2:3], v[6:7] offset1:1
	ds_write2_b64 v20, v[10:11], v[4:5] offset0:2 offset1:3
	v_mov_b32_e32 v6, v81
	s_waitcnt lgkmcnt(0)
	s_barrier
	s_and_saveexec_b64 s[18:19], s[12:13]
	s_cbranch_execz .LBB156_118
; %bb.115:                              ;   in Loop: Header=BB156_2 Depth=1
	s_mov_b64 s[20:21], 0
	v_mov_b32_e32 v6, v81
	v_mov_b32_e32 v2, v82
.LBB156_116:                            ;   Parent Loop BB156_2 Depth=1
                                        ; =>  This Inner Loop Header: Depth=2
	v_sub_u32_e32 v3, v2, v6
	v_lshrrev_b32_e32 v4, 31, v3
	v_add_u32_e32 v3, v3, v4
	v_ashrrev_i32_e32 v3, 1, v3
	v_add_u32_e32 v3, v3, v6
	v_lshl_add_u32 v4, v3, 3, v93
	v_xad_u32 v5, v3, -1, v78
	v_lshl_add_u32 v7, v5, 3, v94
	ds_read_b64 v[4:5], v4
	ds_read_b64 v[8:9], v7
	v_add_u32_e32 v7, 1, v3
	s_waitcnt lgkmcnt(0)
	v_cmp_lt_i64_e64 s[16:17], v[8:9], v[4:5]
	s_nop 1
	v_cndmask_b32_e64 v2, v2, v3, s[16:17]
	v_cndmask_b32_e64 v6, v7, v6, s[16:17]
	v_cmp_ge_i32_e64 s[16:17], v6, v2
	s_or_b64 s[20:21], s[16:17], s[20:21]
	s_andn2_b64 exec, exec, s[20:21]
	s_cbranch_execnz .LBB156_116
; %bb.117:                              ;   in Loop: Header=BB156_2 Depth=1
	s_or_b64 exec, exec, s[20:21]
.LBB156_118:                            ;   in Loop: Header=BB156_2 Depth=1
	s_or_b64 exec, exec, s[18:19]
	v_sub_u32_e32 v10, v95, v6
	v_lshl_add_u32 v8, v6, 3, v93
	v_lshlrev_b32_e32 v12, 3, v10
	ds_read_b64 v[2:3], v8
	ds_read_b64 v[4:5], v12
	v_add_u32_e32 v11, v6, v77
	v_cmp_le_i32_e64 s[18:19], v79, v11
	v_cmp_gt_i32_e64 s[16:17], v80, v10
                                        ; implicit-def: $vgpr6_vgpr7
	s_waitcnt lgkmcnt(0)
	v_cmp_lt_i64_e64 s[20:21], v[4:5], v[2:3]
	s_or_b64 s[18:19], s[18:19], s[20:21]
	s_and_b64 s[16:17], s[16:17], s[18:19]
	s_xor_b64 s[18:19], s[16:17], -1
	s_and_saveexec_b64 s[20:21], s[18:19]
	s_xor_b64 s[18:19], exec, s[20:21]
	s_cbranch_execz .LBB156_120
; %bb.119:                              ;   in Loop: Header=BB156_2 Depth=1
	ds_read_b64 v[6:7], v8 offset:8
                                        ; implicit-def: $vgpr12
.LBB156_120:                            ;   in Loop: Header=BB156_2 Depth=1
	s_or_saveexec_b64 s[18:19], s[18:19]
	v_mov_b64_e32 v[8:9], v[4:5]
	s_xor_b64 exec, exec, s[18:19]
	s_cbranch_execz .LBB156_122
; %bb.121:                              ;   in Loop: Header=BB156_2 Depth=1
	ds_read_b64 v[8:9], v12 offset:8
	s_waitcnt lgkmcnt(1)
	v_mov_b64_e32 v[6:7], v[2:3]
.LBB156_122:                            ;   in Loop: Header=BB156_2 Depth=1
	s_or_b64 exec, exec, s[18:19]
	v_add_u32_e32 v13, 1, v11
	v_add_u32_e32 v12, 1, v10
	v_cndmask_b32_e64 v15, v13, v11, s[16:17]
	v_cndmask_b32_e64 v14, v10, v12, s[16:17]
	v_cmp_ge_i32_e64 s[20:21], v15, v79
	s_waitcnt lgkmcnt(0)
	v_cmp_lt_i64_e64 s[22:23], v[8:9], v[6:7]
	v_cmp_lt_i32_e64 s[18:19], v14, v80
	s_or_b64 s[20:21], s[20:21], s[22:23]
	s_and_b64 s[18:19], s[18:19], s[20:21]
	s_xor_b64 s[20:21], s[18:19], -1
                                        ; implicit-def: $vgpr10_vgpr11
	s_and_saveexec_b64 s[22:23], s[20:21]
	s_xor_b64 s[20:21], exec, s[22:23]
	s_cbranch_execz .LBB156_124
; %bb.123:                              ;   in Loop: Header=BB156_2 Depth=1
	v_lshlrev_b32_e32 v10, 3, v15
	ds_read_b64 v[10:11], v10 offset:8
.LBB156_124:                            ;   in Loop: Header=BB156_2 Depth=1
	s_or_saveexec_b64 s[20:21], s[20:21]
	v_mov_b64_e32 v[12:13], v[8:9]
	s_xor_b64 exec, exec, s[20:21]
	s_cbranch_execz .LBB156_126
; %bb.125:                              ;   in Loop: Header=BB156_2 Depth=1
	s_waitcnt lgkmcnt(0)
	v_lshlrev_b32_e32 v10, 3, v14
	ds_read_b64 v[12:13], v10 offset:8
	v_mov_b64_e32 v[10:11], v[6:7]
.LBB156_126:                            ;   in Loop: Header=BB156_2 Depth=1
	s_or_b64 exec, exec, s[20:21]
	v_add_u32_e32 v17, 1, v15
	v_add_u32_e32 v16, 1, v14
	v_cndmask_b32_e64 v19, v17, v15, s[18:19]
	v_cndmask_b32_e64 v18, v14, v16, s[18:19]
	v_cmp_ge_i32_e64 s[22:23], v19, v79
	s_waitcnt lgkmcnt(0)
	v_cmp_lt_i64_e64 s[24:25], v[12:13], v[10:11]
	v_cmp_lt_i32_e64 s[20:21], v18, v80
	s_or_b64 s[22:23], s[22:23], s[24:25]
	s_and_b64 s[20:21], s[20:21], s[22:23]
	s_xor_b64 s[22:23], s[20:21], -1
                                        ; implicit-def: $vgpr14_vgpr15
	s_and_saveexec_b64 s[24:25], s[22:23]
	s_xor_b64 s[22:23], exec, s[24:25]
	s_cbranch_execz .LBB156_128
; %bb.127:                              ;   in Loop: Header=BB156_2 Depth=1
	v_lshlrev_b32_e32 v14, 3, v19
	ds_read_b64 v[14:15], v14 offset:8
.LBB156_128:                            ;   in Loop: Header=BB156_2 Depth=1
	s_or_saveexec_b64 s[22:23], s[22:23]
	v_mov_b64_e32 v[16:17], v[12:13]
	s_xor_b64 exec, exec, s[22:23]
	s_cbranch_execz .LBB156_130
; %bb.129:                              ;   in Loop: Header=BB156_2 Depth=1
	s_waitcnt lgkmcnt(0)
	v_lshlrev_b32_e32 v14, 3, v18
	ds_read_b64 v[16:17], v14 offset:8
	v_mov_b64_e32 v[14:15], v[10:11]
.LBB156_130:                            ;   in Loop: Header=BB156_2 Depth=1
	s_or_b64 exec, exec, s[22:23]
	v_cndmask_b32_e64 v11, v11, v13, s[20:21]
	v_add_u32_e32 v13, 1, v19
	v_cndmask_b32_e64 v10, v10, v12, s[20:21]
	v_add_u32_e32 v12, 1, v18
	v_cndmask_b32_e64 v13, v13, v19, s[20:21]
	v_cndmask_b32_e64 v12, v18, v12, s[20:21]
	;; [unrolled: 1-line block ×4, first 2 shown]
	v_cmp_ge_i32_e64 s[18:19], v13, v79
	s_waitcnt lgkmcnt(0)
	v_cmp_lt_i64_e64 s[20:21], v[16:17], v[14:15]
	v_cndmask_b32_e64 v3, v3, v5, s[16:17]
	v_cndmask_b32_e64 v2, v2, v4, s[16:17]
	v_cmp_lt_i32_e64 s[16:17], v12, v80
	s_or_b64 s[18:19], s[18:19], s[20:21]
	s_and_b64 s[16:17], s[16:17], s[18:19]
	v_mov_b32_e32 v8, v83
	v_cndmask_b32_e64 v5, v15, v17, s[16:17]
	v_cndmask_b32_e64 v4, v14, v16, s[16:17]
	s_barrier
	ds_write2_b64 v20, v[2:3], v[6:7] offset1:1
	ds_write2_b64 v20, v[10:11], v[4:5] offset0:2 offset1:3
	s_waitcnt lgkmcnt(0)
	s_barrier
	s_and_saveexec_b64 s[18:19], s[14:15]
	s_cbranch_execz .LBB156_134
; %bb.131:                              ;   in Loop: Header=BB156_2 Depth=1
	s_mov_b64 s[20:21], 0
	v_mov_b32_e32 v8, v83
	v_mov_b32_e32 v2, v84
.LBB156_132:                            ;   Parent Loop BB156_2 Depth=1
                                        ; =>  This Inner Loop Header: Depth=2
	v_sub_u32_e32 v3, v2, v8
	v_lshrrev_b32_e32 v4, 31, v3
	v_add_u32_e32 v3, v3, v4
	v_ashrrev_i32_e32 v3, 1, v3
	v_add_u32_e32 v3, v3, v8
	v_xad_u32 v5, v3, -1, v1
	v_lshlrev_b32_e32 v4, 3, v3
	v_lshl_add_u32 v6, v5, 3, v96
	ds_read_b64 v[4:5], v4
	ds_read_b64 v[6:7], v6
	v_add_u32_e32 v9, 1, v3
	s_waitcnt lgkmcnt(0)
	v_cmp_lt_i64_e64 s[16:17], v[6:7], v[4:5]
	s_nop 1
	v_cndmask_b32_e64 v2, v2, v3, s[16:17]
	v_cndmask_b32_e64 v8, v9, v8, s[16:17]
	v_cmp_ge_i32_e64 s[16:17], v8, v2
	s_or_b64 s[20:21], s[16:17], s[20:21]
	s_andn2_b64 exec, exec, s[20:21]
	s_cbranch_execnz .LBB156_132
; %bb.133:                              ;   in Loop: Header=BB156_2 Depth=1
	s_or_b64 exec, exec, s[20:21]
.LBB156_134:                            ;   in Loop: Header=BB156_2 Depth=1
	s_or_b64 exec, exec, s[18:19]
	v_sub_u32_e32 v9, v97, v8
	v_lshlrev_b32_e32 v10, 3, v8
	v_lshlrev_b32_e32 v12, 3, v9
	ds_read_b64 v[2:3], v10
	ds_read_b64 v[4:5], v12
	v_cmp_le_i32_e64 s[18:19], v76, v8
	v_cmp_gt_i32_e64 s[16:17], s28, v9
                                        ; implicit-def: $vgpr6_vgpr7
	s_waitcnt lgkmcnt(0)
	v_cmp_lt_i64_e64 s[20:21], v[4:5], v[2:3]
	s_or_b64 s[18:19], s[18:19], s[20:21]
	s_and_b64 s[16:17], s[16:17], s[18:19]
	s_xor_b64 s[18:19], s[16:17], -1
	s_and_saveexec_b64 s[20:21], s[18:19]
	s_xor_b64 s[18:19], exec, s[20:21]
	s_cbranch_execz .LBB156_136
; %bb.135:                              ;   in Loop: Header=BB156_2 Depth=1
	ds_read_b64 v[6:7], v10 offset:8
                                        ; implicit-def: $vgpr12
.LBB156_136:                            ;   in Loop: Header=BB156_2 Depth=1
	s_or_saveexec_b64 s[18:19], s[18:19]
	v_mov_b64_e32 v[10:11], v[4:5]
	s_xor_b64 exec, exec, s[18:19]
	s_cbranch_execz .LBB156_138
; %bb.137:                              ;   in Loop: Header=BB156_2 Depth=1
	ds_read_b64 v[10:11], v12 offset:8
	s_waitcnt lgkmcnt(1)
	v_mov_b64_e32 v[6:7], v[2:3]
.LBB156_138:                            ;   in Loop: Header=BB156_2 Depth=1
	s_or_b64 exec, exec, s[18:19]
	v_add_u32_e32 v13, 1, v8
	v_add_u32_e32 v12, 1, v9
	v_cndmask_b32_e64 v8, v13, v8, s[16:17]
	v_cndmask_b32_e64 v9, v9, v12, s[16:17]
	v_cmp_ge_i32_e64 s[20:21], v8, v76
	s_waitcnt lgkmcnt(0)
	v_cmp_lt_i64_e64 s[22:23], v[10:11], v[6:7]
	v_cmp_gt_i32_e64 s[18:19], s28, v9
	s_or_b64 s[20:21], s[20:21], s[22:23]
	s_and_b64 s[18:19], s[18:19], s[20:21]
	s_xor_b64 s[20:21], s[18:19], -1
                                        ; implicit-def: $vgpr12_vgpr13
	s_and_saveexec_b64 s[22:23], s[20:21]
	s_xor_b64 s[20:21], exec, s[22:23]
	s_cbranch_execz .LBB156_140
; %bb.139:                              ;   in Loop: Header=BB156_2 Depth=1
	v_lshlrev_b32_e32 v12, 3, v8
	ds_read_b64 v[12:13], v12 offset:8
.LBB156_140:                            ;   in Loop: Header=BB156_2 Depth=1
	s_or_saveexec_b64 s[20:21], s[20:21]
	v_mov_b64_e32 v[14:15], v[10:11]
	s_xor_b64 exec, exec, s[20:21]
	s_cbranch_execz .LBB156_142
; %bb.141:                              ;   in Loop: Header=BB156_2 Depth=1
	s_waitcnt lgkmcnt(0)
	v_lshlrev_b32_e32 v12, 3, v9
	ds_read_b64 v[14:15], v12 offset:8
	v_mov_b64_e32 v[12:13], v[6:7]
.LBB156_142:                            ;   in Loop: Header=BB156_2 Depth=1
	s_or_b64 exec, exec, s[20:21]
	v_add_u32_e32 v17, 1, v8
	v_add_u32_e32 v16, 1, v9
	v_cndmask_b32_e64 v8, v17, v8, s[18:19]
	v_cndmask_b32_e64 v98, v9, v16, s[18:19]
	v_cmp_ge_i32_e64 s[22:23], v8, v76
	s_waitcnt lgkmcnt(0)
	v_cmp_lt_i64_e64 s[24:25], v[14:15], v[12:13]
	v_cmp_gt_i32_e64 s[20:21], s28, v98
	s_or_b64 s[22:23], s[22:23], s[24:25]
	s_and_b64 s[20:21], s[20:21], s[22:23]
	s_xor_b64 s[22:23], s[20:21], -1
                                        ; implicit-def: $vgpr16_vgpr17
                                        ; implicit-def: $vgpr99
	s_and_saveexec_b64 s[24:25], s[22:23]
	s_xor_b64 s[22:23], exec, s[24:25]
	s_cbranch_execz .LBB156_144
; %bb.143:                              ;   in Loop: Header=BB156_2 Depth=1
	v_lshlrev_b32_e32 v9, 3, v8
	ds_read_b64 v[16:17], v9 offset:8
	v_add_u32_e32 v99, 1, v8
                                        ; implicit-def: $vgpr8
.LBB156_144:                            ;   in Loop: Header=BB156_2 Depth=1
	s_or_saveexec_b64 s[22:23], s[22:23]
	v_mov_b64_e32 v[18:19], v[14:15]
	s_xor_b64 exec, exec, s[22:23]
	s_cbranch_execz .LBB156_1
; %bb.145:                              ;   in Loop: Header=BB156_2 Depth=1
	v_lshlrev_b32_e32 v9, 3, v98
	ds_read_b64 v[18:19], v9 offset:8
	v_add_u32_e32 v98, 1, v98
	v_mov_b32_e32 v99, v8
	s_waitcnt lgkmcnt(1)
	v_mov_b64_e32 v[16:17], v[12:13]
	s_branch .LBB156_1
.LBB156_146:
	s_add_u32 s0, s26, s30
	s_addc_u32 s1, s27, s31
	v_lshlrev_b32_e32 v0, 3, v0
	v_mov_b32_e32 v1, 0
	v_lshl_add_u64 v[10:11], s[0:1], 0, v[0:1]
	global_store_dwordx2 v0, v[8:9], s[0:1]
	v_add_co_u32_e32 v0, vcc, 0x1000, v10
	s_nop 1
	v_addc_co_u32_e32 v1, vcc, 0, v11, vcc
	global_store_dwordx2 v[0:1], v[6:7], off
	v_add_co_u32_e32 v0, vcc, 0x2000, v10
	s_nop 1
	v_addc_co_u32_e32 v1, vcc, 0, v11, vcc
	global_store_dwordx2 v[0:1], v[2:3], off
	;; [unrolled: 4-line block ×3, first 2 shown]
	s_endpgm
	.section	.rodata,"a",@progbits
	.p2align	6, 0x0
	.amdhsa_kernel _Z16sort_keys_kernelIxLj512ELj4EN10test_utils4lessELj10EEvPKT_PS2_T2_
		.amdhsa_group_segment_fixed_size 16392
		.amdhsa_private_segment_fixed_size 0
		.amdhsa_kernarg_size 20
		.amdhsa_user_sgpr_count 2
		.amdhsa_user_sgpr_dispatch_ptr 0
		.amdhsa_user_sgpr_queue_ptr 0
		.amdhsa_user_sgpr_kernarg_segment_ptr 1
		.amdhsa_user_sgpr_dispatch_id 0
		.amdhsa_user_sgpr_kernarg_preload_length 0
		.amdhsa_user_sgpr_kernarg_preload_offset 0
		.amdhsa_user_sgpr_private_segment_size 0
		.amdhsa_uses_dynamic_stack 0
		.amdhsa_enable_private_segment 0
		.amdhsa_system_sgpr_workgroup_id_x 1
		.amdhsa_system_sgpr_workgroup_id_y 0
		.amdhsa_system_sgpr_workgroup_id_z 0
		.amdhsa_system_sgpr_workgroup_info 0
		.amdhsa_system_vgpr_workitem_id 0
		.amdhsa_next_free_vgpr 100
		.amdhsa_next_free_sgpr 32
		.amdhsa_accum_offset 100
		.amdhsa_reserve_vcc 1
		.amdhsa_float_round_mode_32 0
		.amdhsa_float_round_mode_16_64 0
		.amdhsa_float_denorm_mode_32 3
		.amdhsa_float_denorm_mode_16_64 3
		.amdhsa_dx10_clamp 1
		.amdhsa_ieee_mode 1
		.amdhsa_fp16_overflow 0
		.amdhsa_tg_split 0
		.amdhsa_exception_fp_ieee_invalid_op 0
		.amdhsa_exception_fp_denorm_src 0
		.amdhsa_exception_fp_ieee_div_zero 0
		.amdhsa_exception_fp_ieee_overflow 0
		.amdhsa_exception_fp_ieee_underflow 0
		.amdhsa_exception_fp_ieee_inexact 0
		.amdhsa_exception_int_div_zero 0
	.end_amdhsa_kernel
	.section	.text._Z16sort_keys_kernelIxLj512ELj4EN10test_utils4lessELj10EEvPKT_PS2_T2_,"axG",@progbits,_Z16sort_keys_kernelIxLj512ELj4EN10test_utils4lessELj10EEvPKT_PS2_T2_,comdat
.Lfunc_end156:
	.size	_Z16sort_keys_kernelIxLj512ELj4EN10test_utils4lessELj10EEvPKT_PS2_T2_, .Lfunc_end156-_Z16sort_keys_kernelIxLj512ELj4EN10test_utils4lessELj10EEvPKT_PS2_T2_
                                        ; -- End function
	.section	.AMDGPU.csdata,"",@progbits
; Kernel info:
; codeLenInByte = 7472
; NumSgprs: 38
; NumVgprs: 100
; NumAgprs: 0
; TotalNumVgprs: 100
; ScratchSize: 0
; MemoryBound: 0
; FloatMode: 240
; IeeeMode: 1
; LDSByteSize: 16392 bytes/workgroup (compile time only)
; SGPRBlocks: 4
; VGPRBlocks: 12
; NumSGPRsForWavesPerEU: 38
; NumVGPRsForWavesPerEU: 100
; AccumOffset: 100
; Occupancy: 4
; WaveLimiterHint : 1
; COMPUTE_PGM_RSRC2:SCRATCH_EN: 0
; COMPUTE_PGM_RSRC2:USER_SGPR: 2
; COMPUTE_PGM_RSRC2:TRAP_HANDLER: 0
; COMPUTE_PGM_RSRC2:TGID_X_EN: 1
; COMPUTE_PGM_RSRC2:TGID_Y_EN: 0
; COMPUTE_PGM_RSRC2:TGID_Z_EN: 0
; COMPUTE_PGM_RSRC2:TIDIG_COMP_CNT: 0
; COMPUTE_PGM_RSRC3_GFX90A:ACCUM_OFFSET: 24
; COMPUTE_PGM_RSRC3_GFX90A:TG_SPLIT: 0
	.section	.text._Z17sort_pairs_kernelIxLj512ELj4EN10test_utils4lessELj10EEvPKT_PS2_T2_,"axG",@progbits,_Z17sort_pairs_kernelIxLj512ELj4EN10test_utils4lessELj10EEvPKT_PS2_T2_,comdat
	.protected	_Z17sort_pairs_kernelIxLj512ELj4EN10test_utils4lessELj10EEvPKT_PS2_T2_ ; -- Begin function _Z17sort_pairs_kernelIxLj512ELj4EN10test_utils4lessELj10EEvPKT_PS2_T2_
	.globl	_Z17sort_pairs_kernelIxLj512ELj4EN10test_utils4lessELj10EEvPKT_PS2_T2_
	.p2align	8
	.type	_Z17sort_pairs_kernelIxLj512ELj4EN10test_utils4lessELj10EEvPKT_PS2_T2_,@function
_Z17sort_pairs_kernelIxLj512ELj4EN10test_utils4lessELj10EEvPKT_PS2_T2_: ; @_Z17sort_pairs_kernelIxLj512ELj4EN10test_utils4lessELj10EEvPKT_PS2_T2_
; %bb.0:
	s_load_dwordx4 s[40:43], s[0:1], 0x0
	s_lshl_b32 s46, s2, 11
	s_mov_b32 s47, 0
	s_lshl_b64 s[44:45], s[46:47], 3
	v_mov_b32_e32 v3, 0
	s_waitcnt lgkmcnt(0)
	s_add_u32 s0, s40, s44
	s_addc_u32 s1, s41, s45
	v_lshlrev_b32_e32 v2, 3, v0
	v_lshl_add_u64 v[4:5], s[0:1], 0, v[2:3]
	s_movk_i32 s2, 0x2000
	v_add_co_u32_e32 v6, vcc, s2, v4
	s_movk_i32 s2, 0x3000
	s_nop 0
	v_addc_co_u32_e32 v7, vcc, 0, v5, vcc
	v_add_co_u32_e32 v4, vcc, s2, v4
	global_load_dwordx2 v[10:11], v[6:7], off
	s_nop 0
	v_addc_co_u32_e32 v5, vcc, 0, v5, vcc
	global_load_dwordx2 v[14:15], v[6:7], off offset:-4096
	global_load_dwordx2 v[12:13], v2, s[0:1]
	global_load_dwordx2 v[16:17], v[4:5], off
	v_lshlrev_b32_e32 v1, 2, v0
	v_and_b32_e32 v27, 0x7f8, v1
	v_or_b32_e32 v29, 4, v27
	v_add_u32_e32 v30, 8, v27
	v_and_b32_e32 v36, 0x7f0, v1
	v_and_b32_e32 v28, 4, v1
	v_sub_u32_e32 v3, v30, v29
	v_or_b32_e32 v38, 8, v36
	v_add_u32_e32 v39, 16, v36
	v_and_b32_e32 v45, 0x7e0, v1
	v_sub_u32_e32 v2, v29, v27
	v_sub_u32_e32 v4, v28, v3
	v_cmp_ge_i32_e32 vcc, v28, v3
	v_and_b32_e32 v37, 12, v1
	v_sub_u32_e32 v3, v39, v38
	v_or_b32_e32 v47, 16, v45
	v_add_u32_e32 v48, 32, v45
	v_and_b32_e32 v54, 0x7c0, v1
	v_cndmask_b32_e32 v33, 0, v4, vcc
	v_min_i32_e32 v34, v28, v2
	v_sub_u32_e32 v2, v38, v36
	v_sub_u32_e32 v4, v37, v3
	v_cmp_ge_i32_e64 s[0:1], v37, v3
	v_and_b32_e32 v46, 28, v1
	v_sub_u32_e32 v3, v48, v47
	v_or_b32_e32 v56, 32, v54
	v_add_u32_e32 v57, 64, v54
	v_and_b32_e32 v63, 0x780, v1
	v_cndmask_b32_e64 v42, 0, v4, s[0:1]
	v_min_i32_e32 v43, v37, v2
	v_sub_u32_e32 v2, v47, v45
	v_sub_u32_e32 v4, v46, v3
	v_cmp_ge_i32_e64 s[2:3], v46, v3
	v_and_b32_e32 v55, 60, v1
	v_sub_u32_e32 v3, v57, v56
	v_or_b32_e32 v65, 64, v63
	v_add_u32_e32 v66, 0x80, v63
	v_and_b32_e32 v70, 0x700, v1
	v_cndmask_b32_e64 v51, 0, v4, s[2:3]
	;; [unrolled: 10-line block ×4, first 2 shown]
	v_min_i32_e32 v69, v64, v2
	v_sub_u32_e32 v2, v72, v70
	v_sub_u32_e32 v4, v71, v3
	v_cmp_ge_i32_e64 s[8:9], v71, v3
	v_and_b32_e32 v77, 0x1fc, v1
	v_sub_u32_e32 v3, v79, v78
	v_or_b32_e32 v85, 0x200, v83
	v_add_u32_e32 v86, 0x400, v83
	v_cndmask_b32_e64 v74, 0, v4, s[8:9]
	v_min_i32_e32 v75, v71, v2
	v_sub_u32_e32 v2, v78, v76
	v_sub_u32_e32 v4, v77, v3
	v_cmp_ge_i32_e64 s[10:11], v77, v3
	v_and_b32_e32 v84, 0x3fc, v1
	v_sub_u32_e32 v3, v86, v85
	v_cndmask_b32_e64 v80, 0, v4, s[10:11]
	v_min_i32_e32 v81, v77, v2
	v_mov_b32_e32 v82, 0x400
	v_sub_u32_e32 v2, v85, v83
	v_sub_u32_e32 v4, v84, v3
	v_cmp_ge_i32_e64 s[12:13], v84, v3
	v_min_i32_e32 v88, v84, v2
	v_sub_u32_e64 v89, v1, v82 clamp
	v_cndmask_b32_e64 v87, 0, v4, s[12:13]
	v_min_i32_e32 v90, 0x400, v1
	v_lshlrev_b32_e32 v26, 5, v0
	v_lshlrev_b32_e32 v31, 3, v27
	;; [unrolled: 1-line block ×3, first 2 shown]
	v_cmp_lt_i32_e32 vcc, v33, v34
	v_add_u32_e32 v35, v29, v28
	v_lshlrev_b32_e32 v40, 3, v36
	v_lshlrev_b32_e32 v41, 3, v38
	v_cmp_lt_i32_e64 s[0:1], v42, v43
	v_add_u32_e32 v44, v38, v37
	v_lshlrev_b32_e32 v49, 3, v45
	v_lshlrev_b32_e32 v50, 3, v47
	v_cmp_lt_i32_e64 s[2:3], v51, v52
	v_add_u32_e32 v53, v47, v46
	v_lshlrev_b32_e32 v58, 3, v54
	v_lshlrev_b32_e32 v59, 3, v56
	v_cmp_lt_i32_e64 s[4:5], v60, v61
	v_add_u32_e32 v62, v56, v55
	v_lshlrev_b32_e32 v67, 3, v63
	v_cmp_lt_i32_e64 s[6:7], v68, v69
	v_cmp_lt_i32_e64 s[8:9], v74, v75
	;; [unrolled: 1-line block ×5, first 2 shown]
	s_movk_i32 s33, 0x800
	v_lshlrev_b32_e32 v91, 3, v65
	v_add_u32_e32 v92, v65, v64
	v_lshlrev_b32_e32 v93, 3, v70
	v_lshlrev_b32_e32 v94, 3, v72
	v_add_u32_e32 v95, v72, v71
	v_lshlrev_b32_e32 v96, 3, v76
	;; [unrolled: 3-line block ×3, first 2 shown]
	v_lshlrev_b32_e32 v100, 3, v85
	v_add_u32_e32 v101, v85, v84
	v_mov_b32_e32 v102, 0x2000
	v_add_u32_e32 v103, 0x400, v1
	s_waitcnt vmcnt(1)
	v_lshl_add_u64 v[6:7], v[12:13], 0, 1
	v_lshl_add_u64 v[8:9], v[14:15], 0, 1
	v_lshl_add_u64 v[2:3], v[10:11], 0, 1
	s_waitcnt vmcnt(0)
	v_lshl_add_u64 v[4:5], v[16:17], 0, 1
	s_branch .LBB157_2
.LBB157_1:                              ;   in Loop: Header=BB157_2 Depth=1
	s_or_b64 exec, exec, s[22:23]
	v_cndmask_b32_e64 v13, v13, v15, s[16:17]
	v_cndmask_b32_e64 v12, v12, v14, s[16:17]
	;; [unrolled: 1-line block ×5, first 2 shown]
	v_cmp_ge_i32_e64 s[20:21], v110, v82
	s_waitcnt lgkmcnt(0)
	v_cmp_lt_i64_e64 s[22:23], v[24:25], v[22:23]
	v_cndmask_b32_e64 v11, v11, v19, s[18:19]
	v_cndmask_b32_e64 v19, v104, v105, s[16:17]
	v_cmp_gt_i32_e64 s[16:17], s33, v108
	s_or_b64 s[20:21], s[20:21], s[22:23]
	s_and_b64 s[16:17], s[16:17], s[20:21]
	v_cndmask_b32_e64 v20, v110, v108, s[16:17]
	s_barrier
	ds_write2_b64 v26, v[6:7], v[8:9] offset1:1
	ds_write2_b64 v26, v[2:3], v[4:5] offset0:2 offset1:3
	v_lshlrev_b32_e32 v2, 3, v19
	v_lshlrev_b32_e32 v3, 3, v16
	;; [unrolled: 1-line block ×4, first 2 shown]
	s_waitcnt lgkmcnt(0)
	s_barrier
	ds_read_b64 v[6:7], v2
	ds_read_b64 v[8:9], v3
	;; [unrolled: 1-line block ×4, first 2 shown]
	s_add_i32 s47, s47, 1
	v_cndmask_b32_e64 v17, v23, v25, s[16:17]
	v_cndmask_b32_e64 v10, v10, v18, s[18:19]
	s_cmp_eq_u32 s47, 10
	v_cndmask_b32_e64 v16, v22, v24, s[16:17]
	s_cbranch_scc1 .LBB157_146
.LBB157_2:                              ; =>This Loop Header: Depth=1
                                        ;     Child Loop BB157_4 Depth 2
                                        ;     Child Loop BB157_20 Depth 2
	;; [unrolled: 1-line block ×9, first 2 shown]
	v_cmp_lt_i64_e64 s[16:17], v[14:15], v[12:13]
	v_cmp_lt_i64_e64 s[18:19], v[16:17], v[10:11]
	s_nop 0
	v_cndmask_b32_e64 v19, v13, v15, s[16:17]
	v_cndmask_b32_e64 v18, v12, v14, s[16:17]
	;; [unrolled: 1-line block ×8, first 2 shown]
	v_cmp_lt_i64_e64 s[20:21], v[10:11], v[12:13]
	s_barrier
	s_nop 0
	v_cndmask_b32_e64 v17, v11, v13, s[20:21]
	v_cndmask_b32_e64 v16, v10, v12, s[20:21]
	;; [unrolled: 1-line block ×4, first 2 shown]
	v_cmp_lt_i64_e64 s[22:23], v[10:11], v[18:19]
	v_cmp_lt_i64_e64 s[24:25], v[14:15], v[16:17]
	s_nop 0
	v_cndmask_b32_e64 v13, v11, v19, s[22:23]
	v_cndmask_b32_e64 v12, v10, v18, s[22:23]
	;; [unrolled: 1-line block ×8, first 2 shown]
	v_cmp_lt_i64_e64 s[26:27], v[14:15], v[12:13]
	s_nop 1
	v_cndmask_b32_e64 v17, v15, v13, s[26:27]
	v_cndmask_b32_e64 v16, v14, v12, s[26:27]
	;; [unrolled: 1-line block ×4, first 2 shown]
	v_mov_b32_e32 v14, v33
	ds_write2_b64 v26, v[10:11], v[12:13] offset1:1
	ds_write2_b64 v26, v[16:17], v[18:19] offset0:2 offset1:3
	s_waitcnt lgkmcnt(0)
	s_barrier
	s_and_saveexec_b64 s[30:31], vcc
	s_cbranch_execz .LBB157_6
; %bb.3:                                ;   in Loop: Header=BB157_2 Depth=1
	s_mov_b64 s[34:35], 0
	v_mov_b32_e32 v14, v33
	v_mov_b32_e32 v10, v34
.LBB157_4:                              ;   Parent Loop BB157_2 Depth=1
                                        ; =>  This Inner Loop Header: Depth=2
	v_sub_u32_e32 v11, v10, v14
	v_lshrrev_b32_e32 v12, 31, v11
	v_add_u32_e32 v11, v11, v12
	v_ashrrev_i32_e32 v11, 1, v11
	v_add_u32_e32 v11, v11, v14
	v_lshl_add_u32 v12, v11, 3, v31
	v_xad_u32 v13, v11, -1, v28
	v_lshl_add_u32 v15, v13, 3, v32
	ds_read_b64 v[12:13], v12
	ds_read_b64 v[16:17], v15
	v_add_u32_e32 v15, 1, v11
	s_waitcnt lgkmcnt(0)
	v_cmp_lt_i64_e64 s[28:29], v[16:17], v[12:13]
	s_nop 1
	v_cndmask_b32_e64 v10, v10, v11, s[28:29]
	v_cndmask_b32_e64 v14, v15, v14, s[28:29]
	v_cmp_ge_i32_e64 s[28:29], v14, v10
	s_or_b64 s[34:35], s[28:29], s[34:35]
	s_andn2_b64 exec, exec, s[34:35]
	s_cbranch_execnz .LBB157_4
; %bb.5:                                ;   in Loop: Header=BB157_2 Depth=1
	s_or_b64 exec, exec, s[34:35]
.LBB157_6:                              ;   in Loop: Header=BB157_2 Depth=1
	s_or_b64 exec, exec, s[30:31]
	v_sub_u32_e32 v104, v35, v14
	v_lshl_add_u32 v16, v14, 3, v31
	v_lshlrev_b32_e32 v18, 3, v104
	ds_read_b64 v[10:11], v16
	ds_read_b64 v[12:13], v18
	v_add_u32_e32 v105, v14, v27
	v_cmp_le_i32_e64 s[30:31], v29, v105
	v_cmp_gt_i32_e64 s[28:29], v30, v104
                                        ; implicit-def: $vgpr14_vgpr15
	s_waitcnt lgkmcnt(0)
	v_cmp_lt_i64_e64 s[34:35], v[12:13], v[10:11]
	s_or_b64 s[30:31], s[30:31], s[34:35]
	s_and_b64 s[28:29], s[28:29], s[30:31]
	s_xor_b64 s[30:31], s[28:29], -1
	s_and_saveexec_b64 s[34:35], s[30:31]
	s_xor_b64 s[30:31], exec, s[34:35]
	s_cbranch_execz .LBB157_8
; %bb.7:                                ;   in Loop: Header=BB157_2 Depth=1
	ds_read_b64 v[14:15], v16 offset:8
                                        ; implicit-def: $vgpr18
.LBB157_8:                              ;   in Loop: Header=BB157_2 Depth=1
	s_or_saveexec_b64 s[30:31], s[30:31]
	v_mov_b64_e32 v[16:17], v[12:13]
	s_xor_b64 exec, exec, s[30:31]
	s_cbranch_execz .LBB157_10
; %bb.9:                                ;   in Loop: Header=BB157_2 Depth=1
	ds_read_b64 v[16:17], v18 offset:8
	s_waitcnt lgkmcnt(1)
	v_mov_b64_e32 v[14:15], v[10:11]
.LBB157_10:                             ;   in Loop: Header=BB157_2 Depth=1
	s_or_b64 exec, exec, s[30:31]
	v_add_u32_e32 v19, 1, v105
	v_add_u32_e32 v18, 1, v104
	v_cndmask_b32_e64 v107, v19, v105, s[28:29]
	v_cndmask_b32_e64 v106, v104, v18, s[28:29]
	v_cmp_ge_i32_e64 s[34:35], v107, v29
	s_waitcnt lgkmcnt(0)
	v_cmp_lt_i64_e64 s[36:37], v[16:17], v[14:15]
	v_cmp_lt_i32_e64 s[30:31], v106, v30
	s_or_b64 s[34:35], s[34:35], s[36:37]
	s_and_b64 s[30:31], s[30:31], s[34:35]
	s_xor_b64 s[34:35], s[30:31], -1
                                        ; implicit-def: $vgpr18_vgpr19
	s_and_saveexec_b64 s[36:37], s[34:35]
	s_xor_b64 s[34:35], exec, s[36:37]
	s_cbranch_execz .LBB157_12
; %bb.11:                               ;   in Loop: Header=BB157_2 Depth=1
	v_lshlrev_b32_e32 v18, 3, v107
	ds_read_b64 v[18:19], v18 offset:8
.LBB157_12:                             ;   in Loop: Header=BB157_2 Depth=1
	s_or_saveexec_b64 s[34:35], s[34:35]
	v_mov_b64_e32 v[22:23], v[16:17]
	s_xor_b64 exec, exec, s[34:35]
	s_cbranch_execz .LBB157_14
; %bb.13:                               ;   in Loop: Header=BB157_2 Depth=1
	s_waitcnt lgkmcnt(0)
	v_lshlrev_b32_e32 v18, 3, v106
	ds_read_b64 v[22:23], v18 offset:8
	v_mov_b64_e32 v[18:19], v[14:15]
.LBB157_14:                             ;   in Loop: Header=BB157_2 Depth=1
	s_or_b64 exec, exec, s[34:35]
	v_add_u32_e32 v21, 1, v107
	v_add_u32_e32 v20, 1, v106
	v_cndmask_b32_e64 v109, v21, v107, s[30:31]
	v_cndmask_b32_e64 v108, v106, v20, s[30:31]
	v_cmp_ge_i32_e64 s[36:37], v109, v29
	s_waitcnt lgkmcnt(0)
	v_cmp_lt_i64_e64 s[38:39], v[22:23], v[18:19]
	v_cmp_lt_i32_e64 s[34:35], v108, v30
	s_or_b64 s[36:37], s[36:37], s[38:39]
	s_and_b64 s[34:35], s[34:35], s[36:37]
	s_xor_b64 s[36:37], s[34:35], -1
                                        ; implicit-def: $vgpr20_vgpr21
	s_and_saveexec_b64 s[38:39], s[36:37]
	s_xor_b64 s[36:37], exec, s[38:39]
	s_cbranch_execz .LBB157_16
; %bb.15:                               ;   in Loop: Header=BB157_2 Depth=1
	v_lshlrev_b32_e32 v20, 3, v109
	ds_read_b64 v[20:21], v20 offset:8
.LBB157_16:                             ;   in Loop: Header=BB157_2 Depth=1
	s_or_saveexec_b64 s[36:37], s[36:37]
	v_mov_b64_e32 v[24:25], v[22:23]
	s_xor_b64 exec, exec, s[36:37]
	s_cbranch_execz .LBB157_18
; %bb.17:                               ;   in Loop: Header=BB157_2 Depth=1
	s_waitcnt lgkmcnt(0)
	v_lshlrev_b32_e32 v20, 3, v108
	ds_read_b64 v[24:25], v20 offset:8
	v_mov_b64_e32 v[20:21], v[18:19]
.LBB157_18:                             ;   in Loop: Header=BB157_2 Depth=1
	s_or_b64 exec, exec, s[36:37]
	v_cndmask_b32_e64 v19, v19, v23, s[34:35]
	v_add_u32_e32 v23, 1, v109
	v_cndmask_b32_e64 v18, v18, v22, s[34:35]
	v_add_u32_e32 v22, 1, v108
	v_cndmask_b32_e64 v23, v23, v109, s[34:35]
	v_cndmask_b32_e64 v11, v11, v13, s[28:29]
	;; [unrolled: 1-line block ×18, first 2 shown]
	v_cmp_ge_i32_e64 s[18:19], v23, v29
	s_waitcnt lgkmcnt(0)
	v_cmp_lt_i64_e64 s[20:21], v[24:25], v[20:21]
	v_cmp_lt_i32_e64 s[16:17], v22, v30
	s_or_b64 s[18:19], s[18:19], s[20:21]
	v_cndmask_b32_e64 v3, v13, v5, s[22:23]
	v_cndmask_b32_e64 v2, v12, v4, s[22:23]
	;; [unrolled: 1-line block ×8, first 2 shown]
	s_and_b64 s[16:17], s[16:17], s[18:19]
	v_cndmask_b32_e64 v108, v109, v108, s[34:35]
	v_cndmask_b32_e64 v14, v14, v16, s[30:31]
	;; [unrolled: 1-line block ×9, first 2 shown]
	s_barrier
	ds_write2_b64 v26, v[2:3], v[8:9] offset1:1
	ds_write2_b64 v26, v[6:7], v[4:5] offset0:2 offset1:3
	v_lshlrev_b32_e32 v2, 3, v17
	v_lshlrev_b32_e32 v3, 3, v16
	;; [unrolled: 1-line block ×4, first 2 shown]
	s_waitcnt lgkmcnt(0)
	s_barrier
	ds_read_b64 v[6:7], v2
	ds_read_b64 v[8:9], v3
	;; [unrolled: 1-line block ×4, first 2 shown]
	v_cndmask_b32_e64 v13, v21, v25, s[16:17]
	s_waitcnt lgkmcnt(0)
	s_barrier
	ds_write2_b64 v26, v[10:11], v[14:15] offset1:1
	ds_write2_b64 v26, v[18:19], v[12:13] offset0:2 offset1:3
	v_mov_b32_e32 v14, v42
	s_waitcnt lgkmcnt(0)
	s_barrier
	s_and_saveexec_b64 s[18:19], s[0:1]
	s_cbranch_execz .LBB157_22
; %bb.19:                               ;   in Loop: Header=BB157_2 Depth=1
	s_mov_b64 s[20:21], 0
	v_mov_b32_e32 v14, v42
	v_mov_b32_e32 v10, v43
.LBB157_20:                             ;   Parent Loop BB157_2 Depth=1
                                        ; =>  This Inner Loop Header: Depth=2
	v_sub_u32_e32 v11, v10, v14
	v_lshrrev_b32_e32 v12, 31, v11
	v_add_u32_e32 v11, v11, v12
	v_ashrrev_i32_e32 v11, 1, v11
	v_add_u32_e32 v11, v11, v14
	v_lshl_add_u32 v12, v11, 3, v40
	v_xad_u32 v13, v11, -1, v37
	v_lshl_add_u32 v15, v13, 3, v41
	ds_read_b64 v[12:13], v12
	ds_read_b64 v[16:17], v15
	v_add_u32_e32 v15, 1, v11
	s_waitcnt lgkmcnt(0)
	v_cmp_lt_i64_e64 s[16:17], v[16:17], v[12:13]
	s_nop 1
	v_cndmask_b32_e64 v10, v10, v11, s[16:17]
	v_cndmask_b32_e64 v14, v15, v14, s[16:17]
	v_cmp_ge_i32_e64 s[16:17], v14, v10
	s_or_b64 s[20:21], s[16:17], s[20:21]
	s_andn2_b64 exec, exec, s[20:21]
	s_cbranch_execnz .LBB157_20
; %bb.21:                               ;   in Loop: Header=BB157_2 Depth=1
	s_or_b64 exec, exec, s[20:21]
.LBB157_22:                             ;   in Loop: Header=BB157_2 Depth=1
	s_or_b64 exec, exec, s[18:19]
	v_sub_u32_e32 v104, v44, v14
	v_lshl_add_u32 v16, v14, 3, v40
	v_lshlrev_b32_e32 v18, 3, v104
	ds_read_b64 v[10:11], v16
	ds_read_b64 v[12:13], v18
	v_add_u32_e32 v105, v14, v36
	v_cmp_le_i32_e64 s[18:19], v38, v105
	v_cmp_gt_i32_e64 s[16:17], v39, v104
                                        ; implicit-def: $vgpr14_vgpr15
	s_waitcnt lgkmcnt(0)
	v_cmp_lt_i64_e64 s[20:21], v[12:13], v[10:11]
	s_or_b64 s[18:19], s[18:19], s[20:21]
	s_and_b64 s[16:17], s[16:17], s[18:19]
	s_xor_b64 s[18:19], s[16:17], -1
	s_and_saveexec_b64 s[20:21], s[18:19]
	s_xor_b64 s[18:19], exec, s[20:21]
	s_cbranch_execz .LBB157_24
; %bb.23:                               ;   in Loop: Header=BB157_2 Depth=1
	ds_read_b64 v[14:15], v16 offset:8
                                        ; implicit-def: $vgpr18
.LBB157_24:                             ;   in Loop: Header=BB157_2 Depth=1
	s_or_saveexec_b64 s[18:19], s[18:19]
	v_mov_b64_e32 v[16:17], v[12:13]
	s_xor_b64 exec, exec, s[18:19]
	s_cbranch_execz .LBB157_26
; %bb.25:                               ;   in Loop: Header=BB157_2 Depth=1
	ds_read_b64 v[16:17], v18 offset:8
	s_waitcnt lgkmcnt(1)
	v_mov_b64_e32 v[14:15], v[10:11]
.LBB157_26:                             ;   in Loop: Header=BB157_2 Depth=1
	s_or_b64 exec, exec, s[18:19]
	v_add_u32_e32 v19, 1, v105
	v_add_u32_e32 v18, 1, v104
	v_cndmask_b32_e64 v107, v19, v105, s[16:17]
	v_cndmask_b32_e64 v106, v104, v18, s[16:17]
	v_cmp_ge_i32_e64 s[20:21], v107, v38
	s_waitcnt lgkmcnt(0)
	v_cmp_lt_i64_e64 s[22:23], v[16:17], v[14:15]
	v_cmp_lt_i32_e64 s[18:19], v106, v39
	s_or_b64 s[20:21], s[20:21], s[22:23]
	s_and_b64 s[18:19], s[18:19], s[20:21]
	s_xor_b64 s[20:21], s[18:19], -1
                                        ; implicit-def: $vgpr18_vgpr19
	s_and_saveexec_b64 s[22:23], s[20:21]
	s_xor_b64 s[20:21], exec, s[22:23]
	s_cbranch_execz .LBB157_28
; %bb.27:                               ;   in Loop: Header=BB157_2 Depth=1
	v_lshlrev_b32_e32 v18, 3, v107
	ds_read_b64 v[18:19], v18 offset:8
.LBB157_28:                             ;   in Loop: Header=BB157_2 Depth=1
	s_or_saveexec_b64 s[20:21], s[20:21]
	v_mov_b64_e32 v[20:21], v[16:17]
	s_xor_b64 exec, exec, s[20:21]
	s_cbranch_execz .LBB157_30
; %bb.29:                               ;   in Loop: Header=BB157_2 Depth=1
	s_waitcnt lgkmcnt(0)
	v_lshlrev_b32_e32 v18, 3, v106
	ds_read_b64 v[20:21], v18 offset:8
	v_mov_b64_e32 v[18:19], v[14:15]
.LBB157_30:                             ;   in Loop: Header=BB157_2 Depth=1
	s_or_b64 exec, exec, s[20:21]
	v_add_u32_e32 v23, 1, v107
	v_add_u32_e32 v22, 1, v106
	v_cndmask_b32_e64 v109, v23, v107, s[18:19]
	v_cndmask_b32_e64 v108, v106, v22, s[18:19]
	v_cmp_ge_i32_e64 s[22:23], v109, v38
	s_waitcnt lgkmcnt(0)
	v_cmp_lt_i64_e64 s[24:25], v[20:21], v[18:19]
	v_cmp_lt_i32_e64 s[20:21], v108, v39
	s_or_b64 s[22:23], s[22:23], s[24:25]
	s_and_b64 s[20:21], s[20:21], s[22:23]
	s_xor_b64 s[22:23], s[20:21], -1
                                        ; implicit-def: $vgpr22_vgpr23
	s_and_saveexec_b64 s[24:25], s[22:23]
	s_xor_b64 s[22:23], exec, s[24:25]
	s_cbranch_execz .LBB157_32
; %bb.31:                               ;   in Loop: Header=BB157_2 Depth=1
	v_lshlrev_b32_e32 v22, 3, v109
	ds_read_b64 v[22:23], v22 offset:8
.LBB157_32:                             ;   in Loop: Header=BB157_2 Depth=1
	s_or_saveexec_b64 s[22:23], s[22:23]
	v_mov_b64_e32 v[24:25], v[20:21]
	s_xor_b64 exec, exec, s[22:23]
	s_cbranch_execz .LBB157_34
; %bb.33:                               ;   in Loop: Header=BB157_2 Depth=1
	s_waitcnt lgkmcnt(0)
	v_lshlrev_b32_e32 v22, 3, v108
	ds_read_b64 v[24:25], v22 offset:8
	v_mov_b64_e32 v[22:23], v[18:19]
.LBB157_34:                             ;   in Loop: Header=BB157_2 Depth=1
	s_or_b64 exec, exec, s[22:23]
	v_cndmask_b32_e64 v19, v19, v21, s[20:21]
	v_add_u32_e32 v21, 1, v109
	v_cndmask_b32_e64 v18, v18, v20, s[20:21]
	v_add_u32_e32 v20, 1, v108
	v_cndmask_b32_e64 v21, v21, v109, s[20:21]
	v_cndmask_b32_e64 v20, v108, v20, s[20:21]
	;; [unrolled: 1-line block ×6, first 2 shown]
	v_cmp_ge_i32_e64 s[18:19], v21, v38
	s_waitcnt lgkmcnt(0)
	v_cmp_lt_i64_e64 s[20:21], v[24:25], v[22:23]
	v_cndmask_b32_e64 v11, v11, v13, s[16:17]
	v_cndmask_b32_e64 v10, v10, v12, s[16:17]
	;; [unrolled: 1-line block ×3, first 2 shown]
	v_cmp_lt_i32_e64 s[16:17], v20, v39
	s_or_b64 s[18:19], s[18:19], s[20:21]
	s_and_b64 s[16:17], s[16:17], s[18:19]
	v_cndmask_b32_e64 v20, v21, v20, s[16:17]
	s_barrier
	ds_write2_b64 v26, v[6:7], v[8:9] offset1:1
	ds_write2_b64 v26, v[2:3], v[4:5] offset0:2 offset1:3
	v_lshlrev_b32_e32 v2, 3, v17
	v_lshlrev_b32_e32 v3, 3, v16
	;; [unrolled: 1-line block ×4, first 2 shown]
	s_waitcnt lgkmcnt(0)
	s_barrier
	ds_read_b64 v[6:7], v2
	ds_read_b64 v[8:9], v3
	;; [unrolled: 1-line block ×4, first 2 shown]
	v_cndmask_b32_e64 v13, v23, v25, s[16:17]
	v_cndmask_b32_e64 v12, v22, v24, s[16:17]
	s_waitcnt lgkmcnt(0)
	s_barrier
	ds_write2_b64 v26, v[10:11], v[14:15] offset1:1
	ds_write2_b64 v26, v[18:19], v[12:13] offset0:2 offset1:3
	v_mov_b32_e32 v14, v51
	s_waitcnt lgkmcnt(0)
	s_barrier
	s_and_saveexec_b64 s[18:19], s[2:3]
	s_cbranch_execz .LBB157_38
; %bb.35:                               ;   in Loop: Header=BB157_2 Depth=1
	s_mov_b64 s[20:21], 0
	v_mov_b32_e32 v14, v51
	v_mov_b32_e32 v10, v52
.LBB157_36:                             ;   Parent Loop BB157_2 Depth=1
                                        ; =>  This Inner Loop Header: Depth=2
	v_sub_u32_e32 v11, v10, v14
	v_lshrrev_b32_e32 v12, 31, v11
	v_add_u32_e32 v11, v11, v12
	v_ashrrev_i32_e32 v11, 1, v11
	v_add_u32_e32 v11, v11, v14
	v_lshl_add_u32 v12, v11, 3, v49
	v_xad_u32 v13, v11, -1, v46
	v_lshl_add_u32 v15, v13, 3, v50
	ds_read_b64 v[12:13], v12
	ds_read_b64 v[16:17], v15
	v_add_u32_e32 v15, 1, v11
	s_waitcnt lgkmcnt(0)
	v_cmp_lt_i64_e64 s[16:17], v[16:17], v[12:13]
	s_nop 1
	v_cndmask_b32_e64 v10, v10, v11, s[16:17]
	v_cndmask_b32_e64 v14, v15, v14, s[16:17]
	v_cmp_ge_i32_e64 s[16:17], v14, v10
	s_or_b64 s[20:21], s[16:17], s[20:21]
	s_andn2_b64 exec, exec, s[20:21]
	s_cbranch_execnz .LBB157_36
; %bb.37:                               ;   in Loop: Header=BB157_2 Depth=1
	s_or_b64 exec, exec, s[20:21]
.LBB157_38:                             ;   in Loop: Header=BB157_2 Depth=1
	s_or_b64 exec, exec, s[18:19]
	v_sub_u32_e32 v104, v53, v14
	v_lshl_add_u32 v16, v14, 3, v49
	v_lshlrev_b32_e32 v18, 3, v104
	ds_read_b64 v[10:11], v16
	ds_read_b64 v[12:13], v18
	v_add_u32_e32 v105, v14, v45
	v_cmp_le_i32_e64 s[18:19], v47, v105
	v_cmp_gt_i32_e64 s[16:17], v48, v104
                                        ; implicit-def: $vgpr14_vgpr15
	s_waitcnt lgkmcnt(0)
	v_cmp_lt_i64_e64 s[20:21], v[12:13], v[10:11]
	s_or_b64 s[18:19], s[18:19], s[20:21]
	s_and_b64 s[16:17], s[16:17], s[18:19]
	s_xor_b64 s[18:19], s[16:17], -1
	s_and_saveexec_b64 s[20:21], s[18:19]
	s_xor_b64 s[18:19], exec, s[20:21]
	s_cbranch_execz .LBB157_40
; %bb.39:                               ;   in Loop: Header=BB157_2 Depth=1
	ds_read_b64 v[14:15], v16 offset:8
                                        ; implicit-def: $vgpr18
.LBB157_40:                             ;   in Loop: Header=BB157_2 Depth=1
	s_or_saveexec_b64 s[18:19], s[18:19]
	v_mov_b64_e32 v[16:17], v[12:13]
	s_xor_b64 exec, exec, s[18:19]
	s_cbranch_execz .LBB157_42
; %bb.41:                               ;   in Loop: Header=BB157_2 Depth=1
	ds_read_b64 v[16:17], v18 offset:8
	s_waitcnt lgkmcnt(1)
	v_mov_b64_e32 v[14:15], v[10:11]
.LBB157_42:                             ;   in Loop: Header=BB157_2 Depth=1
	s_or_b64 exec, exec, s[18:19]
	v_add_u32_e32 v19, 1, v105
	v_add_u32_e32 v18, 1, v104
	v_cndmask_b32_e64 v107, v19, v105, s[16:17]
	v_cndmask_b32_e64 v106, v104, v18, s[16:17]
	v_cmp_ge_i32_e64 s[20:21], v107, v47
	s_waitcnt lgkmcnt(0)
	v_cmp_lt_i64_e64 s[22:23], v[16:17], v[14:15]
	v_cmp_lt_i32_e64 s[18:19], v106, v48
	s_or_b64 s[20:21], s[20:21], s[22:23]
	s_and_b64 s[18:19], s[18:19], s[20:21]
	s_xor_b64 s[20:21], s[18:19], -1
                                        ; implicit-def: $vgpr18_vgpr19
	s_and_saveexec_b64 s[22:23], s[20:21]
	s_xor_b64 s[20:21], exec, s[22:23]
	s_cbranch_execz .LBB157_44
; %bb.43:                               ;   in Loop: Header=BB157_2 Depth=1
	v_lshlrev_b32_e32 v18, 3, v107
	ds_read_b64 v[18:19], v18 offset:8
.LBB157_44:                             ;   in Loop: Header=BB157_2 Depth=1
	s_or_saveexec_b64 s[20:21], s[20:21]
	v_mov_b64_e32 v[20:21], v[16:17]
	s_xor_b64 exec, exec, s[20:21]
	s_cbranch_execz .LBB157_46
; %bb.45:                               ;   in Loop: Header=BB157_2 Depth=1
	s_waitcnt lgkmcnt(0)
	v_lshlrev_b32_e32 v18, 3, v106
	ds_read_b64 v[20:21], v18 offset:8
	v_mov_b64_e32 v[18:19], v[14:15]
.LBB157_46:                             ;   in Loop: Header=BB157_2 Depth=1
	s_or_b64 exec, exec, s[20:21]
	v_add_u32_e32 v23, 1, v107
	v_add_u32_e32 v22, 1, v106
	v_cndmask_b32_e64 v109, v23, v107, s[18:19]
	v_cndmask_b32_e64 v108, v106, v22, s[18:19]
	v_cmp_ge_i32_e64 s[22:23], v109, v47
	s_waitcnt lgkmcnt(0)
	v_cmp_lt_i64_e64 s[24:25], v[20:21], v[18:19]
	v_cmp_lt_i32_e64 s[20:21], v108, v48
	s_or_b64 s[22:23], s[22:23], s[24:25]
	s_and_b64 s[20:21], s[20:21], s[22:23]
	s_xor_b64 s[22:23], s[20:21], -1
                                        ; implicit-def: $vgpr22_vgpr23
	s_and_saveexec_b64 s[24:25], s[22:23]
	s_xor_b64 s[22:23], exec, s[24:25]
	s_cbranch_execz .LBB157_48
; %bb.47:                               ;   in Loop: Header=BB157_2 Depth=1
	v_lshlrev_b32_e32 v22, 3, v109
	ds_read_b64 v[22:23], v22 offset:8
.LBB157_48:                             ;   in Loop: Header=BB157_2 Depth=1
	s_or_saveexec_b64 s[22:23], s[22:23]
	v_mov_b64_e32 v[24:25], v[20:21]
	s_xor_b64 exec, exec, s[22:23]
	s_cbranch_execz .LBB157_50
; %bb.49:                               ;   in Loop: Header=BB157_2 Depth=1
	s_waitcnt lgkmcnt(0)
	v_lshlrev_b32_e32 v22, 3, v108
	ds_read_b64 v[24:25], v22 offset:8
	v_mov_b64_e32 v[22:23], v[18:19]
.LBB157_50:                             ;   in Loop: Header=BB157_2 Depth=1
	s_or_b64 exec, exec, s[22:23]
	v_cndmask_b32_e64 v19, v19, v21, s[20:21]
	v_add_u32_e32 v21, 1, v109
	v_cndmask_b32_e64 v18, v18, v20, s[20:21]
	v_add_u32_e32 v20, 1, v108
	v_cndmask_b32_e64 v21, v21, v109, s[20:21]
	v_cndmask_b32_e64 v20, v108, v20, s[20:21]
	;; [unrolled: 1-line block ×6, first 2 shown]
	v_cmp_ge_i32_e64 s[18:19], v21, v47
	s_waitcnt lgkmcnt(0)
	v_cmp_lt_i64_e64 s[20:21], v[24:25], v[22:23]
	v_cndmask_b32_e64 v11, v11, v13, s[16:17]
	v_cndmask_b32_e64 v10, v10, v12, s[16:17]
	;; [unrolled: 1-line block ×3, first 2 shown]
	v_cmp_lt_i32_e64 s[16:17], v20, v48
	s_or_b64 s[18:19], s[18:19], s[20:21]
	s_and_b64 s[16:17], s[16:17], s[18:19]
	v_cndmask_b32_e64 v20, v21, v20, s[16:17]
	s_barrier
	ds_write2_b64 v26, v[6:7], v[8:9] offset1:1
	ds_write2_b64 v26, v[2:3], v[4:5] offset0:2 offset1:3
	v_lshlrev_b32_e32 v2, 3, v17
	v_lshlrev_b32_e32 v3, 3, v16
	v_lshlrev_b32_e32 v4, 3, v108
	v_lshlrev_b32_e32 v5, 3, v20
	s_waitcnt lgkmcnt(0)
	s_barrier
	ds_read_b64 v[6:7], v2
	ds_read_b64 v[8:9], v3
	;; [unrolled: 1-line block ×4, first 2 shown]
	v_cndmask_b32_e64 v13, v23, v25, s[16:17]
	v_cndmask_b32_e64 v12, v22, v24, s[16:17]
	s_waitcnt lgkmcnt(0)
	s_barrier
	ds_write2_b64 v26, v[10:11], v[14:15] offset1:1
	ds_write2_b64 v26, v[18:19], v[12:13] offset0:2 offset1:3
	v_mov_b32_e32 v14, v60
	s_waitcnt lgkmcnt(0)
	s_barrier
	s_and_saveexec_b64 s[18:19], s[4:5]
	s_cbranch_execz .LBB157_54
; %bb.51:                               ;   in Loop: Header=BB157_2 Depth=1
	s_mov_b64 s[20:21], 0
	v_mov_b32_e32 v14, v60
	v_mov_b32_e32 v10, v61
.LBB157_52:                             ;   Parent Loop BB157_2 Depth=1
                                        ; =>  This Inner Loop Header: Depth=2
	v_sub_u32_e32 v11, v10, v14
	v_lshrrev_b32_e32 v12, 31, v11
	v_add_u32_e32 v11, v11, v12
	v_ashrrev_i32_e32 v11, 1, v11
	v_add_u32_e32 v11, v11, v14
	v_lshl_add_u32 v12, v11, 3, v58
	v_xad_u32 v13, v11, -1, v55
	v_lshl_add_u32 v15, v13, 3, v59
	ds_read_b64 v[12:13], v12
	ds_read_b64 v[16:17], v15
	v_add_u32_e32 v15, 1, v11
	s_waitcnt lgkmcnt(0)
	v_cmp_lt_i64_e64 s[16:17], v[16:17], v[12:13]
	s_nop 1
	v_cndmask_b32_e64 v10, v10, v11, s[16:17]
	v_cndmask_b32_e64 v14, v15, v14, s[16:17]
	v_cmp_ge_i32_e64 s[16:17], v14, v10
	s_or_b64 s[20:21], s[16:17], s[20:21]
	s_andn2_b64 exec, exec, s[20:21]
	s_cbranch_execnz .LBB157_52
; %bb.53:                               ;   in Loop: Header=BB157_2 Depth=1
	s_or_b64 exec, exec, s[20:21]
.LBB157_54:                             ;   in Loop: Header=BB157_2 Depth=1
	s_or_b64 exec, exec, s[18:19]
	v_sub_u32_e32 v104, v62, v14
	v_lshl_add_u32 v16, v14, 3, v58
	v_lshlrev_b32_e32 v18, 3, v104
	ds_read_b64 v[10:11], v16
	ds_read_b64 v[12:13], v18
	v_add_u32_e32 v105, v14, v54
	v_cmp_le_i32_e64 s[18:19], v56, v105
	v_cmp_gt_i32_e64 s[16:17], v57, v104
                                        ; implicit-def: $vgpr14_vgpr15
	s_waitcnt lgkmcnt(0)
	v_cmp_lt_i64_e64 s[20:21], v[12:13], v[10:11]
	s_or_b64 s[18:19], s[18:19], s[20:21]
	s_and_b64 s[16:17], s[16:17], s[18:19]
	s_xor_b64 s[18:19], s[16:17], -1
	s_and_saveexec_b64 s[20:21], s[18:19]
	s_xor_b64 s[18:19], exec, s[20:21]
	s_cbranch_execz .LBB157_56
; %bb.55:                               ;   in Loop: Header=BB157_2 Depth=1
	ds_read_b64 v[14:15], v16 offset:8
                                        ; implicit-def: $vgpr18
.LBB157_56:                             ;   in Loop: Header=BB157_2 Depth=1
	s_or_saveexec_b64 s[18:19], s[18:19]
	v_mov_b64_e32 v[16:17], v[12:13]
	s_xor_b64 exec, exec, s[18:19]
	s_cbranch_execz .LBB157_58
; %bb.57:                               ;   in Loop: Header=BB157_2 Depth=1
	ds_read_b64 v[16:17], v18 offset:8
	s_waitcnt lgkmcnt(1)
	v_mov_b64_e32 v[14:15], v[10:11]
.LBB157_58:                             ;   in Loop: Header=BB157_2 Depth=1
	s_or_b64 exec, exec, s[18:19]
	v_add_u32_e32 v19, 1, v105
	v_add_u32_e32 v18, 1, v104
	v_cndmask_b32_e64 v107, v19, v105, s[16:17]
	v_cndmask_b32_e64 v106, v104, v18, s[16:17]
	v_cmp_ge_i32_e64 s[20:21], v107, v56
	s_waitcnt lgkmcnt(0)
	v_cmp_lt_i64_e64 s[22:23], v[16:17], v[14:15]
	v_cmp_lt_i32_e64 s[18:19], v106, v57
	s_or_b64 s[20:21], s[20:21], s[22:23]
	s_and_b64 s[18:19], s[18:19], s[20:21]
	s_xor_b64 s[20:21], s[18:19], -1
                                        ; implicit-def: $vgpr18_vgpr19
	s_and_saveexec_b64 s[22:23], s[20:21]
	s_xor_b64 s[20:21], exec, s[22:23]
	s_cbranch_execz .LBB157_60
; %bb.59:                               ;   in Loop: Header=BB157_2 Depth=1
	v_lshlrev_b32_e32 v18, 3, v107
	ds_read_b64 v[18:19], v18 offset:8
.LBB157_60:                             ;   in Loop: Header=BB157_2 Depth=1
	s_or_saveexec_b64 s[20:21], s[20:21]
	v_mov_b64_e32 v[20:21], v[16:17]
	s_xor_b64 exec, exec, s[20:21]
	s_cbranch_execz .LBB157_62
; %bb.61:                               ;   in Loop: Header=BB157_2 Depth=1
	s_waitcnt lgkmcnt(0)
	v_lshlrev_b32_e32 v18, 3, v106
	ds_read_b64 v[20:21], v18 offset:8
	v_mov_b64_e32 v[18:19], v[14:15]
.LBB157_62:                             ;   in Loop: Header=BB157_2 Depth=1
	s_or_b64 exec, exec, s[20:21]
	v_add_u32_e32 v23, 1, v107
	v_add_u32_e32 v22, 1, v106
	v_cndmask_b32_e64 v109, v23, v107, s[18:19]
	v_cndmask_b32_e64 v108, v106, v22, s[18:19]
	v_cmp_ge_i32_e64 s[22:23], v109, v56
	s_waitcnt lgkmcnt(0)
	v_cmp_lt_i64_e64 s[24:25], v[20:21], v[18:19]
	v_cmp_lt_i32_e64 s[20:21], v108, v57
	s_or_b64 s[22:23], s[22:23], s[24:25]
	s_and_b64 s[20:21], s[20:21], s[22:23]
	s_xor_b64 s[22:23], s[20:21], -1
                                        ; implicit-def: $vgpr22_vgpr23
	s_and_saveexec_b64 s[24:25], s[22:23]
	s_xor_b64 s[22:23], exec, s[24:25]
	s_cbranch_execz .LBB157_64
; %bb.63:                               ;   in Loop: Header=BB157_2 Depth=1
	v_lshlrev_b32_e32 v22, 3, v109
	ds_read_b64 v[22:23], v22 offset:8
.LBB157_64:                             ;   in Loop: Header=BB157_2 Depth=1
	s_or_saveexec_b64 s[22:23], s[22:23]
	v_mov_b64_e32 v[24:25], v[20:21]
	s_xor_b64 exec, exec, s[22:23]
	s_cbranch_execz .LBB157_66
; %bb.65:                               ;   in Loop: Header=BB157_2 Depth=1
	s_waitcnt lgkmcnt(0)
	v_lshlrev_b32_e32 v22, 3, v108
	ds_read_b64 v[24:25], v22 offset:8
	v_mov_b64_e32 v[22:23], v[18:19]
.LBB157_66:                             ;   in Loop: Header=BB157_2 Depth=1
	s_or_b64 exec, exec, s[22:23]
	v_cndmask_b32_e64 v19, v19, v21, s[20:21]
	v_add_u32_e32 v21, 1, v109
	v_cndmask_b32_e64 v18, v18, v20, s[20:21]
	v_add_u32_e32 v20, 1, v108
	v_cndmask_b32_e64 v21, v21, v109, s[20:21]
	v_cndmask_b32_e64 v20, v108, v20, s[20:21]
	;; [unrolled: 1-line block ×6, first 2 shown]
	v_cmp_ge_i32_e64 s[18:19], v21, v56
	s_waitcnt lgkmcnt(0)
	v_cmp_lt_i64_e64 s[20:21], v[24:25], v[22:23]
	v_cndmask_b32_e64 v11, v11, v13, s[16:17]
	v_cndmask_b32_e64 v10, v10, v12, s[16:17]
	;; [unrolled: 1-line block ×3, first 2 shown]
	v_cmp_lt_i32_e64 s[16:17], v20, v57
	s_or_b64 s[18:19], s[18:19], s[20:21]
	s_and_b64 s[16:17], s[16:17], s[18:19]
	v_cndmask_b32_e64 v20, v21, v20, s[16:17]
	s_barrier
	ds_write2_b64 v26, v[6:7], v[8:9] offset1:1
	ds_write2_b64 v26, v[2:3], v[4:5] offset0:2 offset1:3
	v_lshlrev_b32_e32 v2, 3, v17
	v_lshlrev_b32_e32 v3, 3, v16
	;; [unrolled: 1-line block ×4, first 2 shown]
	s_waitcnt lgkmcnt(0)
	s_barrier
	ds_read_b64 v[6:7], v2
	ds_read_b64 v[8:9], v3
	;; [unrolled: 1-line block ×4, first 2 shown]
	v_cndmask_b32_e64 v13, v23, v25, s[16:17]
	v_cndmask_b32_e64 v12, v22, v24, s[16:17]
	s_waitcnt lgkmcnt(0)
	s_barrier
	ds_write2_b64 v26, v[10:11], v[14:15] offset1:1
	ds_write2_b64 v26, v[18:19], v[12:13] offset0:2 offset1:3
	v_mov_b32_e32 v14, v68
	s_waitcnt lgkmcnt(0)
	s_barrier
	s_and_saveexec_b64 s[18:19], s[6:7]
	s_cbranch_execz .LBB157_70
; %bb.67:                               ;   in Loop: Header=BB157_2 Depth=1
	s_mov_b64 s[20:21], 0
	v_mov_b32_e32 v14, v68
	v_mov_b32_e32 v10, v69
.LBB157_68:                             ;   Parent Loop BB157_2 Depth=1
                                        ; =>  This Inner Loop Header: Depth=2
	v_sub_u32_e32 v11, v10, v14
	v_lshrrev_b32_e32 v12, 31, v11
	v_add_u32_e32 v11, v11, v12
	v_ashrrev_i32_e32 v11, 1, v11
	v_add_u32_e32 v11, v11, v14
	v_lshl_add_u32 v12, v11, 3, v67
	v_xad_u32 v13, v11, -1, v64
	v_lshl_add_u32 v15, v13, 3, v91
	ds_read_b64 v[12:13], v12
	ds_read_b64 v[16:17], v15
	v_add_u32_e32 v15, 1, v11
	s_waitcnt lgkmcnt(0)
	v_cmp_lt_i64_e64 s[16:17], v[16:17], v[12:13]
	s_nop 1
	v_cndmask_b32_e64 v10, v10, v11, s[16:17]
	v_cndmask_b32_e64 v14, v15, v14, s[16:17]
	v_cmp_ge_i32_e64 s[16:17], v14, v10
	s_or_b64 s[20:21], s[16:17], s[20:21]
	s_andn2_b64 exec, exec, s[20:21]
	s_cbranch_execnz .LBB157_68
; %bb.69:                               ;   in Loop: Header=BB157_2 Depth=1
	s_or_b64 exec, exec, s[20:21]
.LBB157_70:                             ;   in Loop: Header=BB157_2 Depth=1
	s_or_b64 exec, exec, s[18:19]
	v_sub_u32_e32 v104, v92, v14
	v_lshl_add_u32 v16, v14, 3, v67
	v_lshlrev_b32_e32 v18, 3, v104
	ds_read_b64 v[10:11], v16
	ds_read_b64 v[12:13], v18
	v_add_u32_e32 v105, v14, v63
	v_cmp_le_i32_e64 s[18:19], v65, v105
	v_cmp_gt_i32_e64 s[16:17], v66, v104
                                        ; implicit-def: $vgpr14_vgpr15
	s_waitcnt lgkmcnt(0)
	v_cmp_lt_i64_e64 s[20:21], v[12:13], v[10:11]
	s_or_b64 s[18:19], s[18:19], s[20:21]
	s_and_b64 s[16:17], s[16:17], s[18:19]
	s_xor_b64 s[18:19], s[16:17], -1
	s_and_saveexec_b64 s[20:21], s[18:19]
	s_xor_b64 s[18:19], exec, s[20:21]
	s_cbranch_execz .LBB157_72
; %bb.71:                               ;   in Loop: Header=BB157_2 Depth=1
	ds_read_b64 v[14:15], v16 offset:8
                                        ; implicit-def: $vgpr18
.LBB157_72:                             ;   in Loop: Header=BB157_2 Depth=1
	s_or_saveexec_b64 s[18:19], s[18:19]
	v_mov_b64_e32 v[16:17], v[12:13]
	s_xor_b64 exec, exec, s[18:19]
	s_cbranch_execz .LBB157_74
; %bb.73:                               ;   in Loop: Header=BB157_2 Depth=1
	ds_read_b64 v[16:17], v18 offset:8
	s_waitcnt lgkmcnt(1)
	v_mov_b64_e32 v[14:15], v[10:11]
.LBB157_74:                             ;   in Loop: Header=BB157_2 Depth=1
	s_or_b64 exec, exec, s[18:19]
	v_add_u32_e32 v19, 1, v105
	v_add_u32_e32 v18, 1, v104
	v_cndmask_b32_e64 v107, v19, v105, s[16:17]
	v_cndmask_b32_e64 v106, v104, v18, s[16:17]
	v_cmp_ge_i32_e64 s[20:21], v107, v65
	s_waitcnt lgkmcnt(0)
	v_cmp_lt_i64_e64 s[22:23], v[16:17], v[14:15]
	v_cmp_lt_i32_e64 s[18:19], v106, v66
	s_or_b64 s[20:21], s[20:21], s[22:23]
	s_and_b64 s[18:19], s[18:19], s[20:21]
	s_xor_b64 s[20:21], s[18:19], -1
                                        ; implicit-def: $vgpr18_vgpr19
	s_and_saveexec_b64 s[22:23], s[20:21]
	s_xor_b64 s[20:21], exec, s[22:23]
	s_cbranch_execz .LBB157_76
; %bb.75:                               ;   in Loop: Header=BB157_2 Depth=1
	v_lshlrev_b32_e32 v18, 3, v107
	ds_read_b64 v[18:19], v18 offset:8
.LBB157_76:                             ;   in Loop: Header=BB157_2 Depth=1
	s_or_saveexec_b64 s[20:21], s[20:21]
	v_mov_b64_e32 v[20:21], v[16:17]
	s_xor_b64 exec, exec, s[20:21]
	s_cbranch_execz .LBB157_78
; %bb.77:                               ;   in Loop: Header=BB157_2 Depth=1
	s_waitcnt lgkmcnt(0)
	v_lshlrev_b32_e32 v18, 3, v106
	ds_read_b64 v[20:21], v18 offset:8
	v_mov_b64_e32 v[18:19], v[14:15]
.LBB157_78:                             ;   in Loop: Header=BB157_2 Depth=1
	s_or_b64 exec, exec, s[20:21]
	v_add_u32_e32 v23, 1, v107
	v_add_u32_e32 v22, 1, v106
	v_cndmask_b32_e64 v109, v23, v107, s[18:19]
	v_cndmask_b32_e64 v108, v106, v22, s[18:19]
	v_cmp_ge_i32_e64 s[22:23], v109, v65
	s_waitcnt lgkmcnt(0)
	v_cmp_lt_i64_e64 s[24:25], v[20:21], v[18:19]
	v_cmp_lt_i32_e64 s[20:21], v108, v66
	s_or_b64 s[22:23], s[22:23], s[24:25]
	s_and_b64 s[20:21], s[20:21], s[22:23]
	s_xor_b64 s[22:23], s[20:21], -1
                                        ; implicit-def: $vgpr22_vgpr23
	s_and_saveexec_b64 s[24:25], s[22:23]
	s_xor_b64 s[22:23], exec, s[24:25]
	s_cbranch_execz .LBB157_80
; %bb.79:                               ;   in Loop: Header=BB157_2 Depth=1
	v_lshlrev_b32_e32 v22, 3, v109
	ds_read_b64 v[22:23], v22 offset:8
.LBB157_80:                             ;   in Loop: Header=BB157_2 Depth=1
	s_or_saveexec_b64 s[22:23], s[22:23]
	v_mov_b64_e32 v[24:25], v[20:21]
	s_xor_b64 exec, exec, s[22:23]
	s_cbranch_execz .LBB157_82
; %bb.81:                               ;   in Loop: Header=BB157_2 Depth=1
	s_waitcnt lgkmcnt(0)
	v_lshlrev_b32_e32 v22, 3, v108
	ds_read_b64 v[24:25], v22 offset:8
	v_mov_b64_e32 v[22:23], v[18:19]
.LBB157_82:                             ;   in Loop: Header=BB157_2 Depth=1
	s_or_b64 exec, exec, s[22:23]
	v_cndmask_b32_e64 v19, v19, v21, s[20:21]
	v_add_u32_e32 v21, 1, v109
	v_cndmask_b32_e64 v18, v18, v20, s[20:21]
	v_add_u32_e32 v20, 1, v108
	v_cndmask_b32_e64 v21, v21, v109, s[20:21]
	v_cndmask_b32_e64 v20, v108, v20, s[20:21]
	;; [unrolled: 1-line block ×6, first 2 shown]
	v_cmp_ge_i32_e64 s[18:19], v21, v65
	s_waitcnt lgkmcnt(0)
	v_cmp_lt_i64_e64 s[20:21], v[24:25], v[22:23]
	v_cndmask_b32_e64 v11, v11, v13, s[16:17]
	v_cndmask_b32_e64 v10, v10, v12, s[16:17]
	;; [unrolled: 1-line block ×3, first 2 shown]
	v_cmp_lt_i32_e64 s[16:17], v20, v66
	s_or_b64 s[18:19], s[18:19], s[20:21]
	s_and_b64 s[16:17], s[16:17], s[18:19]
	v_cndmask_b32_e64 v20, v21, v20, s[16:17]
	s_barrier
	ds_write2_b64 v26, v[6:7], v[8:9] offset1:1
	ds_write2_b64 v26, v[2:3], v[4:5] offset0:2 offset1:3
	v_lshlrev_b32_e32 v2, 3, v17
	v_lshlrev_b32_e32 v3, 3, v16
	;; [unrolled: 1-line block ×4, first 2 shown]
	s_waitcnt lgkmcnt(0)
	s_barrier
	ds_read_b64 v[6:7], v2
	ds_read_b64 v[8:9], v3
	;; [unrolled: 1-line block ×4, first 2 shown]
	v_cndmask_b32_e64 v13, v23, v25, s[16:17]
	v_cndmask_b32_e64 v12, v22, v24, s[16:17]
	s_waitcnt lgkmcnt(0)
	s_barrier
	ds_write2_b64 v26, v[10:11], v[14:15] offset1:1
	ds_write2_b64 v26, v[18:19], v[12:13] offset0:2 offset1:3
	v_mov_b32_e32 v14, v74
	s_waitcnt lgkmcnt(0)
	s_barrier
	s_and_saveexec_b64 s[18:19], s[8:9]
	s_cbranch_execz .LBB157_86
; %bb.83:                               ;   in Loop: Header=BB157_2 Depth=1
	s_mov_b64 s[20:21], 0
	v_mov_b32_e32 v14, v74
	v_mov_b32_e32 v10, v75
.LBB157_84:                             ;   Parent Loop BB157_2 Depth=1
                                        ; =>  This Inner Loop Header: Depth=2
	v_sub_u32_e32 v11, v10, v14
	v_lshrrev_b32_e32 v12, 31, v11
	v_add_u32_e32 v11, v11, v12
	v_ashrrev_i32_e32 v11, 1, v11
	v_add_u32_e32 v11, v11, v14
	v_lshl_add_u32 v12, v11, 3, v93
	v_xad_u32 v13, v11, -1, v71
	v_lshl_add_u32 v15, v13, 3, v94
	ds_read_b64 v[12:13], v12
	ds_read_b64 v[16:17], v15
	v_add_u32_e32 v15, 1, v11
	s_waitcnt lgkmcnt(0)
	v_cmp_lt_i64_e64 s[16:17], v[16:17], v[12:13]
	s_nop 1
	v_cndmask_b32_e64 v10, v10, v11, s[16:17]
	v_cndmask_b32_e64 v14, v15, v14, s[16:17]
	v_cmp_ge_i32_e64 s[16:17], v14, v10
	s_or_b64 s[20:21], s[16:17], s[20:21]
	s_andn2_b64 exec, exec, s[20:21]
	s_cbranch_execnz .LBB157_84
; %bb.85:                               ;   in Loop: Header=BB157_2 Depth=1
	s_or_b64 exec, exec, s[20:21]
.LBB157_86:                             ;   in Loop: Header=BB157_2 Depth=1
	s_or_b64 exec, exec, s[18:19]
	v_sub_u32_e32 v104, v95, v14
	v_lshl_add_u32 v16, v14, 3, v93
	v_lshlrev_b32_e32 v18, 3, v104
	ds_read_b64 v[10:11], v16
	ds_read_b64 v[12:13], v18
	v_add_u32_e32 v105, v14, v70
	v_cmp_le_i32_e64 s[18:19], v72, v105
	v_cmp_gt_i32_e64 s[16:17], v73, v104
                                        ; implicit-def: $vgpr14_vgpr15
	s_waitcnt lgkmcnt(0)
	v_cmp_lt_i64_e64 s[20:21], v[12:13], v[10:11]
	s_or_b64 s[18:19], s[18:19], s[20:21]
	s_and_b64 s[16:17], s[16:17], s[18:19]
	s_xor_b64 s[18:19], s[16:17], -1
	s_and_saveexec_b64 s[20:21], s[18:19]
	s_xor_b64 s[18:19], exec, s[20:21]
	s_cbranch_execz .LBB157_88
; %bb.87:                               ;   in Loop: Header=BB157_2 Depth=1
	ds_read_b64 v[14:15], v16 offset:8
                                        ; implicit-def: $vgpr18
.LBB157_88:                             ;   in Loop: Header=BB157_2 Depth=1
	s_or_saveexec_b64 s[18:19], s[18:19]
	v_mov_b64_e32 v[16:17], v[12:13]
	s_xor_b64 exec, exec, s[18:19]
	s_cbranch_execz .LBB157_90
; %bb.89:                               ;   in Loop: Header=BB157_2 Depth=1
	ds_read_b64 v[16:17], v18 offset:8
	s_waitcnt lgkmcnt(1)
	v_mov_b64_e32 v[14:15], v[10:11]
.LBB157_90:                             ;   in Loop: Header=BB157_2 Depth=1
	s_or_b64 exec, exec, s[18:19]
	v_add_u32_e32 v19, 1, v105
	v_add_u32_e32 v18, 1, v104
	v_cndmask_b32_e64 v107, v19, v105, s[16:17]
	v_cndmask_b32_e64 v106, v104, v18, s[16:17]
	v_cmp_ge_i32_e64 s[20:21], v107, v72
	s_waitcnt lgkmcnt(0)
	v_cmp_lt_i64_e64 s[22:23], v[16:17], v[14:15]
	v_cmp_lt_i32_e64 s[18:19], v106, v73
	s_or_b64 s[20:21], s[20:21], s[22:23]
	s_and_b64 s[18:19], s[18:19], s[20:21]
	s_xor_b64 s[20:21], s[18:19], -1
                                        ; implicit-def: $vgpr18_vgpr19
	s_and_saveexec_b64 s[22:23], s[20:21]
	s_xor_b64 s[20:21], exec, s[22:23]
	s_cbranch_execz .LBB157_92
; %bb.91:                               ;   in Loop: Header=BB157_2 Depth=1
	v_lshlrev_b32_e32 v18, 3, v107
	ds_read_b64 v[18:19], v18 offset:8
.LBB157_92:                             ;   in Loop: Header=BB157_2 Depth=1
	s_or_saveexec_b64 s[20:21], s[20:21]
	v_mov_b64_e32 v[20:21], v[16:17]
	s_xor_b64 exec, exec, s[20:21]
	s_cbranch_execz .LBB157_94
; %bb.93:                               ;   in Loop: Header=BB157_2 Depth=1
	s_waitcnt lgkmcnt(0)
	v_lshlrev_b32_e32 v18, 3, v106
	ds_read_b64 v[20:21], v18 offset:8
	v_mov_b64_e32 v[18:19], v[14:15]
.LBB157_94:                             ;   in Loop: Header=BB157_2 Depth=1
	s_or_b64 exec, exec, s[20:21]
	v_add_u32_e32 v23, 1, v107
	v_add_u32_e32 v22, 1, v106
	v_cndmask_b32_e64 v109, v23, v107, s[18:19]
	v_cndmask_b32_e64 v108, v106, v22, s[18:19]
	v_cmp_ge_i32_e64 s[22:23], v109, v72
	s_waitcnt lgkmcnt(0)
	v_cmp_lt_i64_e64 s[24:25], v[20:21], v[18:19]
	v_cmp_lt_i32_e64 s[20:21], v108, v73
	s_or_b64 s[22:23], s[22:23], s[24:25]
	s_and_b64 s[20:21], s[20:21], s[22:23]
	s_xor_b64 s[22:23], s[20:21], -1
                                        ; implicit-def: $vgpr22_vgpr23
	s_and_saveexec_b64 s[24:25], s[22:23]
	s_xor_b64 s[22:23], exec, s[24:25]
	s_cbranch_execz .LBB157_96
; %bb.95:                               ;   in Loop: Header=BB157_2 Depth=1
	v_lshlrev_b32_e32 v22, 3, v109
	ds_read_b64 v[22:23], v22 offset:8
.LBB157_96:                             ;   in Loop: Header=BB157_2 Depth=1
	s_or_saveexec_b64 s[22:23], s[22:23]
	v_mov_b64_e32 v[24:25], v[20:21]
	s_xor_b64 exec, exec, s[22:23]
	s_cbranch_execz .LBB157_98
; %bb.97:                               ;   in Loop: Header=BB157_2 Depth=1
	s_waitcnt lgkmcnt(0)
	v_lshlrev_b32_e32 v22, 3, v108
	ds_read_b64 v[24:25], v22 offset:8
	v_mov_b64_e32 v[22:23], v[18:19]
.LBB157_98:                             ;   in Loop: Header=BB157_2 Depth=1
	s_or_b64 exec, exec, s[22:23]
	v_cndmask_b32_e64 v19, v19, v21, s[20:21]
	v_add_u32_e32 v21, 1, v109
	v_cndmask_b32_e64 v18, v18, v20, s[20:21]
	v_add_u32_e32 v20, 1, v108
	v_cndmask_b32_e64 v21, v21, v109, s[20:21]
	v_cndmask_b32_e64 v20, v108, v20, s[20:21]
	;; [unrolled: 1-line block ×6, first 2 shown]
	v_cmp_ge_i32_e64 s[18:19], v21, v72
	s_waitcnt lgkmcnt(0)
	v_cmp_lt_i64_e64 s[20:21], v[24:25], v[22:23]
	v_cndmask_b32_e64 v11, v11, v13, s[16:17]
	v_cndmask_b32_e64 v10, v10, v12, s[16:17]
	;; [unrolled: 1-line block ×3, first 2 shown]
	v_cmp_lt_i32_e64 s[16:17], v20, v73
	s_or_b64 s[18:19], s[18:19], s[20:21]
	s_and_b64 s[16:17], s[16:17], s[18:19]
	v_cndmask_b32_e64 v20, v21, v20, s[16:17]
	s_barrier
	ds_write2_b64 v26, v[6:7], v[8:9] offset1:1
	ds_write2_b64 v26, v[2:3], v[4:5] offset0:2 offset1:3
	v_lshlrev_b32_e32 v2, 3, v17
	v_lshlrev_b32_e32 v3, 3, v16
	;; [unrolled: 1-line block ×4, first 2 shown]
	s_waitcnt lgkmcnt(0)
	s_barrier
	ds_read_b64 v[6:7], v2
	ds_read_b64 v[8:9], v3
	ds_read_b64 v[2:3], v4
	ds_read_b64 v[4:5], v5
	v_cndmask_b32_e64 v13, v23, v25, s[16:17]
	v_cndmask_b32_e64 v12, v22, v24, s[16:17]
	s_waitcnt lgkmcnt(0)
	s_barrier
	ds_write2_b64 v26, v[10:11], v[14:15] offset1:1
	ds_write2_b64 v26, v[18:19], v[12:13] offset0:2 offset1:3
	v_mov_b32_e32 v14, v80
	s_waitcnt lgkmcnt(0)
	s_barrier
	s_and_saveexec_b64 s[18:19], s[10:11]
	s_cbranch_execz .LBB157_102
; %bb.99:                               ;   in Loop: Header=BB157_2 Depth=1
	s_mov_b64 s[20:21], 0
	v_mov_b32_e32 v14, v80
	v_mov_b32_e32 v10, v81
.LBB157_100:                            ;   Parent Loop BB157_2 Depth=1
                                        ; =>  This Inner Loop Header: Depth=2
	v_sub_u32_e32 v11, v10, v14
	v_lshrrev_b32_e32 v12, 31, v11
	v_add_u32_e32 v11, v11, v12
	v_ashrrev_i32_e32 v11, 1, v11
	v_add_u32_e32 v11, v11, v14
	v_lshl_add_u32 v12, v11, 3, v96
	v_xad_u32 v13, v11, -1, v77
	v_lshl_add_u32 v15, v13, 3, v97
	ds_read_b64 v[12:13], v12
	ds_read_b64 v[16:17], v15
	v_add_u32_e32 v15, 1, v11
	s_waitcnt lgkmcnt(0)
	v_cmp_lt_i64_e64 s[16:17], v[16:17], v[12:13]
	s_nop 1
	v_cndmask_b32_e64 v10, v10, v11, s[16:17]
	v_cndmask_b32_e64 v14, v15, v14, s[16:17]
	v_cmp_ge_i32_e64 s[16:17], v14, v10
	s_or_b64 s[20:21], s[16:17], s[20:21]
	s_andn2_b64 exec, exec, s[20:21]
	s_cbranch_execnz .LBB157_100
; %bb.101:                              ;   in Loop: Header=BB157_2 Depth=1
	s_or_b64 exec, exec, s[20:21]
.LBB157_102:                            ;   in Loop: Header=BB157_2 Depth=1
	s_or_b64 exec, exec, s[18:19]
	v_sub_u32_e32 v104, v98, v14
	v_lshl_add_u32 v16, v14, 3, v96
	v_lshlrev_b32_e32 v18, 3, v104
	ds_read_b64 v[10:11], v16
	ds_read_b64 v[12:13], v18
	v_add_u32_e32 v105, v14, v76
	v_cmp_le_i32_e64 s[18:19], v78, v105
	v_cmp_gt_i32_e64 s[16:17], v79, v104
                                        ; implicit-def: $vgpr14_vgpr15
	s_waitcnt lgkmcnt(0)
	v_cmp_lt_i64_e64 s[20:21], v[12:13], v[10:11]
	s_or_b64 s[18:19], s[18:19], s[20:21]
	s_and_b64 s[16:17], s[16:17], s[18:19]
	s_xor_b64 s[18:19], s[16:17], -1
	s_and_saveexec_b64 s[20:21], s[18:19]
	s_xor_b64 s[18:19], exec, s[20:21]
	s_cbranch_execz .LBB157_104
; %bb.103:                              ;   in Loop: Header=BB157_2 Depth=1
	ds_read_b64 v[14:15], v16 offset:8
                                        ; implicit-def: $vgpr18
.LBB157_104:                            ;   in Loop: Header=BB157_2 Depth=1
	s_or_saveexec_b64 s[18:19], s[18:19]
	v_mov_b64_e32 v[16:17], v[12:13]
	s_xor_b64 exec, exec, s[18:19]
	s_cbranch_execz .LBB157_106
; %bb.105:                              ;   in Loop: Header=BB157_2 Depth=1
	ds_read_b64 v[16:17], v18 offset:8
	s_waitcnt lgkmcnt(1)
	v_mov_b64_e32 v[14:15], v[10:11]
.LBB157_106:                            ;   in Loop: Header=BB157_2 Depth=1
	s_or_b64 exec, exec, s[18:19]
	v_add_u32_e32 v19, 1, v105
	v_add_u32_e32 v18, 1, v104
	v_cndmask_b32_e64 v107, v19, v105, s[16:17]
	v_cndmask_b32_e64 v106, v104, v18, s[16:17]
	v_cmp_ge_i32_e64 s[20:21], v107, v78
	s_waitcnt lgkmcnt(0)
	v_cmp_lt_i64_e64 s[22:23], v[16:17], v[14:15]
	v_cmp_lt_i32_e64 s[18:19], v106, v79
	s_or_b64 s[20:21], s[20:21], s[22:23]
	s_and_b64 s[18:19], s[18:19], s[20:21]
	s_xor_b64 s[20:21], s[18:19], -1
                                        ; implicit-def: $vgpr18_vgpr19
	s_and_saveexec_b64 s[22:23], s[20:21]
	s_xor_b64 s[20:21], exec, s[22:23]
	s_cbranch_execz .LBB157_108
; %bb.107:                              ;   in Loop: Header=BB157_2 Depth=1
	v_lshlrev_b32_e32 v18, 3, v107
	ds_read_b64 v[18:19], v18 offset:8
.LBB157_108:                            ;   in Loop: Header=BB157_2 Depth=1
	s_or_saveexec_b64 s[20:21], s[20:21]
	v_mov_b64_e32 v[20:21], v[16:17]
	s_xor_b64 exec, exec, s[20:21]
	s_cbranch_execz .LBB157_110
; %bb.109:                              ;   in Loop: Header=BB157_2 Depth=1
	s_waitcnt lgkmcnt(0)
	v_lshlrev_b32_e32 v18, 3, v106
	ds_read_b64 v[20:21], v18 offset:8
	v_mov_b64_e32 v[18:19], v[14:15]
.LBB157_110:                            ;   in Loop: Header=BB157_2 Depth=1
	s_or_b64 exec, exec, s[20:21]
	v_add_u32_e32 v23, 1, v107
	v_add_u32_e32 v22, 1, v106
	v_cndmask_b32_e64 v109, v23, v107, s[18:19]
	v_cndmask_b32_e64 v108, v106, v22, s[18:19]
	v_cmp_ge_i32_e64 s[22:23], v109, v78
	s_waitcnt lgkmcnt(0)
	v_cmp_lt_i64_e64 s[24:25], v[20:21], v[18:19]
	v_cmp_lt_i32_e64 s[20:21], v108, v79
	s_or_b64 s[22:23], s[22:23], s[24:25]
	s_and_b64 s[20:21], s[20:21], s[22:23]
	s_xor_b64 s[22:23], s[20:21], -1
                                        ; implicit-def: $vgpr22_vgpr23
	s_and_saveexec_b64 s[24:25], s[22:23]
	s_xor_b64 s[22:23], exec, s[24:25]
	s_cbranch_execz .LBB157_112
; %bb.111:                              ;   in Loop: Header=BB157_2 Depth=1
	v_lshlrev_b32_e32 v22, 3, v109
	ds_read_b64 v[22:23], v22 offset:8
.LBB157_112:                            ;   in Loop: Header=BB157_2 Depth=1
	s_or_saveexec_b64 s[22:23], s[22:23]
	v_mov_b64_e32 v[24:25], v[20:21]
	s_xor_b64 exec, exec, s[22:23]
	s_cbranch_execz .LBB157_114
; %bb.113:                              ;   in Loop: Header=BB157_2 Depth=1
	s_waitcnt lgkmcnt(0)
	v_lshlrev_b32_e32 v22, 3, v108
	ds_read_b64 v[24:25], v22 offset:8
	v_mov_b64_e32 v[22:23], v[18:19]
.LBB157_114:                            ;   in Loop: Header=BB157_2 Depth=1
	s_or_b64 exec, exec, s[22:23]
	v_cndmask_b32_e64 v19, v19, v21, s[20:21]
	v_add_u32_e32 v21, 1, v109
	v_cndmask_b32_e64 v18, v18, v20, s[20:21]
	v_add_u32_e32 v20, 1, v108
	v_cndmask_b32_e64 v21, v21, v109, s[20:21]
	v_cndmask_b32_e64 v20, v108, v20, s[20:21]
	;; [unrolled: 1-line block ×6, first 2 shown]
	v_cmp_ge_i32_e64 s[18:19], v21, v78
	s_waitcnt lgkmcnt(0)
	v_cmp_lt_i64_e64 s[20:21], v[24:25], v[22:23]
	v_cndmask_b32_e64 v11, v11, v13, s[16:17]
	v_cndmask_b32_e64 v10, v10, v12, s[16:17]
	;; [unrolled: 1-line block ×3, first 2 shown]
	v_cmp_lt_i32_e64 s[16:17], v20, v79
	s_or_b64 s[18:19], s[18:19], s[20:21]
	s_and_b64 s[16:17], s[16:17], s[18:19]
	v_cndmask_b32_e64 v20, v21, v20, s[16:17]
	s_barrier
	ds_write2_b64 v26, v[6:7], v[8:9] offset1:1
	ds_write2_b64 v26, v[2:3], v[4:5] offset0:2 offset1:3
	v_lshlrev_b32_e32 v2, 3, v17
	v_lshlrev_b32_e32 v3, 3, v16
	;; [unrolled: 1-line block ×4, first 2 shown]
	s_waitcnt lgkmcnt(0)
	s_barrier
	ds_read_b64 v[6:7], v2
	ds_read_b64 v[8:9], v3
	;; [unrolled: 1-line block ×4, first 2 shown]
	v_cndmask_b32_e64 v13, v23, v25, s[16:17]
	v_cndmask_b32_e64 v12, v22, v24, s[16:17]
	s_waitcnt lgkmcnt(0)
	s_barrier
	ds_write2_b64 v26, v[10:11], v[14:15] offset1:1
	ds_write2_b64 v26, v[18:19], v[12:13] offset0:2 offset1:3
	v_mov_b32_e32 v14, v87
	s_waitcnt lgkmcnt(0)
	s_barrier
	s_and_saveexec_b64 s[18:19], s[12:13]
	s_cbranch_execz .LBB157_118
; %bb.115:                              ;   in Loop: Header=BB157_2 Depth=1
	s_mov_b64 s[20:21], 0
	v_mov_b32_e32 v14, v87
	v_mov_b32_e32 v10, v88
.LBB157_116:                            ;   Parent Loop BB157_2 Depth=1
                                        ; =>  This Inner Loop Header: Depth=2
	v_sub_u32_e32 v11, v10, v14
	v_lshrrev_b32_e32 v12, 31, v11
	v_add_u32_e32 v11, v11, v12
	v_ashrrev_i32_e32 v11, 1, v11
	v_add_u32_e32 v11, v11, v14
	v_lshl_add_u32 v12, v11, 3, v99
	v_xad_u32 v13, v11, -1, v84
	v_lshl_add_u32 v15, v13, 3, v100
	ds_read_b64 v[12:13], v12
	ds_read_b64 v[16:17], v15
	v_add_u32_e32 v15, 1, v11
	s_waitcnt lgkmcnt(0)
	v_cmp_lt_i64_e64 s[16:17], v[16:17], v[12:13]
	s_nop 1
	v_cndmask_b32_e64 v10, v10, v11, s[16:17]
	v_cndmask_b32_e64 v14, v15, v14, s[16:17]
	v_cmp_ge_i32_e64 s[16:17], v14, v10
	s_or_b64 s[20:21], s[16:17], s[20:21]
	s_andn2_b64 exec, exec, s[20:21]
	s_cbranch_execnz .LBB157_116
; %bb.117:                              ;   in Loop: Header=BB157_2 Depth=1
	s_or_b64 exec, exec, s[20:21]
.LBB157_118:                            ;   in Loop: Header=BB157_2 Depth=1
	s_or_b64 exec, exec, s[18:19]
	v_sub_u32_e32 v104, v101, v14
	v_lshl_add_u32 v16, v14, 3, v99
	v_lshlrev_b32_e32 v18, 3, v104
	ds_read_b64 v[10:11], v16
	ds_read_b64 v[12:13], v18
	v_add_u32_e32 v105, v14, v83
	v_cmp_le_i32_e64 s[18:19], v85, v105
	v_cmp_gt_i32_e64 s[16:17], v86, v104
                                        ; implicit-def: $vgpr14_vgpr15
	s_waitcnt lgkmcnt(0)
	v_cmp_lt_i64_e64 s[20:21], v[12:13], v[10:11]
	s_or_b64 s[18:19], s[18:19], s[20:21]
	s_and_b64 s[16:17], s[16:17], s[18:19]
	s_xor_b64 s[18:19], s[16:17], -1
	s_and_saveexec_b64 s[20:21], s[18:19]
	s_xor_b64 s[18:19], exec, s[20:21]
	s_cbranch_execz .LBB157_120
; %bb.119:                              ;   in Loop: Header=BB157_2 Depth=1
	ds_read_b64 v[14:15], v16 offset:8
                                        ; implicit-def: $vgpr18
.LBB157_120:                            ;   in Loop: Header=BB157_2 Depth=1
	s_or_saveexec_b64 s[18:19], s[18:19]
	v_mov_b64_e32 v[16:17], v[12:13]
	s_xor_b64 exec, exec, s[18:19]
	s_cbranch_execz .LBB157_122
; %bb.121:                              ;   in Loop: Header=BB157_2 Depth=1
	ds_read_b64 v[16:17], v18 offset:8
	s_waitcnt lgkmcnt(1)
	v_mov_b64_e32 v[14:15], v[10:11]
.LBB157_122:                            ;   in Loop: Header=BB157_2 Depth=1
	s_or_b64 exec, exec, s[18:19]
	v_add_u32_e32 v19, 1, v105
	v_add_u32_e32 v18, 1, v104
	v_cndmask_b32_e64 v107, v19, v105, s[16:17]
	v_cndmask_b32_e64 v106, v104, v18, s[16:17]
	v_cmp_ge_i32_e64 s[20:21], v107, v85
	s_waitcnt lgkmcnt(0)
	v_cmp_lt_i64_e64 s[22:23], v[16:17], v[14:15]
	v_cmp_lt_i32_e64 s[18:19], v106, v86
	s_or_b64 s[20:21], s[20:21], s[22:23]
	s_and_b64 s[18:19], s[18:19], s[20:21]
	s_xor_b64 s[20:21], s[18:19], -1
                                        ; implicit-def: $vgpr18_vgpr19
	s_and_saveexec_b64 s[22:23], s[20:21]
	s_xor_b64 s[20:21], exec, s[22:23]
	s_cbranch_execz .LBB157_124
; %bb.123:                              ;   in Loop: Header=BB157_2 Depth=1
	v_lshlrev_b32_e32 v18, 3, v107
	ds_read_b64 v[18:19], v18 offset:8
.LBB157_124:                            ;   in Loop: Header=BB157_2 Depth=1
	s_or_saveexec_b64 s[20:21], s[20:21]
	v_mov_b64_e32 v[20:21], v[16:17]
	s_xor_b64 exec, exec, s[20:21]
	s_cbranch_execz .LBB157_126
; %bb.125:                              ;   in Loop: Header=BB157_2 Depth=1
	s_waitcnt lgkmcnt(0)
	v_lshlrev_b32_e32 v18, 3, v106
	ds_read_b64 v[20:21], v18 offset:8
	v_mov_b64_e32 v[18:19], v[14:15]
.LBB157_126:                            ;   in Loop: Header=BB157_2 Depth=1
	s_or_b64 exec, exec, s[20:21]
	v_add_u32_e32 v23, 1, v107
	v_add_u32_e32 v22, 1, v106
	v_cndmask_b32_e64 v109, v23, v107, s[18:19]
	v_cndmask_b32_e64 v108, v106, v22, s[18:19]
	v_cmp_ge_i32_e64 s[22:23], v109, v85
	s_waitcnt lgkmcnt(0)
	v_cmp_lt_i64_e64 s[24:25], v[20:21], v[18:19]
	v_cmp_lt_i32_e64 s[20:21], v108, v86
	s_or_b64 s[22:23], s[22:23], s[24:25]
	s_and_b64 s[20:21], s[20:21], s[22:23]
	s_xor_b64 s[22:23], s[20:21], -1
                                        ; implicit-def: $vgpr22_vgpr23
	s_and_saveexec_b64 s[24:25], s[22:23]
	s_xor_b64 s[22:23], exec, s[24:25]
	s_cbranch_execz .LBB157_128
; %bb.127:                              ;   in Loop: Header=BB157_2 Depth=1
	v_lshlrev_b32_e32 v22, 3, v109
	ds_read_b64 v[22:23], v22 offset:8
.LBB157_128:                            ;   in Loop: Header=BB157_2 Depth=1
	s_or_saveexec_b64 s[22:23], s[22:23]
	v_mov_b64_e32 v[24:25], v[20:21]
	s_xor_b64 exec, exec, s[22:23]
	s_cbranch_execz .LBB157_130
; %bb.129:                              ;   in Loop: Header=BB157_2 Depth=1
	s_waitcnt lgkmcnt(0)
	v_lshlrev_b32_e32 v22, 3, v108
	ds_read_b64 v[24:25], v22 offset:8
	v_mov_b64_e32 v[22:23], v[18:19]
.LBB157_130:                            ;   in Loop: Header=BB157_2 Depth=1
	s_or_b64 exec, exec, s[22:23]
	v_cndmask_b32_e64 v19, v19, v21, s[20:21]
	v_add_u32_e32 v21, 1, v109
	v_cndmask_b32_e64 v18, v18, v20, s[20:21]
	v_add_u32_e32 v20, 1, v108
	v_cndmask_b32_e64 v21, v21, v109, s[20:21]
	v_cndmask_b32_e64 v20, v108, v20, s[20:21]
	;; [unrolled: 1-line block ×6, first 2 shown]
	v_cmp_ge_i32_e64 s[18:19], v21, v85
	s_waitcnt lgkmcnt(0)
	v_cmp_lt_i64_e64 s[20:21], v[24:25], v[22:23]
	v_cndmask_b32_e64 v11, v11, v13, s[16:17]
	v_cndmask_b32_e64 v10, v10, v12, s[16:17]
	;; [unrolled: 1-line block ×3, first 2 shown]
	v_cmp_lt_i32_e64 s[16:17], v20, v86
	s_or_b64 s[18:19], s[18:19], s[20:21]
	s_and_b64 s[16:17], s[16:17], s[18:19]
	v_cndmask_b32_e64 v20, v21, v20, s[16:17]
	s_barrier
	ds_write2_b64 v26, v[6:7], v[8:9] offset1:1
	ds_write2_b64 v26, v[2:3], v[4:5] offset0:2 offset1:3
	v_lshlrev_b32_e32 v2, 3, v17
	v_lshlrev_b32_e32 v3, 3, v16
	v_lshlrev_b32_e32 v4, 3, v108
	v_lshlrev_b32_e32 v5, 3, v20
	s_waitcnt lgkmcnt(0)
	s_barrier
	ds_read_b64 v[6:7], v2
	ds_read_b64 v[8:9], v3
	;; [unrolled: 1-line block ×4, first 2 shown]
	v_mov_b32_e32 v104, v89
	v_cndmask_b32_e64 v13, v23, v25, s[16:17]
	v_cndmask_b32_e64 v12, v22, v24, s[16:17]
	s_waitcnt lgkmcnt(0)
	s_barrier
	ds_write2_b64 v26, v[10:11], v[14:15] offset1:1
	ds_write2_b64 v26, v[18:19], v[12:13] offset0:2 offset1:3
	s_waitcnt lgkmcnt(0)
	s_barrier
	s_and_saveexec_b64 s[18:19], s[14:15]
	s_cbranch_execz .LBB157_134
; %bb.131:                              ;   in Loop: Header=BB157_2 Depth=1
	s_mov_b64 s[20:21], 0
	v_mov_b32_e32 v104, v89
	v_mov_b32_e32 v10, v90
.LBB157_132:                            ;   Parent Loop BB157_2 Depth=1
                                        ; =>  This Inner Loop Header: Depth=2
	v_sub_u32_e32 v11, v10, v104
	v_lshrrev_b32_e32 v12, 31, v11
	v_add_u32_e32 v11, v11, v12
	v_ashrrev_i32_e32 v11, 1, v11
	v_add_u32_e32 v11, v11, v104
	v_xad_u32 v13, v11, -1, v1
	v_lshlrev_b32_e32 v12, 3, v11
	v_lshl_add_u32 v14, v13, 3, v102
	ds_read_b64 v[12:13], v12
	ds_read_b64 v[14:15], v14
	v_add_u32_e32 v16, 1, v11
	s_waitcnt lgkmcnt(0)
	v_cmp_lt_i64_e64 s[16:17], v[14:15], v[12:13]
	s_nop 1
	v_cndmask_b32_e64 v10, v10, v11, s[16:17]
	v_cndmask_b32_e64 v104, v16, v104, s[16:17]
	v_cmp_ge_i32_e64 s[16:17], v104, v10
	s_or_b64 s[20:21], s[16:17], s[20:21]
	s_andn2_b64 exec, exec, s[20:21]
	s_cbranch_execnz .LBB157_132
; %bb.133:                              ;   in Loop: Header=BB157_2 Depth=1
	s_or_b64 exec, exec, s[20:21]
.LBB157_134:                            ;   in Loop: Header=BB157_2 Depth=1
	s_or_b64 exec, exec, s[18:19]
	v_sub_u32_e32 v105, v103, v104
	v_lshlrev_b32_e32 v11, 3, v104
	v_lshlrev_b32_e32 v10, 3, v105
	ds_read_b64 v[12:13], v11
	ds_read_b64 v[14:15], v10
	v_cmp_le_i32_e64 s[18:19], v82, v104
	v_cmp_gt_i32_e64 s[16:17], s33, v105
                                        ; implicit-def: $vgpr16_vgpr17
	s_waitcnt lgkmcnt(0)
	v_cmp_lt_i64_e64 s[20:21], v[14:15], v[12:13]
	s_or_b64 s[18:19], s[18:19], s[20:21]
	s_and_b64 s[16:17], s[16:17], s[18:19]
	s_xor_b64 s[18:19], s[16:17], -1
	s_and_saveexec_b64 s[20:21], s[18:19]
	s_xor_b64 s[18:19], exec, s[20:21]
	s_cbranch_execz .LBB157_136
; %bb.135:                              ;   in Loop: Header=BB157_2 Depth=1
	ds_read_b64 v[16:17], v11 offset:8
                                        ; implicit-def: $vgpr10
.LBB157_136:                            ;   in Loop: Header=BB157_2 Depth=1
	s_or_saveexec_b64 s[18:19], s[18:19]
	v_mov_b64_e32 v[20:21], v[14:15]
	s_xor_b64 exec, exec, s[18:19]
	s_cbranch_execz .LBB157_138
; %bb.137:                              ;   in Loop: Header=BB157_2 Depth=1
	ds_read_b64 v[20:21], v10 offset:8
	s_waitcnt lgkmcnt(1)
	v_mov_b64_e32 v[16:17], v[12:13]
.LBB157_138:                            ;   in Loop: Header=BB157_2 Depth=1
	s_or_b64 exec, exec, s[18:19]
	v_add_u32_e32 v11, 1, v104
	v_add_u32_e32 v10, 1, v105
	v_cndmask_b32_e64 v107, v11, v104, s[16:17]
	v_cndmask_b32_e64 v106, v105, v10, s[16:17]
	v_cmp_ge_i32_e64 s[20:21], v107, v82
	s_waitcnt lgkmcnt(0)
	v_cmp_lt_i64_e64 s[22:23], v[20:21], v[16:17]
	v_cmp_gt_i32_e64 s[18:19], s33, v106
	s_or_b64 s[20:21], s[20:21], s[22:23]
	s_and_b64 s[20:21], s[18:19], s[20:21]
	s_xor_b64 s[18:19], s[20:21], -1
                                        ; implicit-def: $vgpr10_vgpr11
	s_and_saveexec_b64 s[22:23], s[18:19]
	s_xor_b64 s[18:19], exec, s[22:23]
	s_cbranch_execz .LBB157_140
; %bb.139:                              ;   in Loop: Header=BB157_2 Depth=1
	v_lshlrev_b32_e32 v10, 3, v107
	ds_read_b64 v[10:11], v10 offset:8
.LBB157_140:                            ;   in Loop: Header=BB157_2 Depth=1
	s_or_saveexec_b64 s[18:19], s[18:19]
	v_mov_b64_e32 v[18:19], v[20:21]
	s_xor_b64 exec, exec, s[18:19]
	s_cbranch_execz .LBB157_142
; %bb.141:                              ;   in Loop: Header=BB157_2 Depth=1
	s_waitcnt lgkmcnt(0)
	v_lshlrev_b32_e32 v10, 3, v106
	ds_read_b64 v[18:19], v10 offset:8
	v_mov_b64_e32 v[10:11], v[16:17]
.LBB157_142:                            ;   in Loop: Header=BB157_2 Depth=1
	s_or_b64 exec, exec, s[18:19]
	v_add_u32_e32 v23, 1, v107
	v_add_u32_e32 v22, 1, v106
	v_cndmask_b32_e64 v111, v23, v107, s[20:21]
	v_cndmask_b32_e64 v108, v106, v22, s[20:21]
	v_cmp_ge_i32_e64 s[22:23], v111, v82
	s_waitcnt lgkmcnt(0)
	v_cmp_lt_i64_e64 s[24:25], v[18:19], v[10:11]
	v_cmp_gt_i32_e64 s[18:19], s33, v108
	s_or_b64 s[22:23], s[22:23], s[24:25]
	s_and_b64 s[18:19], s[18:19], s[22:23]
	s_xor_b64 s[22:23], s[18:19], -1
                                        ; implicit-def: $vgpr22_vgpr23
                                        ; implicit-def: $vgpr110
	s_and_saveexec_b64 s[24:25], s[22:23]
	s_xor_b64 s[22:23], exec, s[24:25]
	s_cbranch_execz .LBB157_144
; %bb.143:                              ;   in Loop: Header=BB157_2 Depth=1
	v_lshlrev_b32_e32 v22, 3, v111
	ds_read_b64 v[22:23], v22 offset:8
	v_add_u32_e32 v110, 1, v111
.LBB157_144:                            ;   in Loop: Header=BB157_2 Depth=1
	s_or_saveexec_b64 s[22:23], s[22:23]
	v_mov_b32_e32 v109, v111
	v_mov_b64_e32 v[24:25], v[18:19]
	s_xor_b64 exec, exec, s[22:23]
	s_cbranch_execz .LBB157_1
; %bb.145:                              ;   in Loop: Header=BB157_2 Depth=1
	s_waitcnt lgkmcnt(0)
	v_lshlrev_b32_e32 v23, 3, v108
	ds_read_b64 v[24:25], v23 offset:8
	v_add_u32_e32 v22, 1, v108
	v_mov_b32_e32 v109, v108
	v_mov_b32_e32 v110, v111
	;; [unrolled: 1-line block ×3, first 2 shown]
	v_mov_b64_e32 v[22:23], v[10:11]
	s_branch .LBB157_1
.LBB157_146:
	s_add_u32 s0, s42, s44
	s_addc_u32 s1, s43, s45
	v_lshlrev_b32_e32 v0, 3, v0
	v_mov_b32_e32 v1, 0
	s_waitcnt lgkmcnt(3)
	v_lshl_add_u64 v[6:7], v[12:13], 0, v[6:7]
	s_waitcnt lgkmcnt(1)
	v_lshl_add_u64 v[2:3], v[10:11], 0, v[2:3]
	v_lshl_add_u64 v[10:11], s[0:1], 0, v[0:1]
	global_store_dwordx2 v0, v[6:7], s[0:1]
	v_add_co_u32_e32 v0, vcc, 0x1000, v10
	v_lshl_add_u64 v[8:9], v[14:15], 0, v[8:9]
	s_nop 0
	v_addc_co_u32_e32 v1, vcc, 0, v11, vcc
	global_store_dwordx2 v[0:1], v[8:9], off
	v_add_co_u32_e32 v0, vcc, 0x2000, v10
	s_waitcnt lgkmcnt(0)
	v_lshl_add_u64 v[4:5], v[16:17], 0, v[4:5]
	v_addc_co_u32_e32 v1, vcc, 0, v11, vcc
	global_store_dwordx2 v[0:1], v[2:3], off
	v_add_co_u32_e32 v0, vcc, 0x3000, v10
	s_nop 1
	v_addc_co_u32_e32 v1, vcc, 0, v11, vcc
	global_store_dwordx2 v[0:1], v[4:5], off
	s_endpgm
	.section	.rodata,"a",@progbits
	.p2align	6, 0x0
	.amdhsa_kernel _Z17sort_pairs_kernelIxLj512ELj4EN10test_utils4lessELj10EEvPKT_PS2_T2_
		.amdhsa_group_segment_fixed_size 16392
		.amdhsa_private_segment_fixed_size 0
		.amdhsa_kernarg_size 20
		.amdhsa_user_sgpr_count 2
		.amdhsa_user_sgpr_dispatch_ptr 0
		.amdhsa_user_sgpr_queue_ptr 0
		.amdhsa_user_sgpr_kernarg_segment_ptr 1
		.amdhsa_user_sgpr_dispatch_id 0
		.amdhsa_user_sgpr_kernarg_preload_length 0
		.amdhsa_user_sgpr_kernarg_preload_offset 0
		.amdhsa_user_sgpr_private_segment_size 0
		.amdhsa_uses_dynamic_stack 0
		.amdhsa_enable_private_segment 0
		.amdhsa_system_sgpr_workgroup_id_x 1
		.amdhsa_system_sgpr_workgroup_id_y 0
		.amdhsa_system_sgpr_workgroup_id_z 0
		.amdhsa_system_sgpr_workgroup_info 0
		.amdhsa_system_vgpr_workitem_id 0
		.amdhsa_next_free_vgpr 112
		.amdhsa_next_free_sgpr 48
		.amdhsa_accum_offset 112
		.amdhsa_reserve_vcc 1
		.amdhsa_float_round_mode_32 0
		.amdhsa_float_round_mode_16_64 0
		.amdhsa_float_denorm_mode_32 3
		.amdhsa_float_denorm_mode_16_64 3
		.amdhsa_dx10_clamp 1
		.amdhsa_ieee_mode 1
		.amdhsa_fp16_overflow 0
		.amdhsa_tg_split 0
		.amdhsa_exception_fp_ieee_invalid_op 0
		.amdhsa_exception_fp_denorm_src 0
		.amdhsa_exception_fp_ieee_div_zero 0
		.amdhsa_exception_fp_ieee_overflow 0
		.amdhsa_exception_fp_ieee_underflow 0
		.amdhsa_exception_fp_ieee_inexact 0
		.amdhsa_exception_int_div_zero 0
	.end_amdhsa_kernel
	.section	.text._Z17sort_pairs_kernelIxLj512ELj4EN10test_utils4lessELj10EEvPKT_PS2_T2_,"axG",@progbits,_Z17sort_pairs_kernelIxLj512ELj4EN10test_utils4lessELj10EEvPKT_PS2_T2_,comdat
.Lfunc_end157:
	.size	_Z17sort_pairs_kernelIxLj512ELj4EN10test_utils4lessELj10EEvPKT_PS2_T2_, .Lfunc_end157-_Z17sort_pairs_kernelIxLj512ELj4EN10test_utils4lessELj10EEvPKT_PS2_T2_
                                        ; -- End function
	.section	.AMDGPU.csdata,"",@progbits
; Kernel info:
; codeLenInByte = 8612
; NumSgprs: 54
; NumVgprs: 112
; NumAgprs: 0
; TotalNumVgprs: 112
; ScratchSize: 0
; MemoryBound: 0
; FloatMode: 240
; IeeeMode: 1
; LDSByteSize: 16392 bytes/workgroup (compile time only)
; SGPRBlocks: 6
; VGPRBlocks: 13
; NumSGPRsForWavesPerEU: 54
; NumVGPRsForWavesPerEU: 112
; AccumOffset: 112
; Occupancy: 4
; WaveLimiterHint : 1
; COMPUTE_PGM_RSRC2:SCRATCH_EN: 0
; COMPUTE_PGM_RSRC2:USER_SGPR: 2
; COMPUTE_PGM_RSRC2:TRAP_HANDLER: 0
; COMPUTE_PGM_RSRC2:TGID_X_EN: 1
; COMPUTE_PGM_RSRC2:TGID_Y_EN: 0
; COMPUTE_PGM_RSRC2:TGID_Z_EN: 0
; COMPUTE_PGM_RSRC2:TIDIG_COMP_CNT: 0
; COMPUTE_PGM_RSRC3_GFX90A:ACCUM_OFFSET: 27
; COMPUTE_PGM_RSRC3_GFX90A:TG_SPLIT: 0
	.section	.text._Z16sort_keys_kernelIxLj512ELj8EN10test_utils4lessELj10EEvPKT_PS2_T2_,"axG",@progbits,_Z16sort_keys_kernelIxLj512ELj8EN10test_utils4lessELj10EEvPKT_PS2_T2_,comdat
	.protected	_Z16sort_keys_kernelIxLj512ELj8EN10test_utils4lessELj10EEvPKT_PS2_T2_ ; -- Begin function _Z16sort_keys_kernelIxLj512ELj8EN10test_utils4lessELj10EEvPKT_PS2_T2_
	.globl	_Z16sort_keys_kernelIxLj512ELj8EN10test_utils4lessELj10EEvPKT_PS2_T2_
	.p2align	8
	.type	_Z16sort_keys_kernelIxLj512ELj8EN10test_utils4lessELj10EEvPKT_PS2_T2_,@function
_Z16sort_keys_kernelIxLj512ELj8EN10test_utils4lessELj10EEvPKT_PS2_T2_: ; @_Z16sort_keys_kernelIxLj512ELj8EN10test_utils4lessELj10EEvPKT_PS2_T2_
; %bb.0:
	s_load_dwordx4 s[36:39], s[0:1], 0x0
	s_lshl_b32 s40, s2, 12
	s_mov_b32 s41, 0
	s_lshl_b64 s[42:43], s[40:41], 3
	v_mov_b32_e32 v3, 0
	s_waitcnt lgkmcnt(0)
	s_add_u32 s0, s36, s42
	s_addc_u32 s1, s37, s43
	v_lshlrev_b32_e32 v2, 3, v0
	v_lshl_add_u64 v[12:13], s[0:1], 0, v[2:3]
	s_movk_i32 s2, 0x2000
	v_add_co_u32_e32 v4, vcc, s2, v12
	s_movk_i32 s2, 0x4000
	s_nop 0
	v_addc_co_u32_e32 v5, vcc, 0, v13, vcc
	v_add_co_u32_e32 v18, vcc, s2, v12
	s_movk_i32 s2, 0x6000
	s_nop 0
	v_addc_co_u32_e32 v19, vcc, 0, v13, vcc
	v_add_co_u32_e32 v20, vcc, s2, v12
	global_load_dwordx2 v[16:17], v[4:5], off offset:-4096
	global_load_dwordx2 v[8:9], v[4:5], off
	v_addc_co_u32_e32 v21, vcc, 0, v13, vcc
	global_load_dwordx2 v[14:15], v[18:19], off offset:-4096
	global_load_dwordx2 v[6:7], v[18:19], off
	global_load_dwordx2 v[10:11], v[20:21], off offset:-4096
	global_load_dwordx2 v[4:5], v[20:21], off
	s_movk_i32 s2, 0x7000
	v_add_co_u32_e32 v18, vcc, s2, v12
	v_and_b32_e32 v3, 0xff0, v2
	s_nop 0
	v_addc_co_u32_e32 v19, vcc, 0, v13, vcc
	global_load_dwordx2 v[20:21], v2, s[0:1]
	global_load_dwordx2 v[12:13], v[18:19], off
	v_or_b32_e32 v41, 8, v3
	v_add_u32_e32 v42, 16, v3
	v_and_b32_e32 v48, 0xfe0, v2
	v_and_b32_e32 v40, 8, v2
	v_sub_u32_e32 v19, v42, v41
	v_or_b32_e32 v50, 16, v48
	v_add_u32_e32 v51, 32, v48
	v_and_b32_e32 v57, 0xfc0, v2
	v_sub_u32_e32 v18, v41, v3
	v_sub_u32_e32 v22, v40, v19
	v_cmp_ge_i32_e32 vcc, v40, v19
	v_and_b32_e32 v49, 24, v2
	v_sub_u32_e32 v19, v51, v50
	v_or_b32_e32 v59, 32, v57
	v_add_u32_e32 v60, 64, v57
	v_and_b32_e32 v66, 0xf80, v2
	v_cndmask_b32_e32 v45, 0, v22, vcc
	v_min_i32_e32 v46, v40, v18
	v_sub_u32_e32 v18, v50, v48
	v_sub_u32_e32 v22, v49, v19
	v_cmp_ge_i32_e64 s[0:1], v49, v19
	v_and_b32_e32 v58, 56, v2
	v_sub_u32_e32 v19, v60, v59
	v_or_b32_e32 v68, 64, v66
	v_add_u32_e32 v69, 0x80, v66
	v_and_b32_e32 v75, 0xf00, v2
	v_cndmask_b32_e64 v54, 0, v22, s[0:1]
	v_min_i32_e32 v55, v49, v18
	v_sub_u32_e32 v18, v59, v57
	v_sub_u32_e32 v22, v58, v19
	v_cmp_ge_i32_e64 s[2:3], v58, v19
	v_and_b32_e32 v67, 0x78, v2
	v_sub_u32_e32 v19, v69, v68
	v_or_b32_e32 v77, 0x80, v75
	v_add_u32_e32 v78, 0x100, v75
	v_and_b32_e32 v84, 0xe00, v2
	v_cndmask_b32_e64 v63, 0, v22, s[2:3]
	;; [unrolled: 10-line block ×4, first 2 shown]
	v_min_i32_e32 v82, v76, v18
	v_sub_u32_e32 v18, v86, v84
	v_sub_u32_e32 v22, v85, v19
	v_cmp_ge_i32_e64 s[8:9], v85, v19
	v_and_b32_e32 v94, 0x3f8, v2
	v_sub_u32_e32 v19, v96, v95
	v_or_b32_e32 v105, 0x400, v103
	v_add_u32_e32 v106, 0x800, v103
	v_cndmask_b32_e64 v90, 0, v22, s[8:9]
	v_min_i32_e32 v91, v85, v18
	v_sub_u32_e32 v18, v95, v93
	v_sub_u32_e32 v22, v94, v19
	v_cmp_ge_i32_e64 s[10:11], v94, v19
	v_and_b32_e32 v104, 0x7f8, v2
	v_sub_u32_e32 v19, v106, v105
	v_cndmask_b32_e64 v99, 0, v22, s[10:11]
	v_min_i32_e32 v100, v94, v18
	v_mov_b32_e32 v102, 0x800
	v_sub_u32_e32 v18, v105, v103
	v_sub_u32_e32 v22, v104, v19
	v_cmp_ge_i32_e64 s[12:13], v104, v19
	v_min_i32_e32 v110, v104, v18
	v_sub_u32_e64 v113, v2, v102 clamp
	v_cndmask_b32_e64 v109, 0, v22, s[12:13]
	v_min_i32_e32 v114, 0x800, v2
	s_movk_i32 s33, 0x1000
	v_lshlrev_b32_e32 v1, 6, v0
	v_lshlrev_b32_e32 v43, 3, v3
	;; [unrolled: 1-line block ×3, first 2 shown]
	v_cmp_lt_i32_e32 vcc, v45, v46
	v_add_u32_e32 v47, v41, v40
	v_lshlrev_b32_e32 v52, 3, v48
	v_lshlrev_b32_e32 v53, 3, v50
	v_cmp_lt_i32_e64 s[0:1], v54, v55
	v_add_u32_e32 v56, v50, v49
	v_lshlrev_b32_e32 v61, 3, v57
	v_lshlrev_b32_e32 v62, 3, v59
	v_cmp_lt_i32_e64 s[2:3], v63, v64
	;; [unrolled: 4-line block ×7, first 2 shown]
	v_add_u32_e32 v111, v105, v104
	v_mov_b32_e32 v112, 0x4000
	v_cmp_lt_i32_e64 s[14:15], v113, v114
	v_add_u32_e32 v115, 0x800, v2
	s_branch .LBB158_2
.LBB158_1:                              ;   in Loop: Header=BB158_2 Depth=1
	s_or_b64 exec, exec, s[30:31]
	v_cndmask_b32_e64 v17, v9, v11, s[18:19]
	v_cndmask_b32_e64 v16, v8, v10, s[18:19]
	;; [unrolled: 1-line block ×4, first 2 shown]
	v_cmp_ge_i32_e64 s[18:19], v117, v102
	s_waitcnt lgkmcnt(0)
	v_cmp_lt_i64_e64 s[20:21], v[38:39], v[36:37]
	v_cndmask_b32_e64 v21, v5, v7, s[16:17]
	v_cndmask_b32_e64 v20, v4, v6, s[16:17]
	v_cmp_gt_i32_e64 s[16:17], s33, v116
	s_or_b64 s[18:19], s[18:19], s[20:21]
	s_and_b64 s[16:17], s[16:17], s[18:19]
	s_add_i32 s41, s41, 1
	v_cndmask_b32_e64 v15, v19, v23, s[22:23]
	v_cndmask_b32_e64 v14, v18, v22, s[22:23]
	;; [unrolled: 1-line block ×9, first 2 shown]
	s_cmp_eq_u32 s41, 10
	v_cndmask_b32_e64 v12, v36, v38, s[16:17]
	s_cbranch_scc1 .LBB158_290
.LBB158_2:                              ; =>This Loop Header: Depth=1
                                        ;     Child Loop BB158_4 Depth 2
                                        ;     Child Loop BB158_36 Depth 2
	;; [unrolled: 1-line block ×9, first 2 shown]
	s_waitcnt vmcnt(1)
	v_cmp_lt_i64_e64 s[16:17], v[16:17], v[20:21]
	s_barrier
	s_nop 0
	v_cndmask_b32_e64 v19, v21, v17, s[16:17]
	v_cndmask_b32_e64 v18, v20, v16, s[16:17]
	v_cndmask_b32_e64 v22, v16, v20, s[16:17]
	v_cndmask_b32_e64 v23, v17, v21, s[16:17]
	v_cmp_gt_i64_e64 s[16:17], v[16:17], v[20:21]
	s_nop 1
	v_cndmask_b32_e64 v17, v21, v17, s[16:17]
	v_cndmask_b32_e64 v16, v20, v16, s[16:17]
	v_cmp_lt_i64_e64 s[16:17], v[14:15], v[8:9]
	s_nop 1
	v_cndmask_b32_e64 v21, v9, v15, s[16:17]
	v_cndmask_b32_e64 v20, v8, v14, s[16:17]
	;; [unrolled: 1-line block ×4, first 2 shown]
	v_cmp_gt_i64_e64 s[16:17], v[14:15], v[8:9]
	v_cmp_gt_i64_e64 s[18:19], v[20:21], v[16:17]
	s_nop 0
	v_cndmask_b32_e64 v9, v9, v15, s[16:17]
	v_cndmask_b32_e64 v8, v8, v14, s[16:17]
	v_cmp_lt_i64_e64 s[16:17], v[10:11], v[6:7]
	s_nop 1
	v_cndmask_b32_e64 v15, v7, v11, s[16:17]
	v_cndmask_b32_e64 v14, v6, v10, s[16:17]
	;; [unrolled: 1-line block ×4, first 2 shown]
	v_cmp_gt_i64_e64 s[16:17], v[10:11], v[6:7]
	s_nop 1
	v_cndmask_b32_e64 v7, v7, v11, s[16:17]
	v_cndmask_b32_e64 v6, v6, v10, s[16:17]
	s_waitcnt vmcnt(0)
	v_cmp_lt_i64_e64 s[16:17], v[12:13], v[4:5]
	s_nop 1
	v_cndmask_b32_e64 v11, v5, v13, s[16:17]
	v_cndmask_b32_e64 v10, v4, v12, s[16:17]
	;; [unrolled: 1-line block ×4, first 2 shown]
	v_cmp_gt_i64_e64 s[16:17], v[12:13], v[4:5]
	s_nop 1
	v_cndmask_b32_e64 v5, v5, v13, s[16:17]
	v_cndmask_b32_e64 v4, v4, v12, s[16:17]
	v_cmp_lt_i64_e64 s[16:17], v[20:21], v[16:17]
	v_cndmask_b32_e64 v13, v17, v21, s[18:19]
	v_cndmask_b32_e64 v12, v16, v20, s[18:19]
	v_cndmask_b32_e64 v30, v21, v17, s[16:17]
	v_cndmask_b32_e64 v31, v20, v16, s[16:17]
	v_cndmask_b32_e64 v23, v23, v21, s[16:17]
	v_cndmask_b32_e64 v22, v22, v20, s[16:17]
	v_cndmask_b32_e64 v32, v16, v20, s[16:17]
	v_cndmask_b32_e64 v33, v17, v21, s[16:17]
	v_cmp_lt_i64_e64 s[16:17], v[14:15], v[8:9]
	v_cmp_gt_i64_e64 s[18:19], v[14:15], v[8:9]
	s_nop 0
	v_cndmask_b32_e64 v34, v15, v9, s[16:17]
	v_cndmask_b32_e64 v35, v14, v8, s[16:17]
	v_cndmask_b32_e64 v25, v25, v15, s[16:17]
	v_cndmask_b32_e64 v24, v24, v14, s[16:17]
	v_cndmask_b32_e64 v17, v9, v15, s[18:19]
	v_cndmask_b32_e64 v16, v8, v14, s[18:19]
	v_cndmask_b32_e64 v9, v9, v15, s[16:17]
	v_cndmask_b32_e64 v8, v8, v14, s[16:17]
	v_cmp_lt_i64_e64 s[16:17], v[10:11], v[6:7]
	v_cmp_gt_i64_e64 s[18:19], v[10:11], v[6:7]
	s_nop 0
	;; [unrolled: 11-line block ×3, first 2 shown]
	v_cndmask_b32_e64 v15, v19, v33, s[16:17]
	v_cndmask_b32_e64 v14, v18, v32, s[16:17]
	;; [unrolled: 1-line block ×6, first 2 shown]
	v_cmp_lt_i64_e64 s[16:17], v[8:9], v[12:13]
	v_cndmask_b32_e64 v21, v13, v9, s[18:19]
	v_cndmask_b32_e64 v20, v12, v8, s[18:19]
	;; [unrolled: 1-line block ×8, first 2 shown]
	v_cmp_lt_i64_e64 s[16:17], v[10:11], v[16:17]
	v_cmp_gt_i64_e64 s[18:19], v[10:11], v[16:17]
	s_nop 0
	v_cndmask_b32_e64 v26, v26, v16, s[16:17]
	v_cndmask_b32_e64 v27, v27, v17, s[16:17]
	;; [unrolled: 1-line block ×8, first 2 shown]
	v_cmp_gt_i64_e64 s[16:17], v[6:7], v[4:5]
	v_cmp_gt_i64_e64 s[18:19], v[8:9], v[18:19]
	s_nop 0
	v_cndmask_b32_e64 v29, v29, v39, s[16:17]
	v_cndmask_b32_e64 v28, v28, v38, s[16:17]
	;; [unrolled: 1-line block ×8, first 2 shown]
	v_cmp_lt_i64_e64 s[16:17], v[8:9], v[18:19]
	v_cndmask_b32_e64 v17, v19, v9, s[18:19]
	v_cndmask_b32_e64 v16, v18, v8, s[18:19]
	v_cndmask_b32_e64 v30, v30, v19, s[16:17]
	v_cndmask_b32_e64 v31, v31, v18, s[16:17]
	v_cndmask_b32_e64 v23, v23, v9, s[16:17]
	v_cndmask_b32_e64 v22, v22, v8, s[16:17]
	v_cndmask_b32_e64 v9, v19, v9, s[16:17]
	v_cndmask_b32_e64 v8, v18, v8, s[16:17]
	v_cmp_lt_i64_e64 s[16:17], v[10:11], v[20:21]
	v_cmp_gt_i64_e64 s[18:19], v[10:11], v[20:21]
	s_nop 0
	v_cndmask_b32_e64 v33, v33, v21, s[16:17]
	v_cndmask_b32_e64 v32, v32, v20, s[16:17]
	v_cndmask_b32_e64 v25, v25, v11, s[16:17]
	v_cndmask_b32_e64 v24, v24, v10, s[16:17]
	v_cndmask_b32_e64 v19, v21, v11, s[18:19]
	v_cndmask_b32_e64 v18, v20, v10, s[18:19]
	v_cndmask_b32_e64 v11, v21, v11, s[16:17]
	v_cndmask_b32_e64 v10, v20, v10, s[16:17]
	v_cmp_lt_i64_e64 s[16:17], v[4:5], v[12:13]
	v_cmp_gt_i64_e64 s[18:19], v[4:5], v[12:13]
	s_nop 0
	;; [unrolled: 11-line block ×3, first 2 shown]
	v_cndmask_b32_e64 v22, v22, v14, s[16:17]
	v_cndmask_b32_e64 v23, v23, v15, s[16:17]
	;; [unrolled: 1-line block ×4, first 2 shown]
	v_cmp_gt_i64_e64 s[16:17], v[8:9], v[14:15]
	s_nop 1
	v_cndmask_b32_e64 v9, v15, v9, s[16:17]
	v_cndmask_b32_e64 v8, v14, v8, s[16:17]
	v_cmp_lt_i64_e64 s[16:17], v[10:11], v[16:17]
	v_cndmask_b32_e64 v15, v17, v11, s[18:19]
	v_cndmask_b32_e64 v14, v16, v10, s[18:19]
	v_cndmask_b32_e64 v24, v24, v16, s[16:17]
	v_cndmask_b32_e64 v25, v25, v17, s[16:17]
	v_cndmask_b32_e64 v31, v31, v10, s[16:17]
	v_cndmask_b32_e64 v30, v30, v11, s[16:17]
	v_cndmask_b32_e64 v11, v17, v11, s[16:17]
	v_cndmask_b32_e64 v10, v16, v10, s[16:17]
	v_cmp_lt_i64_e64 s[16:17], v[4:5], v[18:19]
	v_cmp_gt_i64_e64 s[18:19], v[4:5], v[18:19]
	s_nop 0
	v_cndmask_b32_e64 v26, v26, v18, s[16:17]
	v_cndmask_b32_e64 v27, v27, v19, s[16:17]
	v_cndmask_b32_e64 v32, v32, v4, s[16:17]
	v_cndmask_b32_e64 v33, v33, v5, s[16:17]
	v_cndmask_b32_e64 v17, v19, v5, s[18:19]
	v_cndmask_b32_e64 v16, v18, v4, s[18:19]
	v_cndmask_b32_e64 v5, v19, v5, s[16:17]
	v_cndmask_b32_e64 v4, v18, v4, s[16:17]
	v_cmp_lt_i64_e64 s[16:17], v[6:7], v[20:21]
	v_cmp_gt_i64_e64 s[18:19], v[6:7], v[20:21]
	s_nop 0
	;; [unrolled: 11-line block ×6, first 2 shown]
	v_cndmask_b32_e64 v11, v13, v37, s[16:17]
	v_cndmask_b32_e64 v10, v12, v36, s[16:17]
	v_cndmask_b32_e64 v22, v22, v12, s[16:17]
	v_cndmask_b32_e64 v23, v23, v13, s[16:17]
	v_cndmask_b32_e64 v13, v37, v13, s[16:17]
	v_cndmask_b32_e64 v12, v36, v12, s[16:17]
	v_cmp_lt_i64_e64 s[16:17], v[4:5], v[20:21]
	v_cndmask_b32_e64 v15, v21, v5, s[18:19]
	v_cndmask_b32_e64 v14, v20, v4, s[18:19]
	;; [unrolled: 1-line block ×8, first 2 shown]
	v_cmp_lt_i64_e64 s[16:17], v[6:7], v[8:9]
	v_cmp_gt_i64_e64 s[18:19], v[6:7], v[8:9]
	s_nop 0
	v_cndmask_b32_e64 v26, v26, v8, s[16:17]
	v_cndmask_b32_e64 v27, v27, v9, s[16:17]
	;; [unrolled: 1-line block ×8, first 2 shown]
	v_cmp_gt_i64_e64 s[16:17], v[16:17], v[18:19]
	s_nop 1
	v_cndmask_b32_e64 v9, v29, v39, s[16:17]
	v_cndmask_b32_e64 v8, v28, v38, s[16:17]
	;; [unrolled: 1-line block ×6, first 2 shown]
	v_cmp_lt_i64_e64 s[16:17], v[4:5], v[12:13]
	s_nop 1
	v_cndmask_b32_e64 v13, v30, v13, s[16:17]
	v_cndmask_b32_e64 v12, v31, v12, s[16:17]
	v_cndmask_b32_e64 v5, v23, v5, s[16:17]
	v_cndmask_b32_e64 v4, v22, v4, s[16:17]
	v_cmp_lt_i64_e64 s[16:17], v[6:7], v[14:15]
	s_nop 1
	v_cndmask_b32_e64 v15, v33, v15, s[16:17]
	v_cndmask_b32_e64 v14, v32, v14, s[16:17]
	v_cndmask_b32_e64 v7, v25, v7, s[16:17]
	v_cndmask_b32_e64 v6, v24, v6, s[16:17]
	;; [unrolled: 6-line block ×3, first 2 shown]
	ds_write2_b64 v1, v[10:11], v[4:5] offset1:1
	ds_write2_b64 v1, v[12:13], v[6:7] offset0:2 offset1:3
	ds_write2_b64 v1, v[14:15], v[16:17] offset0:4 offset1:5
	;; [unrolled: 1-line block ×3, first 2 shown]
	v_mov_b32_e32 v8, v45
	s_waitcnt lgkmcnt(0)
	s_barrier
	s_and_saveexec_b64 s[18:19], vcc
	s_cbranch_execz .LBB158_6
; %bb.3:                                ;   in Loop: Header=BB158_2 Depth=1
	s_mov_b64 s[20:21], 0
	v_mov_b32_e32 v8, v45
	v_mov_b32_e32 v4, v46
.LBB158_4:                              ;   Parent Loop BB158_2 Depth=1
                                        ; =>  This Inner Loop Header: Depth=2
	v_sub_u32_e32 v5, v4, v8
	v_lshrrev_b32_e32 v6, 31, v5
	v_add_u32_e32 v5, v5, v6
	v_ashrrev_i32_e32 v5, 1, v5
	v_add_u32_e32 v5, v5, v8
	v_lshl_add_u32 v6, v5, 3, v43
	v_xad_u32 v7, v5, -1, v40
	v_lshl_add_u32 v9, v7, 3, v44
	ds_read_b64 v[6:7], v6
	ds_read_b64 v[10:11], v9
	v_add_u32_e32 v9, 1, v5
	s_waitcnt lgkmcnt(0)
	v_cmp_lt_i64_e64 s[16:17], v[10:11], v[6:7]
	s_nop 1
	v_cndmask_b32_e64 v4, v4, v5, s[16:17]
	v_cndmask_b32_e64 v8, v9, v8, s[16:17]
	v_cmp_ge_i32_e64 s[16:17], v8, v4
	s_or_b64 s[20:21], s[16:17], s[20:21]
	s_andn2_b64 exec, exec, s[20:21]
	s_cbranch_execnz .LBB158_4
; %bb.5:                                ;   in Loop: Header=BB158_2 Depth=1
	s_or_b64 exec, exec, s[20:21]
.LBB158_6:                              ;   in Loop: Header=BB158_2 Depth=1
	s_or_b64 exec, exec, s[18:19]
	v_sub_u32_e32 v12, v47, v8
	v_lshl_add_u32 v10, v8, 3, v43
	v_lshlrev_b32_e32 v14, 3, v12
	ds_read_b64 v[4:5], v10
	ds_read_b64 v[6:7], v14
	v_add_u32_e32 v13, v8, v3
	v_cmp_le_i32_e64 s[18:19], v41, v13
	v_cmp_gt_i32_e64 s[16:17], v42, v12
                                        ; implicit-def: $vgpr8_vgpr9
	s_waitcnt lgkmcnt(0)
	v_cmp_lt_i64_e64 s[20:21], v[6:7], v[4:5]
	s_or_b64 s[18:19], s[18:19], s[20:21]
	s_and_b64 s[16:17], s[16:17], s[18:19]
	s_xor_b64 s[18:19], s[16:17], -1
	s_and_saveexec_b64 s[20:21], s[18:19]
	s_xor_b64 s[18:19], exec, s[20:21]
	s_cbranch_execz .LBB158_8
; %bb.7:                                ;   in Loop: Header=BB158_2 Depth=1
	ds_read_b64 v[8:9], v10 offset:8
                                        ; implicit-def: $vgpr14
.LBB158_8:                              ;   in Loop: Header=BB158_2 Depth=1
	s_or_saveexec_b64 s[18:19], s[18:19]
	v_mov_b64_e32 v[10:11], v[6:7]
	s_xor_b64 exec, exec, s[18:19]
	s_cbranch_execz .LBB158_10
; %bb.9:                                ;   in Loop: Header=BB158_2 Depth=1
	ds_read_b64 v[10:11], v14 offset:8
	s_waitcnt lgkmcnt(1)
	v_mov_b64_e32 v[8:9], v[4:5]
.LBB158_10:                             ;   in Loop: Header=BB158_2 Depth=1
	s_or_b64 exec, exec, s[18:19]
	v_add_u32_e32 v15, 1, v13
	v_add_u32_e32 v14, 1, v12
	v_cndmask_b32_e64 v17, v15, v13, s[16:17]
	v_cndmask_b32_e64 v16, v12, v14, s[16:17]
	v_cmp_ge_i32_e64 s[20:21], v17, v41
	s_waitcnt lgkmcnt(0)
	v_cmp_lt_i64_e64 s[22:23], v[10:11], v[8:9]
	v_cmp_lt_i32_e64 s[18:19], v16, v42
	s_or_b64 s[20:21], s[20:21], s[22:23]
	s_and_b64 s[18:19], s[18:19], s[20:21]
	s_xor_b64 s[20:21], s[18:19], -1
                                        ; implicit-def: $vgpr12_vgpr13
	s_and_saveexec_b64 s[22:23], s[20:21]
	s_xor_b64 s[20:21], exec, s[22:23]
	s_cbranch_execz .LBB158_12
; %bb.11:                               ;   in Loop: Header=BB158_2 Depth=1
	v_lshlrev_b32_e32 v12, 3, v17
	ds_read_b64 v[12:13], v12 offset:8
.LBB158_12:                             ;   in Loop: Header=BB158_2 Depth=1
	s_or_saveexec_b64 s[20:21], s[20:21]
	v_mov_b64_e32 v[14:15], v[10:11]
	s_xor_b64 exec, exec, s[20:21]
	s_cbranch_execz .LBB158_14
; %bb.13:                               ;   in Loop: Header=BB158_2 Depth=1
	s_waitcnt lgkmcnt(0)
	v_lshlrev_b32_e32 v12, 3, v16
	ds_read_b64 v[14:15], v12 offset:8
	v_mov_b64_e32 v[12:13], v[8:9]
.LBB158_14:                             ;   in Loop: Header=BB158_2 Depth=1
	s_or_b64 exec, exec, s[20:21]
	v_add_u32_e32 v19, 1, v17
	v_add_u32_e32 v18, 1, v16
	v_cndmask_b32_e64 v21, v19, v17, s[18:19]
	v_cndmask_b32_e64 v20, v16, v18, s[18:19]
	v_cmp_ge_i32_e64 s[22:23], v21, v41
	s_waitcnt lgkmcnt(0)
	v_cmp_lt_i64_e64 s[24:25], v[14:15], v[12:13]
	v_cmp_lt_i32_e64 s[20:21], v20, v42
	s_or_b64 s[22:23], s[22:23], s[24:25]
	s_and_b64 s[20:21], s[20:21], s[22:23]
	s_xor_b64 s[22:23], s[20:21], -1
                                        ; implicit-def: $vgpr16_vgpr17
	s_and_saveexec_b64 s[24:25], s[22:23]
	s_xor_b64 s[22:23], exec, s[24:25]
	s_cbranch_execz .LBB158_16
; %bb.15:                               ;   in Loop: Header=BB158_2 Depth=1
	v_lshlrev_b32_e32 v16, 3, v21
	ds_read_b64 v[16:17], v16 offset:8
.LBB158_16:                             ;   in Loop: Header=BB158_2 Depth=1
	s_or_saveexec_b64 s[22:23], s[22:23]
	v_mov_b64_e32 v[18:19], v[14:15]
	s_xor_b64 exec, exec, s[22:23]
	s_cbranch_execz .LBB158_18
; %bb.17:                               ;   in Loop: Header=BB158_2 Depth=1
	s_waitcnt lgkmcnt(0)
	v_lshlrev_b32_e32 v16, 3, v20
	ds_read_b64 v[18:19], v16 offset:8
	v_mov_b64_e32 v[16:17], v[12:13]
.LBB158_18:                             ;   in Loop: Header=BB158_2 Depth=1
	s_or_b64 exec, exec, s[22:23]
	v_add_u32_e32 v23, 1, v21
	v_add_u32_e32 v22, 1, v20
	v_cndmask_b32_e64 v25, v23, v21, s[20:21]
	v_cndmask_b32_e64 v24, v20, v22, s[20:21]
	v_cmp_ge_i32_e64 s[24:25], v25, v41
	s_waitcnt lgkmcnt(0)
	v_cmp_lt_i64_e64 s[26:27], v[18:19], v[16:17]
	v_cmp_lt_i32_e64 s[22:23], v24, v42
	s_or_b64 s[24:25], s[24:25], s[26:27]
	s_and_b64 s[22:23], s[22:23], s[24:25]
	s_xor_b64 s[24:25], s[22:23], -1
                                        ; implicit-def: $vgpr20_vgpr21
	s_and_saveexec_b64 s[26:27], s[24:25]
	s_xor_b64 s[24:25], exec, s[26:27]
	s_cbranch_execz .LBB158_20
; %bb.19:                               ;   in Loop: Header=BB158_2 Depth=1
	v_lshlrev_b32_e32 v20, 3, v25
	ds_read_b64 v[20:21], v20 offset:8
.LBB158_20:                             ;   in Loop: Header=BB158_2 Depth=1
	s_or_saveexec_b64 s[24:25], s[24:25]
	v_mov_b64_e32 v[22:23], v[18:19]
	s_xor_b64 exec, exec, s[24:25]
	s_cbranch_execz .LBB158_22
; %bb.21:                               ;   in Loop: Header=BB158_2 Depth=1
	s_waitcnt lgkmcnt(0)
	v_lshlrev_b32_e32 v20, 3, v24
	ds_read_b64 v[22:23], v20 offset:8
	v_mov_b64_e32 v[20:21], v[16:17]
.LBB158_22:                             ;   in Loop: Header=BB158_2 Depth=1
	s_or_b64 exec, exec, s[24:25]
	v_add_u32_e32 v27, 1, v25
	v_add_u32_e32 v26, 1, v24
	v_cndmask_b32_e64 v29, v27, v25, s[22:23]
	v_cndmask_b32_e64 v28, v24, v26, s[22:23]
	v_cmp_ge_i32_e64 s[26:27], v29, v41
	s_waitcnt lgkmcnt(0)
	v_cmp_lt_i64_e64 s[28:29], v[22:23], v[20:21]
	v_cmp_lt_i32_e64 s[24:25], v28, v42
	s_or_b64 s[26:27], s[26:27], s[28:29]
	s_and_b64 s[24:25], s[24:25], s[26:27]
	s_xor_b64 s[26:27], s[24:25], -1
                                        ; implicit-def: $vgpr24_vgpr25
	s_and_saveexec_b64 s[28:29], s[26:27]
	s_xor_b64 s[26:27], exec, s[28:29]
	s_cbranch_execz .LBB158_24
; %bb.23:                               ;   in Loop: Header=BB158_2 Depth=1
	v_lshlrev_b32_e32 v24, 3, v29
	ds_read_b64 v[24:25], v24 offset:8
.LBB158_24:                             ;   in Loop: Header=BB158_2 Depth=1
	s_or_saveexec_b64 s[26:27], s[26:27]
	v_mov_b64_e32 v[26:27], v[22:23]
	s_xor_b64 exec, exec, s[26:27]
	s_cbranch_execz .LBB158_26
; %bb.25:                               ;   in Loop: Header=BB158_2 Depth=1
	s_waitcnt lgkmcnt(0)
	v_lshlrev_b32_e32 v24, 3, v28
	ds_read_b64 v[26:27], v24 offset:8
	v_mov_b64_e32 v[24:25], v[20:21]
.LBB158_26:                             ;   in Loop: Header=BB158_2 Depth=1
	s_or_b64 exec, exec, s[26:27]
	v_add_u32_e32 v31, 1, v29
	v_add_u32_e32 v30, 1, v28
	v_cndmask_b32_e64 v33, v31, v29, s[24:25]
	v_cndmask_b32_e64 v32, v28, v30, s[24:25]
	v_cmp_ge_i32_e64 s[28:29], v33, v41
	s_waitcnt lgkmcnt(0)
	v_cmp_lt_i64_e64 s[30:31], v[26:27], v[24:25]
	v_cmp_lt_i32_e64 s[26:27], v32, v42
	s_or_b64 s[28:29], s[28:29], s[30:31]
	s_and_b64 s[26:27], s[26:27], s[28:29]
	s_xor_b64 s[28:29], s[26:27], -1
                                        ; implicit-def: $vgpr28_vgpr29
	s_and_saveexec_b64 s[30:31], s[28:29]
	s_xor_b64 s[28:29], exec, s[30:31]
	s_cbranch_execz .LBB158_28
; %bb.27:                               ;   in Loop: Header=BB158_2 Depth=1
	v_lshlrev_b32_e32 v28, 3, v33
	ds_read_b64 v[28:29], v28 offset:8
.LBB158_28:                             ;   in Loop: Header=BB158_2 Depth=1
	s_or_saveexec_b64 s[28:29], s[28:29]
	v_mov_b64_e32 v[30:31], v[26:27]
	s_xor_b64 exec, exec, s[28:29]
	s_cbranch_execz .LBB158_30
; %bb.29:                               ;   in Loop: Header=BB158_2 Depth=1
	s_waitcnt lgkmcnt(0)
	v_lshlrev_b32_e32 v28, 3, v32
	ds_read_b64 v[30:31], v28 offset:8
	v_mov_b64_e32 v[28:29], v[24:25]
.LBB158_30:                             ;   in Loop: Header=BB158_2 Depth=1
	s_or_b64 exec, exec, s[28:29]
	v_add_u32_e32 v35, 1, v33
	v_add_u32_e32 v34, 1, v32
	v_cndmask_b32_e64 v37, v35, v33, s[26:27]
	v_cndmask_b32_e64 v36, v32, v34, s[26:27]
	v_cmp_ge_i32_e64 s[30:31], v37, v41
	s_waitcnt lgkmcnt(0)
	v_cmp_lt_i64_e64 s[34:35], v[30:31], v[28:29]
	v_cmp_lt_i32_e64 s[28:29], v36, v42
	s_or_b64 s[30:31], s[30:31], s[34:35]
	s_and_b64 s[28:29], s[28:29], s[30:31]
	s_xor_b64 s[30:31], s[28:29], -1
                                        ; implicit-def: $vgpr32_vgpr33
	s_and_saveexec_b64 s[34:35], s[30:31]
	s_xor_b64 s[30:31], exec, s[34:35]
	s_cbranch_execz .LBB158_32
; %bb.31:                               ;   in Loop: Header=BB158_2 Depth=1
	v_lshlrev_b32_e32 v32, 3, v37
	ds_read_b64 v[32:33], v32 offset:8
.LBB158_32:                             ;   in Loop: Header=BB158_2 Depth=1
	s_or_saveexec_b64 s[30:31], s[30:31]
	v_mov_b64_e32 v[34:35], v[30:31]
	s_xor_b64 exec, exec, s[30:31]
	s_cbranch_execz .LBB158_34
; %bb.33:                               ;   in Loop: Header=BB158_2 Depth=1
	s_waitcnt lgkmcnt(0)
	v_lshlrev_b32_e32 v32, 3, v36
	ds_read_b64 v[34:35], v32 offset:8
	v_mov_b64_e32 v[32:33], v[28:29]
.LBB158_34:                             ;   in Loop: Header=BB158_2 Depth=1
	s_or_b64 exec, exec, s[30:31]
	v_cndmask_b32_e64 v29, v29, v31, s[28:29]
	v_add_u32_e32 v31, 1, v37
	v_cndmask_b32_e64 v28, v28, v30, s[28:29]
	v_add_u32_e32 v30, 1, v36
	v_cndmask_b32_e64 v31, v31, v37, s[28:29]
	v_cndmask_b32_e64 v30, v36, v30, s[28:29]
	;; [unrolled: 1-line block ×6, first 2 shown]
	v_cmp_ge_i32_e64 s[18:19], v31, v41
	s_waitcnt lgkmcnt(0)
	v_cmp_lt_i64_e64 s[20:21], v[34:35], v[32:33]
	v_cndmask_b32_e64 v5, v5, v7, s[16:17]
	v_cndmask_b32_e64 v4, v4, v6, s[16:17]
	v_cmp_lt_i32_e64 s[16:17], v30, v42
	s_or_b64 s[18:19], s[18:19], s[20:21]
	s_and_b64 s[16:17], s[16:17], s[18:19]
	v_cndmask_b32_e64 v25, v25, v27, s[26:27]
	v_cndmask_b32_e64 v24, v24, v26, s[26:27]
	;; [unrolled: 1-line block ×8, first 2 shown]
	s_barrier
	ds_write2_b64 v1, v[4:5], v[8:9] offset1:1
	ds_write2_b64 v1, v[12:13], v[16:17] offset0:2 offset1:3
	ds_write2_b64 v1, v[20:21], v[24:25] offset0:4 offset1:5
	;; [unrolled: 1-line block ×3, first 2 shown]
	v_mov_b32_e32 v8, v54
	s_waitcnt lgkmcnt(0)
	s_barrier
	s_and_saveexec_b64 s[18:19], s[0:1]
	s_cbranch_execz .LBB158_38
; %bb.35:                               ;   in Loop: Header=BB158_2 Depth=1
	s_mov_b64 s[20:21], 0
	v_mov_b32_e32 v8, v54
	v_mov_b32_e32 v4, v55
.LBB158_36:                             ;   Parent Loop BB158_2 Depth=1
                                        ; =>  This Inner Loop Header: Depth=2
	v_sub_u32_e32 v5, v4, v8
	v_lshrrev_b32_e32 v6, 31, v5
	v_add_u32_e32 v5, v5, v6
	v_ashrrev_i32_e32 v5, 1, v5
	v_add_u32_e32 v5, v5, v8
	v_lshl_add_u32 v6, v5, 3, v52
	v_xad_u32 v7, v5, -1, v49
	v_lshl_add_u32 v9, v7, 3, v53
	ds_read_b64 v[6:7], v6
	ds_read_b64 v[10:11], v9
	v_add_u32_e32 v9, 1, v5
	s_waitcnt lgkmcnt(0)
	v_cmp_lt_i64_e64 s[16:17], v[10:11], v[6:7]
	s_nop 1
	v_cndmask_b32_e64 v4, v4, v5, s[16:17]
	v_cndmask_b32_e64 v8, v9, v8, s[16:17]
	v_cmp_ge_i32_e64 s[16:17], v8, v4
	s_or_b64 s[20:21], s[16:17], s[20:21]
	s_andn2_b64 exec, exec, s[20:21]
	s_cbranch_execnz .LBB158_36
; %bb.37:                               ;   in Loop: Header=BB158_2 Depth=1
	s_or_b64 exec, exec, s[20:21]
.LBB158_38:                             ;   in Loop: Header=BB158_2 Depth=1
	s_or_b64 exec, exec, s[18:19]
	v_sub_u32_e32 v12, v56, v8
	v_lshl_add_u32 v10, v8, 3, v52
	v_lshlrev_b32_e32 v14, 3, v12
	ds_read_b64 v[4:5], v10
	ds_read_b64 v[6:7], v14
	v_add_u32_e32 v13, v8, v48
	v_cmp_le_i32_e64 s[18:19], v50, v13
	v_cmp_gt_i32_e64 s[16:17], v51, v12
                                        ; implicit-def: $vgpr8_vgpr9
	s_waitcnt lgkmcnt(0)
	v_cmp_lt_i64_e64 s[20:21], v[6:7], v[4:5]
	s_or_b64 s[18:19], s[18:19], s[20:21]
	s_and_b64 s[16:17], s[16:17], s[18:19]
	s_xor_b64 s[18:19], s[16:17], -1
	s_and_saveexec_b64 s[20:21], s[18:19]
	s_xor_b64 s[18:19], exec, s[20:21]
	s_cbranch_execz .LBB158_40
; %bb.39:                               ;   in Loop: Header=BB158_2 Depth=1
	ds_read_b64 v[8:9], v10 offset:8
                                        ; implicit-def: $vgpr14
.LBB158_40:                             ;   in Loop: Header=BB158_2 Depth=1
	s_or_saveexec_b64 s[18:19], s[18:19]
	v_mov_b64_e32 v[10:11], v[6:7]
	s_xor_b64 exec, exec, s[18:19]
	s_cbranch_execz .LBB158_42
; %bb.41:                               ;   in Loop: Header=BB158_2 Depth=1
	ds_read_b64 v[10:11], v14 offset:8
	s_waitcnt lgkmcnt(1)
	v_mov_b64_e32 v[8:9], v[4:5]
.LBB158_42:                             ;   in Loop: Header=BB158_2 Depth=1
	s_or_b64 exec, exec, s[18:19]
	v_add_u32_e32 v15, 1, v13
	v_add_u32_e32 v14, 1, v12
	v_cndmask_b32_e64 v17, v15, v13, s[16:17]
	v_cndmask_b32_e64 v16, v12, v14, s[16:17]
	v_cmp_ge_i32_e64 s[20:21], v17, v50
	s_waitcnt lgkmcnt(0)
	v_cmp_lt_i64_e64 s[22:23], v[10:11], v[8:9]
	v_cmp_lt_i32_e64 s[18:19], v16, v51
	s_or_b64 s[20:21], s[20:21], s[22:23]
	s_and_b64 s[18:19], s[18:19], s[20:21]
	s_xor_b64 s[20:21], s[18:19], -1
                                        ; implicit-def: $vgpr12_vgpr13
	s_and_saveexec_b64 s[22:23], s[20:21]
	s_xor_b64 s[20:21], exec, s[22:23]
	s_cbranch_execz .LBB158_44
; %bb.43:                               ;   in Loop: Header=BB158_2 Depth=1
	v_lshlrev_b32_e32 v12, 3, v17
	ds_read_b64 v[12:13], v12 offset:8
.LBB158_44:                             ;   in Loop: Header=BB158_2 Depth=1
	s_or_saveexec_b64 s[20:21], s[20:21]
	v_mov_b64_e32 v[14:15], v[10:11]
	s_xor_b64 exec, exec, s[20:21]
	s_cbranch_execz .LBB158_46
; %bb.45:                               ;   in Loop: Header=BB158_2 Depth=1
	s_waitcnt lgkmcnt(0)
	v_lshlrev_b32_e32 v12, 3, v16
	ds_read_b64 v[14:15], v12 offset:8
	v_mov_b64_e32 v[12:13], v[8:9]
.LBB158_46:                             ;   in Loop: Header=BB158_2 Depth=1
	s_or_b64 exec, exec, s[20:21]
	v_add_u32_e32 v19, 1, v17
	v_add_u32_e32 v18, 1, v16
	v_cndmask_b32_e64 v21, v19, v17, s[18:19]
	v_cndmask_b32_e64 v20, v16, v18, s[18:19]
	v_cmp_ge_i32_e64 s[22:23], v21, v50
	s_waitcnt lgkmcnt(0)
	v_cmp_lt_i64_e64 s[24:25], v[14:15], v[12:13]
	v_cmp_lt_i32_e64 s[20:21], v20, v51
	s_or_b64 s[22:23], s[22:23], s[24:25]
	s_and_b64 s[20:21], s[20:21], s[22:23]
	s_xor_b64 s[22:23], s[20:21], -1
                                        ; implicit-def: $vgpr16_vgpr17
	s_and_saveexec_b64 s[24:25], s[22:23]
	s_xor_b64 s[22:23], exec, s[24:25]
	s_cbranch_execz .LBB158_48
; %bb.47:                               ;   in Loop: Header=BB158_2 Depth=1
	v_lshlrev_b32_e32 v16, 3, v21
	ds_read_b64 v[16:17], v16 offset:8
.LBB158_48:                             ;   in Loop: Header=BB158_2 Depth=1
	s_or_saveexec_b64 s[22:23], s[22:23]
	v_mov_b64_e32 v[18:19], v[14:15]
	s_xor_b64 exec, exec, s[22:23]
	s_cbranch_execz .LBB158_50
; %bb.49:                               ;   in Loop: Header=BB158_2 Depth=1
	s_waitcnt lgkmcnt(0)
	v_lshlrev_b32_e32 v16, 3, v20
	ds_read_b64 v[18:19], v16 offset:8
	v_mov_b64_e32 v[16:17], v[12:13]
.LBB158_50:                             ;   in Loop: Header=BB158_2 Depth=1
	s_or_b64 exec, exec, s[22:23]
	v_add_u32_e32 v23, 1, v21
	v_add_u32_e32 v22, 1, v20
	v_cndmask_b32_e64 v25, v23, v21, s[20:21]
	v_cndmask_b32_e64 v24, v20, v22, s[20:21]
	v_cmp_ge_i32_e64 s[24:25], v25, v50
	s_waitcnt lgkmcnt(0)
	v_cmp_lt_i64_e64 s[26:27], v[18:19], v[16:17]
	v_cmp_lt_i32_e64 s[22:23], v24, v51
	s_or_b64 s[24:25], s[24:25], s[26:27]
	s_and_b64 s[22:23], s[22:23], s[24:25]
	s_xor_b64 s[24:25], s[22:23], -1
                                        ; implicit-def: $vgpr20_vgpr21
	s_and_saveexec_b64 s[26:27], s[24:25]
	s_xor_b64 s[24:25], exec, s[26:27]
	s_cbranch_execz .LBB158_52
; %bb.51:                               ;   in Loop: Header=BB158_2 Depth=1
	v_lshlrev_b32_e32 v20, 3, v25
	ds_read_b64 v[20:21], v20 offset:8
.LBB158_52:                             ;   in Loop: Header=BB158_2 Depth=1
	s_or_saveexec_b64 s[24:25], s[24:25]
	v_mov_b64_e32 v[22:23], v[18:19]
	s_xor_b64 exec, exec, s[24:25]
	s_cbranch_execz .LBB158_54
; %bb.53:                               ;   in Loop: Header=BB158_2 Depth=1
	s_waitcnt lgkmcnt(0)
	v_lshlrev_b32_e32 v20, 3, v24
	ds_read_b64 v[22:23], v20 offset:8
	v_mov_b64_e32 v[20:21], v[16:17]
.LBB158_54:                             ;   in Loop: Header=BB158_2 Depth=1
	s_or_b64 exec, exec, s[24:25]
	v_add_u32_e32 v27, 1, v25
	v_add_u32_e32 v26, 1, v24
	v_cndmask_b32_e64 v29, v27, v25, s[22:23]
	v_cndmask_b32_e64 v28, v24, v26, s[22:23]
	v_cmp_ge_i32_e64 s[26:27], v29, v50
	s_waitcnt lgkmcnt(0)
	v_cmp_lt_i64_e64 s[28:29], v[22:23], v[20:21]
	v_cmp_lt_i32_e64 s[24:25], v28, v51
	s_or_b64 s[26:27], s[26:27], s[28:29]
	s_and_b64 s[24:25], s[24:25], s[26:27]
	s_xor_b64 s[26:27], s[24:25], -1
                                        ; implicit-def: $vgpr24_vgpr25
	s_and_saveexec_b64 s[28:29], s[26:27]
	s_xor_b64 s[26:27], exec, s[28:29]
	s_cbranch_execz .LBB158_56
; %bb.55:                               ;   in Loop: Header=BB158_2 Depth=1
	v_lshlrev_b32_e32 v24, 3, v29
	ds_read_b64 v[24:25], v24 offset:8
.LBB158_56:                             ;   in Loop: Header=BB158_2 Depth=1
	s_or_saveexec_b64 s[26:27], s[26:27]
	v_mov_b64_e32 v[26:27], v[22:23]
	s_xor_b64 exec, exec, s[26:27]
	s_cbranch_execz .LBB158_58
; %bb.57:                               ;   in Loop: Header=BB158_2 Depth=1
	s_waitcnt lgkmcnt(0)
	v_lshlrev_b32_e32 v24, 3, v28
	ds_read_b64 v[26:27], v24 offset:8
	v_mov_b64_e32 v[24:25], v[20:21]
.LBB158_58:                             ;   in Loop: Header=BB158_2 Depth=1
	s_or_b64 exec, exec, s[26:27]
	v_add_u32_e32 v31, 1, v29
	v_add_u32_e32 v30, 1, v28
	v_cndmask_b32_e64 v33, v31, v29, s[24:25]
	v_cndmask_b32_e64 v32, v28, v30, s[24:25]
	v_cmp_ge_i32_e64 s[28:29], v33, v50
	s_waitcnt lgkmcnt(0)
	v_cmp_lt_i64_e64 s[30:31], v[26:27], v[24:25]
	v_cmp_lt_i32_e64 s[26:27], v32, v51
	s_or_b64 s[28:29], s[28:29], s[30:31]
	s_and_b64 s[26:27], s[26:27], s[28:29]
	s_xor_b64 s[28:29], s[26:27], -1
                                        ; implicit-def: $vgpr28_vgpr29
	s_and_saveexec_b64 s[30:31], s[28:29]
	s_xor_b64 s[28:29], exec, s[30:31]
	s_cbranch_execz .LBB158_60
; %bb.59:                               ;   in Loop: Header=BB158_2 Depth=1
	v_lshlrev_b32_e32 v28, 3, v33
	ds_read_b64 v[28:29], v28 offset:8
.LBB158_60:                             ;   in Loop: Header=BB158_2 Depth=1
	s_or_saveexec_b64 s[28:29], s[28:29]
	v_mov_b64_e32 v[30:31], v[26:27]
	s_xor_b64 exec, exec, s[28:29]
	s_cbranch_execz .LBB158_62
; %bb.61:                               ;   in Loop: Header=BB158_2 Depth=1
	s_waitcnt lgkmcnt(0)
	v_lshlrev_b32_e32 v28, 3, v32
	ds_read_b64 v[30:31], v28 offset:8
	v_mov_b64_e32 v[28:29], v[24:25]
.LBB158_62:                             ;   in Loop: Header=BB158_2 Depth=1
	s_or_b64 exec, exec, s[28:29]
	v_add_u32_e32 v35, 1, v33
	v_add_u32_e32 v34, 1, v32
	v_cndmask_b32_e64 v37, v35, v33, s[26:27]
	v_cndmask_b32_e64 v36, v32, v34, s[26:27]
	v_cmp_ge_i32_e64 s[30:31], v37, v50
	s_waitcnt lgkmcnt(0)
	v_cmp_lt_i64_e64 s[34:35], v[30:31], v[28:29]
	v_cmp_lt_i32_e64 s[28:29], v36, v51
	s_or_b64 s[30:31], s[30:31], s[34:35]
	s_and_b64 s[28:29], s[28:29], s[30:31]
	s_xor_b64 s[30:31], s[28:29], -1
                                        ; implicit-def: $vgpr32_vgpr33
	s_and_saveexec_b64 s[34:35], s[30:31]
	s_xor_b64 s[30:31], exec, s[34:35]
	s_cbranch_execz .LBB158_64
; %bb.63:                               ;   in Loop: Header=BB158_2 Depth=1
	v_lshlrev_b32_e32 v32, 3, v37
	ds_read_b64 v[32:33], v32 offset:8
.LBB158_64:                             ;   in Loop: Header=BB158_2 Depth=1
	s_or_saveexec_b64 s[30:31], s[30:31]
	v_mov_b64_e32 v[34:35], v[30:31]
	s_xor_b64 exec, exec, s[30:31]
	s_cbranch_execz .LBB158_66
; %bb.65:                               ;   in Loop: Header=BB158_2 Depth=1
	s_waitcnt lgkmcnt(0)
	v_lshlrev_b32_e32 v32, 3, v36
	ds_read_b64 v[34:35], v32 offset:8
	v_mov_b64_e32 v[32:33], v[28:29]
.LBB158_66:                             ;   in Loop: Header=BB158_2 Depth=1
	s_or_b64 exec, exec, s[30:31]
	v_cndmask_b32_e64 v29, v29, v31, s[28:29]
	v_add_u32_e32 v31, 1, v37
	v_cndmask_b32_e64 v28, v28, v30, s[28:29]
	v_add_u32_e32 v30, 1, v36
	v_cndmask_b32_e64 v31, v31, v37, s[28:29]
	v_cndmask_b32_e64 v30, v36, v30, s[28:29]
	;; [unrolled: 1-line block ×6, first 2 shown]
	v_cmp_ge_i32_e64 s[18:19], v31, v50
	s_waitcnt lgkmcnt(0)
	v_cmp_lt_i64_e64 s[20:21], v[34:35], v[32:33]
	v_cndmask_b32_e64 v5, v5, v7, s[16:17]
	v_cndmask_b32_e64 v4, v4, v6, s[16:17]
	v_cmp_lt_i32_e64 s[16:17], v30, v51
	s_or_b64 s[18:19], s[18:19], s[20:21]
	s_and_b64 s[16:17], s[16:17], s[18:19]
	v_cndmask_b32_e64 v25, v25, v27, s[26:27]
	v_cndmask_b32_e64 v24, v24, v26, s[26:27]
	;; [unrolled: 1-line block ×8, first 2 shown]
	s_barrier
	ds_write2_b64 v1, v[4:5], v[8:9] offset1:1
	ds_write2_b64 v1, v[12:13], v[16:17] offset0:2 offset1:3
	ds_write2_b64 v1, v[20:21], v[24:25] offset0:4 offset1:5
	;; [unrolled: 1-line block ×3, first 2 shown]
	v_mov_b32_e32 v8, v63
	s_waitcnt lgkmcnt(0)
	s_barrier
	s_and_saveexec_b64 s[18:19], s[2:3]
	s_cbranch_execz .LBB158_70
; %bb.67:                               ;   in Loop: Header=BB158_2 Depth=1
	s_mov_b64 s[20:21], 0
	v_mov_b32_e32 v8, v63
	v_mov_b32_e32 v4, v64
.LBB158_68:                             ;   Parent Loop BB158_2 Depth=1
                                        ; =>  This Inner Loop Header: Depth=2
	v_sub_u32_e32 v5, v4, v8
	v_lshrrev_b32_e32 v6, 31, v5
	v_add_u32_e32 v5, v5, v6
	v_ashrrev_i32_e32 v5, 1, v5
	v_add_u32_e32 v5, v5, v8
	v_lshl_add_u32 v6, v5, 3, v61
	v_xad_u32 v7, v5, -1, v58
	v_lshl_add_u32 v9, v7, 3, v62
	ds_read_b64 v[6:7], v6
	ds_read_b64 v[10:11], v9
	v_add_u32_e32 v9, 1, v5
	s_waitcnt lgkmcnt(0)
	v_cmp_lt_i64_e64 s[16:17], v[10:11], v[6:7]
	s_nop 1
	v_cndmask_b32_e64 v4, v4, v5, s[16:17]
	v_cndmask_b32_e64 v8, v9, v8, s[16:17]
	v_cmp_ge_i32_e64 s[16:17], v8, v4
	s_or_b64 s[20:21], s[16:17], s[20:21]
	s_andn2_b64 exec, exec, s[20:21]
	s_cbranch_execnz .LBB158_68
; %bb.69:                               ;   in Loop: Header=BB158_2 Depth=1
	s_or_b64 exec, exec, s[20:21]
.LBB158_70:                             ;   in Loop: Header=BB158_2 Depth=1
	s_or_b64 exec, exec, s[18:19]
	v_sub_u32_e32 v12, v65, v8
	v_lshl_add_u32 v10, v8, 3, v61
	v_lshlrev_b32_e32 v14, 3, v12
	ds_read_b64 v[4:5], v10
	ds_read_b64 v[6:7], v14
	v_add_u32_e32 v13, v8, v57
	v_cmp_le_i32_e64 s[18:19], v59, v13
	v_cmp_gt_i32_e64 s[16:17], v60, v12
                                        ; implicit-def: $vgpr8_vgpr9
	s_waitcnt lgkmcnt(0)
	v_cmp_lt_i64_e64 s[20:21], v[6:7], v[4:5]
	s_or_b64 s[18:19], s[18:19], s[20:21]
	s_and_b64 s[16:17], s[16:17], s[18:19]
	s_xor_b64 s[18:19], s[16:17], -1
	s_and_saveexec_b64 s[20:21], s[18:19]
	s_xor_b64 s[18:19], exec, s[20:21]
	s_cbranch_execz .LBB158_72
; %bb.71:                               ;   in Loop: Header=BB158_2 Depth=1
	ds_read_b64 v[8:9], v10 offset:8
                                        ; implicit-def: $vgpr14
.LBB158_72:                             ;   in Loop: Header=BB158_2 Depth=1
	s_or_saveexec_b64 s[18:19], s[18:19]
	v_mov_b64_e32 v[10:11], v[6:7]
	s_xor_b64 exec, exec, s[18:19]
	s_cbranch_execz .LBB158_74
; %bb.73:                               ;   in Loop: Header=BB158_2 Depth=1
	ds_read_b64 v[10:11], v14 offset:8
	s_waitcnt lgkmcnt(1)
	v_mov_b64_e32 v[8:9], v[4:5]
.LBB158_74:                             ;   in Loop: Header=BB158_2 Depth=1
	s_or_b64 exec, exec, s[18:19]
	v_add_u32_e32 v15, 1, v13
	v_add_u32_e32 v14, 1, v12
	v_cndmask_b32_e64 v17, v15, v13, s[16:17]
	v_cndmask_b32_e64 v16, v12, v14, s[16:17]
	v_cmp_ge_i32_e64 s[20:21], v17, v59
	s_waitcnt lgkmcnt(0)
	v_cmp_lt_i64_e64 s[22:23], v[10:11], v[8:9]
	v_cmp_lt_i32_e64 s[18:19], v16, v60
	s_or_b64 s[20:21], s[20:21], s[22:23]
	s_and_b64 s[18:19], s[18:19], s[20:21]
	s_xor_b64 s[20:21], s[18:19], -1
                                        ; implicit-def: $vgpr12_vgpr13
	s_and_saveexec_b64 s[22:23], s[20:21]
	s_xor_b64 s[20:21], exec, s[22:23]
	s_cbranch_execz .LBB158_76
; %bb.75:                               ;   in Loop: Header=BB158_2 Depth=1
	v_lshlrev_b32_e32 v12, 3, v17
	ds_read_b64 v[12:13], v12 offset:8
.LBB158_76:                             ;   in Loop: Header=BB158_2 Depth=1
	s_or_saveexec_b64 s[20:21], s[20:21]
	v_mov_b64_e32 v[14:15], v[10:11]
	s_xor_b64 exec, exec, s[20:21]
	s_cbranch_execz .LBB158_78
; %bb.77:                               ;   in Loop: Header=BB158_2 Depth=1
	s_waitcnt lgkmcnt(0)
	v_lshlrev_b32_e32 v12, 3, v16
	ds_read_b64 v[14:15], v12 offset:8
	v_mov_b64_e32 v[12:13], v[8:9]
.LBB158_78:                             ;   in Loop: Header=BB158_2 Depth=1
	s_or_b64 exec, exec, s[20:21]
	v_add_u32_e32 v19, 1, v17
	v_add_u32_e32 v18, 1, v16
	v_cndmask_b32_e64 v21, v19, v17, s[18:19]
	v_cndmask_b32_e64 v20, v16, v18, s[18:19]
	v_cmp_ge_i32_e64 s[22:23], v21, v59
	s_waitcnt lgkmcnt(0)
	v_cmp_lt_i64_e64 s[24:25], v[14:15], v[12:13]
	v_cmp_lt_i32_e64 s[20:21], v20, v60
	s_or_b64 s[22:23], s[22:23], s[24:25]
	s_and_b64 s[20:21], s[20:21], s[22:23]
	s_xor_b64 s[22:23], s[20:21], -1
                                        ; implicit-def: $vgpr16_vgpr17
	s_and_saveexec_b64 s[24:25], s[22:23]
	s_xor_b64 s[22:23], exec, s[24:25]
	s_cbranch_execz .LBB158_80
; %bb.79:                               ;   in Loop: Header=BB158_2 Depth=1
	v_lshlrev_b32_e32 v16, 3, v21
	ds_read_b64 v[16:17], v16 offset:8
.LBB158_80:                             ;   in Loop: Header=BB158_2 Depth=1
	s_or_saveexec_b64 s[22:23], s[22:23]
	v_mov_b64_e32 v[18:19], v[14:15]
	s_xor_b64 exec, exec, s[22:23]
	s_cbranch_execz .LBB158_82
; %bb.81:                               ;   in Loop: Header=BB158_2 Depth=1
	s_waitcnt lgkmcnt(0)
	v_lshlrev_b32_e32 v16, 3, v20
	ds_read_b64 v[18:19], v16 offset:8
	v_mov_b64_e32 v[16:17], v[12:13]
.LBB158_82:                             ;   in Loop: Header=BB158_2 Depth=1
	s_or_b64 exec, exec, s[22:23]
	v_add_u32_e32 v23, 1, v21
	v_add_u32_e32 v22, 1, v20
	v_cndmask_b32_e64 v25, v23, v21, s[20:21]
	v_cndmask_b32_e64 v24, v20, v22, s[20:21]
	v_cmp_ge_i32_e64 s[24:25], v25, v59
	s_waitcnt lgkmcnt(0)
	v_cmp_lt_i64_e64 s[26:27], v[18:19], v[16:17]
	v_cmp_lt_i32_e64 s[22:23], v24, v60
	s_or_b64 s[24:25], s[24:25], s[26:27]
	s_and_b64 s[22:23], s[22:23], s[24:25]
	s_xor_b64 s[24:25], s[22:23], -1
                                        ; implicit-def: $vgpr20_vgpr21
	s_and_saveexec_b64 s[26:27], s[24:25]
	s_xor_b64 s[24:25], exec, s[26:27]
	s_cbranch_execz .LBB158_84
; %bb.83:                               ;   in Loop: Header=BB158_2 Depth=1
	v_lshlrev_b32_e32 v20, 3, v25
	ds_read_b64 v[20:21], v20 offset:8
.LBB158_84:                             ;   in Loop: Header=BB158_2 Depth=1
	s_or_saveexec_b64 s[24:25], s[24:25]
	v_mov_b64_e32 v[22:23], v[18:19]
	s_xor_b64 exec, exec, s[24:25]
	s_cbranch_execz .LBB158_86
; %bb.85:                               ;   in Loop: Header=BB158_2 Depth=1
	s_waitcnt lgkmcnt(0)
	v_lshlrev_b32_e32 v20, 3, v24
	ds_read_b64 v[22:23], v20 offset:8
	v_mov_b64_e32 v[20:21], v[16:17]
.LBB158_86:                             ;   in Loop: Header=BB158_2 Depth=1
	s_or_b64 exec, exec, s[24:25]
	v_add_u32_e32 v27, 1, v25
	v_add_u32_e32 v26, 1, v24
	v_cndmask_b32_e64 v29, v27, v25, s[22:23]
	v_cndmask_b32_e64 v28, v24, v26, s[22:23]
	v_cmp_ge_i32_e64 s[26:27], v29, v59
	s_waitcnt lgkmcnt(0)
	v_cmp_lt_i64_e64 s[28:29], v[22:23], v[20:21]
	v_cmp_lt_i32_e64 s[24:25], v28, v60
	s_or_b64 s[26:27], s[26:27], s[28:29]
	s_and_b64 s[24:25], s[24:25], s[26:27]
	s_xor_b64 s[26:27], s[24:25], -1
                                        ; implicit-def: $vgpr24_vgpr25
	s_and_saveexec_b64 s[28:29], s[26:27]
	s_xor_b64 s[26:27], exec, s[28:29]
	s_cbranch_execz .LBB158_88
; %bb.87:                               ;   in Loop: Header=BB158_2 Depth=1
	v_lshlrev_b32_e32 v24, 3, v29
	ds_read_b64 v[24:25], v24 offset:8
.LBB158_88:                             ;   in Loop: Header=BB158_2 Depth=1
	s_or_saveexec_b64 s[26:27], s[26:27]
	v_mov_b64_e32 v[26:27], v[22:23]
	s_xor_b64 exec, exec, s[26:27]
	s_cbranch_execz .LBB158_90
; %bb.89:                               ;   in Loop: Header=BB158_2 Depth=1
	s_waitcnt lgkmcnt(0)
	v_lshlrev_b32_e32 v24, 3, v28
	ds_read_b64 v[26:27], v24 offset:8
	v_mov_b64_e32 v[24:25], v[20:21]
.LBB158_90:                             ;   in Loop: Header=BB158_2 Depth=1
	s_or_b64 exec, exec, s[26:27]
	v_add_u32_e32 v31, 1, v29
	v_add_u32_e32 v30, 1, v28
	v_cndmask_b32_e64 v33, v31, v29, s[24:25]
	v_cndmask_b32_e64 v32, v28, v30, s[24:25]
	v_cmp_ge_i32_e64 s[28:29], v33, v59
	s_waitcnt lgkmcnt(0)
	v_cmp_lt_i64_e64 s[30:31], v[26:27], v[24:25]
	v_cmp_lt_i32_e64 s[26:27], v32, v60
	s_or_b64 s[28:29], s[28:29], s[30:31]
	s_and_b64 s[26:27], s[26:27], s[28:29]
	s_xor_b64 s[28:29], s[26:27], -1
                                        ; implicit-def: $vgpr28_vgpr29
	s_and_saveexec_b64 s[30:31], s[28:29]
	s_xor_b64 s[28:29], exec, s[30:31]
	s_cbranch_execz .LBB158_92
; %bb.91:                               ;   in Loop: Header=BB158_2 Depth=1
	v_lshlrev_b32_e32 v28, 3, v33
	ds_read_b64 v[28:29], v28 offset:8
.LBB158_92:                             ;   in Loop: Header=BB158_2 Depth=1
	s_or_saveexec_b64 s[28:29], s[28:29]
	v_mov_b64_e32 v[30:31], v[26:27]
	s_xor_b64 exec, exec, s[28:29]
	s_cbranch_execz .LBB158_94
; %bb.93:                               ;   in Loop: Header=BB158_2 Depth=1
	s_waitcnt lgkmcnt(0)
	v_lshlrev_b32_e32 v28, 3, v32
	ds_read_b64 v[30:31], v28 offset:8
	v_mov_b64_e32 v[28:29], v[24:25]
.LBB158_94:                             ;   in Loop: Header=BB158_2 Depth=1
	s_or_b64 exec, exec, s[28:29]
	v_add_u32_e32 v35, 1, v33
	v_add_u32_e32 v34, 1, v32
	v_cndmask_b32_e64 v37, v35, v33, s[26:27]
	v_cndmask_b32_e64 v36, v32, v34, s[26:27]
	v_cmp_ge_i32_e64 s[30:31], v37, v59
	s_waitcnt lgkmcnt(0)
	v_cmp_lt_i64_e64 s[34:35], v[30:31], v[28:29]
	v_cmp_lt_i32_e64 s[28:29], v36, v60
	s_or_b64 s[30:31], s[30:31], s[34:35]
	s_and_b64 s[28:29], s[28:29], s[30:31]
	s_xor_b64 s[30:31], s[28:29], -1
                                        ; implicit-def: $vgpr32_vgpr33
	s_and_saveexec_b64 s[34:35], s[30:31]
	s_xor_b64 s[30:31], exec, s[34:35]
	s_cbranch_execz .LBB158_96
; %bb.95:                               ;   in Loop: Header=BB158_2 Depth=1
	v_lshlrev_b32_e32 v32, 3, v37
	ds_read_b64 v[32:33], v32 offset:8
.LBB158_96:                             ;   in Loop: Header=BB158_2 Depth=1
	s_or_saveexec_b64 s[30:31], s[30:31]
	v_mov_b64_e32 v[34:35], v[30:31]
	s_xor_b64 exec, exec, s[30:31]
	s_cbranch_execz .LBB158_98
; %bb.97:                               ;   in Loop: Header=BB158_2 Depth=1
	s_waitcnt lgkmcnt(0)
	v_lshlrev_b32_e32 v32, 3, v36
	ds_read_b64 v[34:35], v32 offset:8
	v_mov_b64_e32 v[32:33], v[28:29]
.LBB158_98:                             ;   in Loop: Header=BB158_2 Depth=1
	s_or_b64 exec, exec, s[30:31]
	v_cndmask_b32_e64 v29, v29, v31, s[28:29]
	v_add_u32_e32 v31, 1, v37
	v_cndmask_b32_e64 v28, v28, v30, s[28:29]
	v_add_u32_e32 v30, 1, v36
	v_cndmask_b32_e64 v31, v31, v37, s[28:29]
	v_cndmask_b32_e64 v30, v36, v30, s[28:29]
	;; [unrolled: 1-line block ×6, first 2 shown]
	v_cmp_ge_i32_e64 s[18:19], v31, v59
	s_waitcnt lgkmcnt(0)
	v_cmp_lt_i64_e64 s[20:21], v[34:35], v[32:33]
	v_cndmask_b32_e64 v5, v5, v7, s[16:17]
	v_cndmask_b32_e64 v4, v4, v6, s[16:17]
	v_cmp_lt_i32_e64 s[16:17], v30, v60
	s_or_b64 s[18:19], s[18:19], s[20:21]
	s_and_b64 s[16:17], s[16:17], s[18:19]
	v_cndmask_b32_e64 v25, v25, v27, s[26:27]
	v_cndmask_b32_e64 v24, v24, v26, s[26:27]
	;; [unrolled: 1-line block ×8, first 2 shown]
	s_barrier
	ds_write2_b64 v1, v[4:5], v[8:9] offset1:1
	ds_write2_b64 v1, v[12:13], v[16:17] offset0:2 offset1:3
	ds_write2_b64 v1, v[20:21], v[24:25] offset0:4 offset1:5
	;; [unrolled: 1-line block ×3, first 2 shown]
	v_mov_b32_e32 v8, v72
	s_waitcnt lgkmcnt(0)
	s_barrier
	s_and_saveexec_b64 s[18:19], s[4:5]
	s_cbranch_execz .LBB158_102
; %bb.99:                               ;   in Loop: Header=BB158_2 Depth=1
	s_mov_b64 s[20:21], 0
	v_mov_b32_e32 v8, v72
	v_mov_b32_e32 v4, v73
.LBB158_100:                            ;   Parent Loop BB158_2 Depth=1
                                        ; =>  This Inner Loop Header: Depth=2
	v_sub_u32_e32 v5, v4, v8
	v_lshrrev_b32_e32 v6, 31, v5
	v_add_u32_e32 v5, v5, v6
	v_ashrrev_i32_e32 v5, 1, v5
	v_add_u32_e32 v5, v5, v8
	v_lshl_add_u32 v6, v5, 3, v70
	v_xad_u32 v7, v5, -1, v67
	v_lshl_add_u32 v9, v7, 3, v71
	ds_read_b64 v[6:7], v6
	ds_read_b64 v[10:11], v9
	v_add_u32_e32 v9, 1, v5
	s_waitcnt lgkmcnt(0)
	v_cmp_lt_i64_e64 s[16:17], v[10:11], v[6:7]
	s_nop 1
	v_cndmask_b32_e64 v4, v4, v5, s[16:17]
	v_cndmask_b32_e64 v8, v9, v8, s[16:17]
	v_cmp_ge_i32_e64 s[16:17], v8, v4
	s_or_b64 s[20:21], s[16:17], s[20:21]
	s_andn2_b64 exec, exec, s[20:21]
	s_cbranch_execnz .LBB158_100
; %bb.101:                              ;   in Loop: Header=BB158_2 Depth=1
	s_or_b64 exec, exec, s[20:21]
.LBB158_102:                            ;   in Loop: Header=BB158_2 Depth=1
	s_or_b64 exec, exec, s[18:19]
	v_sub_u32_e32 v12, v74, v8
	v_lshl_add_u32 v10, v8, 3, v70
	v_lshlrev_b32_e32 v14, 3, v12
	ds_read_b64 v[4:5], v10
	ds_read_b64 v[6:7], v14
	v_add_u32_e32 v13, v8, v66
	v_cmp_le_i32_e64 s[18:19], v68, v13
	v_cmp_gt_i32_e64 s[16:17], v69, v12
                                        ; implicit-def: $vgpr8_vgpr9
	s_waitcnt lgkmcnt(0)
	v_cmp_lt_i64_e64 s[20:21], v[6:7], v[4:5]
	s_or_b64 s[18:19], s[18:19], s[20:21]
	s_and_b64 s[16:17], s[16:17], s[18:19]
	s_xor_b64 s[18:19], s[16:17], -1
	s_and_saveexec_b64 s[20:21], s[18:19]
	s_xor_b64 s[18:19], exec, s[20:21]
	s_cbranch_execz .LBB158_104
; %bb.103:                              ;   in Loop: Header=BB158_2 Depth=1
	ds_read_b64 v[8:9], v10 offset:8
                                        ; implicit-def: $vgpr14
.LBB158_104:                            ;   in Loop: Header=BB158_2 Depth=1
	s_or_saveexec_b64 s[18:19], s[18:19]
	v_mov_b64_e32 v[10:11], v[6:7]
	s_xor_b64 exec, exec, s[18:19]
	s_cbranch_execz .LBB158_106
; %bb.105:                              ;   in Loop: Header=BB158_2 Depth=1
	ds_read_b64 v[10:11], v14 offset:8
	s_waitcnt lgkmcnt(1)
	v_mov_b64_e32 v[8:9], v[4:5]
.LBB158_106:                            ;   in Loop: Header=BB158_2 Depth=1
	s_or_b64 exec, exec, s[18:19]
	v_add_u32_e32 v15, 1, v13
	v_add_u32_e32 v14, 1, v12
	v_cndmask_b32_e64 v17, v15, v13, s[16:17]
	v_cndmask_b32_e64 v16, v12, v14, s[16:17]
	v_cmp_ge_i32_e64 s[20:21], v17, v68
	s_waitcnt lgkmcnt(0)
	v_cmp_lt_i64_e64 s[22:23], v[10:11], v[8:9]
	v_cmp_lt_i32_e64 s[18:19], v16, v69
	s_or_b64 s[20:21], s[20:21], s[22:23]
	s_and_b64 s[18:19], s[18:19], s[20:21]
	s_xor_b64 s[20:21], s[18:19], -1
                                        ; implicit-def: $vgpr12_vgpr13
	s_and_saveexec_b64 s[22:23], s[20:21]
	s_xor_b64 s[20:21], exec, s[22:23]
	s_cbranch_execz .LBB158_108
; %bb.107:                              ;   in Loop: Header=BB158_2 Depth=1
	v_lshlrev_b32_e32 v12, 3, v17
	ds_read_b64 v[12:13], v12 offset:8
.LBB158_108:                            ;   in Loop: Header=BB158_2 Depth=1
	s_or_saveexec_b64 s[20:21], s[20:21]
	v_mov_b64_e32 v[14:15], v[10:11]
	s_xor_b64 exec, exec, s[20:21]
	s_cbranch_execz .LBB158_110
; %bb.109:                              ;   in Loop: Header=BB158_2 Depth=1
	s_waitcnt lgkmcnt(0)
	v_lshlrev_b32_e32 v12, 3, v16
	ds_read_b64 v[14:15], v12 offset:8
	v_mov_b64_e32 v[12:13], v[8:9]
.LBB158_110:                            ;   in Loop: Header=BB158_2 Depth=1
	s_or_b64 exec, exec, s[20:21]
	v_add_u32_e32 v19, 1, v17
	v_add_u32_e32 v18, 1, v16
	v_cndmask_b32_e64 v21, v19, v17, s[18:19]
	v_cndmask_b32_e64 v20, v16, v18, s[18:19]
	v_cmp_ge_i32_e64 s[22:23], v21, v68
	s_waitcnt lgkmcnt(0)
	v_cmp_lt_i64_e64 s[24:25], v[14:15], v[12:13]
	v_cmp_lt_i32_e64 s[20:21], v20, v69
	s_or_b64 s[22:23], s[22:23], s[24:25]
	s_and_b64 s[20:21], s[20:21], s[22:23]
	s_xor_b64 s[22:23], s[20:21], -1
                                        ; implicit-def: $vgpr16_vgpr17
	s_and_saveexec_b64 s[24:25], s[22:23]
	s_xor_b64 s[22:23], exec, s[24:25]
	s_cbranch_execz .LBB158_112
; %bb.111:                              ;   in Loop: Header=BB158_2 Depth=1
	v_lshlrev_b32_e32 v16, 3, v21
	ds_read_b64 v[16:17], v16 offset:8
.LBB158_112:                            ;   in Loop: Header=BB158_2 Depth=1
	s_or_saveexec_b64 s[22:23], s[22:23]
	v_mov_b64_e32 v[18:19], v[14:15]
	s_xor_b64 exec, exec, s[22:23]
	s_cbranch_execz .LBB158_114
; %bb.113:                              ;   in Loop: Header=BB158_2 Depth=1
	s_waitcnt lgkmcnt(0)
	v_lshlrev_b32_e32 v16, 3, v20
	ds_read_b64 v[18:19], v16 offset:8
	v_mov_b64_e32 v[16:17], v[12:13]
.LBB158_114:                            ;   in Loop: Header=BB158_2 Depth=1
	s_or_b64 exec, exec, s[22:23]
	v_add_u32_e32 v23, 1, v21
	v_add_u32_e32 v22, 1, v20
	v_cndmask_b32_e64 v25, v23, v21, s[20:21]
	v_cndmask_b32_e64 v24, v20, v22, s[20:21]
	v_cmp_ge_i32_e64 s[24:25], v25, v68
	s_waitcnt lgkmcnt(0)
	v_cmp_lt_i64_e64 s[26:27], v[18:19], v[16:17]
	v_cmp_lt_i32_e64 s[22:23], v24, v69
	s_or_b64 s[24:25], s[24:25], s[26:27]
	s_and_b64 s[22:23], s[22:23], s[24:25]
	s_xor_b64 s[24:25], s[22:23], -1
                                        ; implicit-def: $vgpr20_vgpr21
	s_and_saveexec_b64 s[26:27], s[24:25]
	s_xor_b64 s[24:25], exec, s[26:27]
	s_cbranch_execz .LBB158_116
; %bb.115:                              ;   in Loop: Header=BB158_2 Depth=1
	v_lshlrev_b32_e32 v20, 3, v25
	ds_read_b64 v[20:21], v20 offset:8
.LBB158_116:                            ;   in Loop: Header=BB158_2 Depth=1
	s_or_saveexec_b64 s[24:25], s[24:25]
	v_mov_b64_e32 v[22:23], v[18:19]
	s_xor_b64 exec, exec, s[24:25]
	s_cbranch_execz .LBB158_118
; %bb.117:                              ;   in Loop: Header=BB158_2 Depth=1
	s_waitcnt lgkmcnt(0)
	v_lshlrev_b32_e32 v20, 3, v24
	ds_read_b64 v[22:23], v20 offset:8
	v_mov_b64_e32 v[20:21], v[16:17]
.LBB158_118:                            ;   in Loop: Header=BB158_2 Depth=1
	s_or_b64 exec, exec, s[24:25]
	v_add_u32_e32 v27, 1, v25
	v_add_u32_e32 v26, 1, v24
	v_cndmask_b32_e64 v29, v27, v25, s[22:23]
	v_cndmask_b32_e64 v28, v24, v26, s[22:23]
	v_cmp_ge_i32_e64 s[26:27], v29, v68
	s_waitcnt lgkmcnt(0)
	v_cmp_lt_i64_e64 s[28:29], v[22:23], v[20:21]
	v_cmp_lt_i32_e64 s[24:25], v28, v69
	s_or_b64 s[26:27], s[26:27], s[28:29]
	s_and_b64 s[24:25], s[24:25], s[26:27]
	s_xor_b64 s[26:27], s[24:25], -1
                                        ; implicit-def: $vgpr24_vgpr25
	s_and_saveexec_b64 s[28:29], s[26:27]
	s_xor_b64 s[26:27], exec, s[28:29]
	s_cbranch_execz .LBB158_120
; %bb.119:                              ;   in Loop: Header=BB158_2 Depth=1
	v_lshlrev_b32_e32 v24, 3, v29
	ds_read_b64 v[24:25], v24 offset:8
.LBB158_120:                            ;   in Loop: Header=BB158_2 Depth=1
	s_or_saveexec_b64 s[26:27], s[26:27]
	v_mov_b64_e32 v[26:27], v[22:23]
	s_xor_b64 exec, exec, s[26:27]
	s_cbranch_execz .LBB158_122
; %bb.121:                              ;   in Loop: Header=BB158_2 Depth=1
	s_waitcnt lgkmcnt(0)
	v_lshlrev_b32_e32 v24, 3, v28
	ds_read_b64 v[26:27], v24 offset:8
	v_mov_b64_e32 v[24:25], v[20:21]
.LBB158_122:                            ;   in Loop: Header=BB158_2 Depth=1
	s_or_b64 exec, exec, s[26:27]
	v_add_u32_e32 v31, 1, v29
	v_add_u32_e32 v30, 1, v28
	v_cndmask_b32_e64 v33, v31, v29, s[24:25]
	v_cndmask_b32_e64 v32, v28, v30, s[24:25]
	v_cmp_ge_i32_e64 s[28:29], v33, v68
	s_waitcnt lgkmcnt(0)
	v_cmp_lt_i64_e64 s[30:31], v[26:27], v[24:25]
	v_cmp_lt_i32_e64 s[26:27], v32, v69
	s_or_b64 s[28:29], s[28:29], s[30:31]
	s_and_b64 s[26:27], s[26:27], s[28:29]
	s_xor_b64 s[28:29], s[26:27], -1
                                        ; implicit-def: $vgpr28_vgpr29
	s_and_saveexec_b64 s[30:31], s[28:29]
	s_xor_b64 s[28:29], exec, s[30:31]
	s_cbranch_execz .LBB158_124
; %bb.123:                              ;   in Loop: Header=BB158_2 Depth=1
	v_lshlrev_b32_e32 v28, 3, v33
	ds_read_b64 v[28:29], v28 offset:8
.LBB158_124:                            ;   in Loop: Header=BB158_2 Depth=1
	s_or_saveexec_b64 s[28:29], s[28:29]
	v_mov_b64_e32 v[30:31], v[26:27]
	s_xor_b64 exec, exec, s[28:29]
	s_cbranch_execz .LBB158_126
; %bb.125:                              ;   in Loop: Header=BB158_2 Depth=1
	s_waitcnt lgkmcnt(0)
	v_lshlrev_b32_e32 v28, 3, v32
	ds_read_b64 v[30:31], v28 offset:8
	v_mov_b64_e32 v[28:29], v[24:25]
.LBB158_126:                            ;   in Loop: Header=BB158_2 Depth=1
	s_or_b64 exec, exec, s[28:29]
	v_add_u32_e32 v35, 1, v33
	v_add_u32_e32 v34, 1, v32
	v_cndmask_b32_e64 v37, v35, v33, s[26:27]
	v_cndmask_b32_e64 v36, v32, v34, s[26:27]
	v_cmp_ge_i32_e64 s[30:31], v37, v68
	s_waitcnt lgkmcnt(0)
	v_cmp_lt_i64_e64 s[34:35], v[30:31], v[28:29]
	v_cmp_lt_i32_e64 s[28:29], v36, v69
	s_or_b64 s[30:31], s[30:31], s[34:35]
	s_and_b64 s[28:29], s[28:29], s[30:31]
	s_xor_b64 s[30:31], s[28:29], -1
                                        ; implicit-def: $vgpr32_vgpr33
	s_and_saveexec_b64 s[34:35], s[30:31]
	s_xor_b64 s[30:31], exec, s[34:35]
	s_cbranch_execz .LBB158_128
; %bb.127:                              ;   in Loop: Header=BB158_2 Depth=1
	v_lshlrev_b32_e32 v32, 3, v37
	ds_read_b64 v[32:33], v32 offset:8
.LBB158_128:                            ;   in Loop: Header=BB158_2 Depth=1
	s_or_saveexec_b64 s[30:31], s[30:31]
	v_mov_b64_e32 v[34:35], v[30:31]
	s_xor_b64 exec, exec, s[30:31]
	s_cbranch_execz .LBB158_130
; %bb.129:                              ;   in Loop: Header=BB158_2 Depth=1
	s_waitcnt lgkmcnt(0)
	v_lshlrev_b32_e32 v32, 3, v36
	ds_read_b64 v[34:35], v32 offset:8
	v_mov_b64_e32 v[32:33], v[28:29]
.LBB158_130:                            ;   in Loop: Header=BB158_2 Depth=1
	s_or_b64 exec, exec, s[30:31]
	v_cndmask_b32_e64 v29, v29, v31, s[28:29]
	v_add_u32_e32 v31, 1, v37
	v_cndmask_b32_e64 v28, v28, v30, s[28:29]
	v_add_u32_e32 v30, 1, v36
	v_cndmask_b32_e64 v31, v31, v37, s[28:29]
	v_cndmask_b32_e64 v30, v36, v30, s[28:29]
	;; [unrolled: 1-line block ×6, first 2 shown]
	v_cmp_ge_i32_e64 s[18:19], v31, v68
	s_waitcnt lgkmcnt(0)
	v_cmp_lt_i64_e64 s[20:21], v[34:35], v[32:33]
	v_cndmask_b32_e64 v5, v5, v7, s[16:17]
	v_cndmask_b32_e64 v4, v4, v6, s[16:17]
	v_cmp_lt_i32_e64 s[16:17], v30, v69
	s_or_b64 s[18:19], s[18:19], s[20:21]
	s_and_b64 s[16:17], s[16:17], s[18:19]
	v_cndmask_b32_e64 v25, v25, v27, s[26:27]
	v_cndmask_b32_e64 v24, v24, v26, s[26:27]
	;; [unrolled: 1-line block ×8, first 2 shown]
	s_barrier
	ds_write2_b64 v1, v[4:5], v[8:9] offset1:1
	ds_write2_b64 v1, v[12:13], v[16:17] offset0:2 offset1:3
	ds_write2_b64 v1, v[20:21], v[24:25] offset0:4 offset1:5
	;; [unrolled: 1-line block ×3, first 2 shown]
	v_mov_b32_e32 v8, v81
	s_waitcnt lgkmcnt(0)
	s_barrier
	s_and_saveexec_b64 s[18:19], s[6:7]
	s_cbranch_execz .LBB158_134
; %bb.131:                              ;   in Loop: Header=BB158_2 Depth=1
	s_mov_b64 s[20:21], 0
	v_mov_b32_e32 v8, v81
	v_mov_b32_e32 v4, v82
.LBB158_132:                            ;   Parent Loop BB158_2 Depth=1
                                        ; =>  This Inner Loop Header: Depth=2
	v_sub_u32_e32 v5, v4, v8
	v_lshrrev_b32_e32 v6, 31, v5
	v_add_u32_e32 v5, v5, v6
	v_ashrrev_i32_e32 v5, 1, v5
	v_add_u32_e32 v5, v5, v8
	v_lshl_add_u32 v6, v5, 3, v79
	v_xad_u32 v7, v5, -1, v76
	v_lshl_add_u32 v9, v7, 3, v80
	ds_read_b64 v[6:7], v6
	ds_read_b64 v[10:11], v9
	v_add_u32_e32 v9, 1, v5
	s_waitcnt lgkmcnt(0)
	v_cmp_lt_i64_e64 s[16:17], v[10:11], v[6:7]
	s_nop 1
	v_cndmask_b32_e64 v4, v4, v5, s[16:17]
	v_cndmask_b32_e64 v8, v9, v8, s[16:17]
	v_cmp_ge_i32_e64 s[16:17], v8, v4
	s_or_b64 s[20:21], s[16:17], s[20:21]
	s_andn2_b64 exec, exec, s[20:21]
	s_cbranch_execnz .LBB158_132
; %bb.133:                              ;   in Loop: Header=BB158_2 Depth=1
	s_or_b64 exec, exec, s[20:21]
.LBB158_134:                            ;   in Loop: Header=BB158_2 Depth=1
	s_or_b64 exec, exec, s[18:19]
	v_sub_u32_e32 v12, v83, v8
	v_lshl_add_u32 v10, v8, 3, v79
	v_lshlrev_b32_e32 v14, 3, v12
	ds_read_b64 v[4:5], v10
	ds_read_b64 v[6:7], v14
	v_add_u32_e32 v13, v8, v75
	v_cmp_le_i32_e64 s[18:19], v77, v13
	v_cmp_gt_i32_e64 s[16:17], v78, v12
                                        ; implicit-def: $vgpr8_vgpr9
	s_waitcnt lgkmcnt(0)
	v_cmp_lt_i64_e64 s[20:21], v[6:7], v[4:5]
	s_or_b64 s[18:19], s[18:19], s[20:21]
	s_and_b64 s[16:17], s[16:17], s[18:19]
	s_xor_b64 s[18:19], s[16:17], -1
	s_and_saveexec_b64 s[20:21], s[18:19]
	s_xor_b64 s[18:19], exec, s[20:21]
	s_cbranch_execz .LBB158_136
; %bb.135:                              ;   in Loop: Header=BB158_2 Depth=1
	ds_read_b64 v[8:9], v10 offset:8
                                        ; implicit-def: $vgpr14
.LBB158_136:                            ;   in Loop: Header=BB158_2 Depth=1
	s_or_saveexec_b64 s[18:19], s[18:19]
	v_mov_b64_e32 v[10:11], v[6:7]
	s_xor_b64 exec, exec, s[18:19]
	s_cbranch_execz .LBB158_138
; %bb.137:                              ;   in Loop: Header=BB158_2 Depth=1
	ds_read_b64 v[10:11], v14 offset:8
	s_waitcnt lgkmcnt(1)
	v_mov_b64_e32 v[8:9], v[4:5]
.LBB158_138:                            ;   in Loop: Header=BB158_2 Depth=1
	s_or_b64 exec, exec, s[18:19]
	v_add_u32_e32 v15, 1, v13
	v_add_u32_e32 v14, 1, v12
	v_cndmask_b32_e64 v17, v15, v13, s[16:17]
	v_cndmask_b32_e64 v16, v12, v14, s[16:17]
	v_cmp_ge_i32_e64 s[20:21], v17, v77
	s_waitcnt lgkmcnt(0)
	v_cmp_lt_i64_e64 s[22:23], v[10:11], v[8:9]
	v_cmp_lt_i32_e64 s[18:19], v16, v78
	s_or_b64 s[20:21], s[20:21], s[22:23]
	s_and_b64 s[18:19], s[18:19], s[20:21]
	s_xor_b64 s[20:21], s[18:19], -1
                                        ; implicit-def: $vgpr12_vgpr13
	s_and_saveexec_b64 s[22:23], s[20:21]
	s_xor_b64 s[20:21], exec, s[22:23]
	s_cbranch_execz .LBB158_140
; %bb.139:                              ;   in Loop: Header=BB158_2 Depth=1
	v_lshlrev_b32_e32 v12, 3, v17
	ds_read_b64 v[12:13], v12 offset:8
.LBB158_140:                            ;   in Loop: Header=BB158_2 Depth=1
	s_or_saveexec_b64 s[20:21], s[20:21]
	v_mov_b64_e32 v[14:15], v[10:11]
	s_xor_b64 exec, exec, s[20:21]
	s_cbranch_execz .LBB158_142
; %bb.141:                              ;   in Loop: Header=BB158_2 Depth=1
	s_waitcnt lgkmcnt(0)
	v_lshlrev_b32_e32 v12, 3, v16
	ds_read_b64 v[14:15], v12 offset:8
	v_mov_b64_e32 v[12:13], v[8:9]
.LBB158_142:                            ;   in Loop: Header=BB158_2 Depth=1
	s_or_b64 exec, exec, s[20:21]
	v_add_u32_e32 v19, 1, v17
	v_add_u32_e32 v18, 1, v16
	v_cndmask_b32_e64 v21, v19, v17, s[18:19]
	v_cndmask_b32_e64 v20, v16, v18, s[18:19]
	v_cmp_ge_i32_e64 s[22:23], v21, v77
	s_waitcnt lgkmcnt(0)
	v_cmp_lt_i64_e64 s[24:25], v[14:15], v[12:13]
	v_cmp_lt_i32_e64 s[20:21], v20, v78
	s_or_b64 s[22:23], s[22:23], s[24:25]
	s_and_b64 s[20:21], s[20:21], s[22:23]
	s_xor_b64 s[22:23], s[20:21], -1
                                        ; implicit-def: $vgpr16_vgpr17
	s_and_saveexec_b64 s[24:25], s[22:23]
	s_xor_b64 s[22:23], exec, s[24:25]
	s_cbranch_execz .LBB158_144
; %bb.143:                              ;   in Loop: Header=BB158_2 Depth=1
	v_lshlrev_b32_e32 v16, 3, v21
	ds_read_b64 v[16:17], v16 offset:8
.LBB158_144:                            ;   in Loop: Header=BB158_2 Depth=1
	s_or_saveexec_b64 s[22:23], s[22:23]
	v_mov_b64_e32 v[18:19], v[14:15]
	s_xor_b64 exec, exec, s[22:23]
	s_cbranch_execz .LBB158_146
; %bb.145:                              ;   in Loop: Header=BB158_2 Depth=1
	s_waitcnt lgkmcnt(0)
	v_lshlrev_b32_e32 v16, 3, v20
	ds_read_b64 v[18:19], v16 offset:8
	v_mov_b64_e32 v[16:17], v[12:13]
.LBB158_146:                            ;   in Loop: Header=BB158_2 Depth=1
	s_or_b64 exec, exec, s[22:23]
	v_add_u32_e32 v23, 1, v21
	v_add_u32_e32 v22, 1, v20
	v_cndmask_b32_e64 v25, v23, v21, s[20:21]
	v_cndmask_b32_e64 v24, v20, v22, s[20:21]
	v_cmp_ge_i32_e64 s[24:25], v25, v77
	s_waitcnt lgkmcnt(0)
	v_cmp_lt_i64_e64 s[26:27], v[18:19], v[16:17]
	v_cmp_lt_i32_e64 s[22:23], v24, v78
	s_or_b64 s[24:25], s[24:25], s[26:27]
	s_and_b64 s[22:23], s[22:23], s[24:25]
	s_xor_b64 s[24:25], s[22:23], -1
                                        ; implicit-def: $vgpr20_vgpr21
	s_and_saveexec_b64 s[26:27], s[24:25]
	s_xor_b64 s[24:25], exec, s[26:27]
	s_cbranch_execz .LBB158_148
; %bb.147:                              ;   in Loop: Header=BB158_2 Depth=1
	v_lshlrev_b32_e32 v20, 3, v25
	ds_read_b64 v[20:21], v20 offset:8
.LBB158_148:                            ;   in Loop: Header=BB158_2 Depth=1
	s_or_saveexec_b64 s[24:25], s[24:25]
	v_mov_b64_e32 v[22:23], v[18:19]
	s_xor_b64 exec, exec, s[24:25]
	s_cbranch_execz .LBB158_150
; %bb.149:                              ;   in Loop: Header=BB158_2 Depth=1
	s_waitcnt lgkmcnt(0)
	v_lshlrev_b32_e32 v20, 3, v24
	ds_read_b64 v[22:23], v20 offset:8
	v_mov_b64_e32 v[20:21], v[16:17]
.LBB158_150:                            ;   in Loop: Header=BB158_2 Depth=1
	s_or_b64 exec, exec, s[24:25]
	v_add_u32_e32 v27, 1, v25
	v_add_u32_e32 v26, 1, v24
	v_cndmask_b32_e64 v29, v27, v25, s[22:23]
	v_cndmask_b32_e64 v28, v24, v26, s[22:23]
	v_cmp_ge_i32_e64 s[26:27], v29, v77
	s_waitcnt lgkmcnt(0)
	v_cmp_lt_i64_e64 s[28:29], v[22:23], v[20:21]
	v_cmp_lt_i32_e64 s[24:25], v28, v78
	s_or_b64 s[26:27], s[26:27], s[28:29]
	s_and_b64 s[24:25], s[24:25], s[26:27]
	s_xor_b64 s[26:27], s[24:25], -1
                                        ; implicit-def: $vgpr24_vgpr25
	s_and_saveexec_b64 s[28:29], s[26:27]
	s_xor_b64 s[26:27], exec, s[28:29]
	s_cbranch_execz .LBB158_152
; %bb.151:                              ;   in Loop: Header=BB158_2 Depth=1
	v_lshlrev_b32_e32 v24, 3, v29
	ds_read_b64 v[24:25], v24 offset:8
.LBB158_152:                            ;   in Loop: Header=BB158_2 Depth=1
	s_or_saveexec_b64 s[26:27], s[26:27]
	v_mov_b64_e32 v[26:27], v[22:23]
	s_xor_b64 exec, exec, s[26:27]
	s_cbranch_execz .LBB158_154
; %bb.153:                              ;   in Loop: Header=BB158_2 Depth=1
	s_waitcnt lgkmcnt(0)
	v_lshlrev_b32_e32 v24, 3, v28
	ds_read_b64 v[26:27], v24 offset:8
	v_mov_b64_e32 v[24:25], v[20:21]
.LBB158_154:                            ;   in Loop: Header=BB158_2 Depth=1
	s_or_b64 exec, exec, s[26:27]
	v_add_u32_e32 v31, 1, v29
	v_add_u32_e32 v30, 1, v28
	v_cndmask_b32_e64 v33, v31, v29, s[24:25]
	v_cndmask_b32_e64 v32, v28, v30, s[24:25]
	v_cmp_ge_i32_e64 s[28:29], v33, v77
	s_waitcnt lgkmcnt(0)
	v_cmp_lt_i64_e64 s[30:31], v[26:27], v[24:25]
	v_cmp_lt_i32_e64 s[26:27], v32, v78
	s_or_b64 s[28:29], s[28:29], s[30:31]
	s_and_b64 s[26:27], s[26:27], s[28:29]
	s_xor_b64 s[28:29], s[26:27], -1
                                        ; implicit-def: $vgpr28_vgpr29
	s_and_saveexec_b64 s[30:31], s[28:29]
	s_xor_b64 s[28:29], exec, s[30:31]
	s_cbranch_execz .LBB158_156
; %bb.155:                              ;   in Loop: Header=BB158_2 Depth=1
	v_lshlrev_b32_e32 v28, 3, v33
	ds_read_b64 v[28:29], v28 offset:8
.LBB158_156:                            ;   in Loop: Header=BB158_2 Depth=1
	s_or_saveexec_b64 s[28:29], s[28:29]
	v_mov_b64_e32 v[30:31], v[26:27]
	s_xor_b64 exec, exec, s[28:29]
	s_cbranch_execz .LBB158_158
; %bb.157:                              ;   in Loop: Header=BB158_2 Depth=1
	s_waitcnt lgkmcnt(0)
	v_lshlrev_b32_e32 v28, 3, v32
	ds_read_b64 v[30:31], v28 offset:8
	v_mov_b64_e32 v[28:29], v[24:25]
.LBB158_158:                            ;   in Loop: Header=BB158_2 Depth=1
	s_or_b64 exec, exec, s[28:29]
	v_add_u32_e32 v35, 1, v33
	v_add_u32_e32 v34, 1, v32
	v_cndmask_b32_e64 v37, v35, v33, s[26:27]
	v_cndmask_b32_e64 v36, v32, v34, s[26:27]
	v_cmp_ge_i32_e64 s[30:31], v37, v77
	s_waitcnt lgkmcnt(0)
	v_cmp_lt_i64_e64 s[34:35], v[30:31], v[28:29]
	v_cmp_lt_i32_e64 s[28:29], v36, v78
	s_or_b64 s[30:31], s[30:31], s[34:35]
	s_and_b64 s[28:29], s[28:29], s[30:31]
	s_xor_b64 s[30:31], s[28:29], -1
                                        ; implicit-def: $vgpr32_vgpr33
	s_and_saveexec_b64 s[34:35], s[30:31]
	s_xor_b64 s[30:31], exec, s[34:35]
	s_cbranch_execz .LBB158_160
; %bb.159:                              ;   in Loop: Header=BB158_2 Depth=1
	v_lshlrev_b32_e32 v32, 3, v37
	ds_read_b64 v[32:33], v32 offset:8
.LBB158_160:                            ;   in Loop: Header=BB158_2 Depth=1
	s_or_saveexec_b64 s[30:31], s[30:31]
	v_mov_b64_e32 v[34:35], v[30:31]
	s_xor_b64 exec, exec, s[30:31]
	s_cbranch_execz .LBB158_162
; %bb.161:                              ;   in Loop: Header=BB158_2 Depth=1
	s_waitcnt lgkmcnt(0)
	v_lshlrev_b32_e32 v32, 3, v36
	ds_read_b64 v[34:35], v32 offset:8
	v_mov_b64_e32 v[32:33], v[28:29]
.LBB158_162:                            ;   in Loop: Header=BB158_2 Depth=1
	s_or_b64 exec, exec, s[30:31]
	v_cndmask_b32_e64 v29, v29, v31, s[28:29]
	v_add_u32_e32 v31, 1, v37
	v_cndmask_b32_e64 v28, v28, v30, s[28:29]
	v_add_u32_e32 v30, 1, v36
	v_cndmask_b32_e64 v31, v31, v37, s[28:29]
	v_cndmask_b32_e64 v30, v36, v30, s[28:29]
	;; [unrolled: 1-line block ×6, first 2 shown]
	v_cmp_ge_i32_e64 s[18:19], v31, v77
	s_waitcnt lgkmcnt(0)
	v_cmp_lt_i64_e64 s[20:21], v[34:35], v[32:33]
	v_cndmask_b32_e64 v5, v5, v7, s[16:17]
	v_cndmask_b32_e64 v4, v4, v6, s[16:17]
	v_cmp_lt_i32_e64 s[16:17], v30, v78
	s_or_b64 s[18:19], s[18:19], s[20:21]
	s_and_b64 s[16:17], s[16:17], s[18:19]
	v_cndmask_b32_e64 v25, v25, v27, s[26:27]
	v_cndmask_b32_e64 v24, v24, v26, s[26:27]
	;; [unrolled: 1-line block ×8, first 2 shown]
	s_barrier
	ds_write2_b64 v1, v[4:5], v[8:9] offset1:1
	ds_write2_b64 v1, v[12:13], v[16:17] offset0:2 offset1:3
	ds_write2_b64 v1, v[20:21], v[24:25] offset0:4 offset1:5
	ds_write2_b64 v1, v[28:29], v[6:7] offset0:6 offset1:7
	v_mov_b32_e32 v8, v90
	s_waitcnt lgkmcnt(0)
	s_barrier
	s_and_saveexec_b64 s[18:19], s[8:9]
	s_cbranch_execz .LBB158_166
; %bb.163:                              ;   in Loop: Header=BB158_2 Depth=1
	s_mov_b64 s[20:21], 0
	v_mov_b32_e32 v8, v90
	v_mov_b32_e32 v4, v91
.LBB158_164:                            ;   Parent Loop BB158_2 Depth=1
                                        ; =>  This Inner Loop Header: Depth=2
	v_sub_u32_e32 v5, v4, v8
	v_lshrrev_b32_e32 v6, 31, v5
	v_add_u32_e32 v5, v5, v6
	v_ashrrev_i32_e32 v5, 1, v5
	v_add_u32_e32 v5, v5, v8
	v_lshl_add_u32 v6, v5, 3, v88
	v_xad_u32 v7, v5, -1, v85
	v_lshl_add_u32 v9, v7, 3, v89
	ds_read_b64 v[6:7], v6
	ds_read_b64 v[10:11], v9
	v_add_u32_e32 v9, 1, v5
	s_waitcnt lgkmcnt(0)
	v_cmp_lt_i64_e64 s[16:17], v[10:11], v[6:7]
	s_nop 1
	v_cndmask_b32_e64 v4, v4, v5, s[16:17]
	v_cndmask_b32_e64 v8, v9, v8, s[16:17]
	v_cmp_ge_i32_e64 s[16:17], v8, v4
	s_or_b64 s[20:21], s[16:17], s[20:21]
	s_andn2_b64 exec, exec, s[20:21]
	s_cbranch_execnz .LBB158_164
; %bb.165:                              ;   in Loop: Header=BB158_2 Depth=1
	s_or_b64 exec, exec, s[20:21]
.LBB158_166:                            ;   in Loop: Header=BB158_2 Depth=1
	s_or_b64 exec, exec, s[18:19]
	v_sub_u32_e32 v12, v92, v8
	v_lshl_add_u32 v10, v8, 3, v88
	v_lshlrev_b32_e32 v14, 3, v12
	ds_read_b64 v[4:5], v10
	ds_read_b64 v[6:7], v14
	v_add_u32_e32 v13, v8, v84
	v_cmp_le_i32_e64 s[18:19], v86, v13
	v_cmp_gt_i32_e64 s[16:17], v87, v12
                                        ; implicit-def: $vgpr8_vgpr9
	s_waitcnt lgkmcnt(0)
	v_cmp_lt_i64_e64 s[20:21], v[6:7], v[4:5]
	s_or_b64 s[18:19], s[18:19], s[20:21]
	s_and_b64 s[16:17], s[16:17], s[18:19]
	s_xor_b64 s[18:19], s[16:17], -1
	s_and_saveexec_b64 s[20:21], s[18:19]
	s_xor_b64 s[18:19], exec, s[20:21]
	s_cbranch_execz .LBB158_168
; %bb.167:                              ;   in Loop: Header=BB158_2 Depth=1
	ds_read_b64 v[8:9], v10 offset:8
                                        ; implicit-def: $vgpr14
.LBB158_168:                            ;   in Loop: Header=BB158_2 Depth=1
	s_or_saveexec_b64 s[18:19], s[18:19]
	v_mov_b64_e32 v[10:11], v[6:7]
	s_xor_b64 exec, exec, s[18:19]
	s_cbranch_execz .LBB158_170
; %bb.169:                              ;   in Loop: Header=BB158_2 Depth=1
	ds_read_b64 v[10:11], v14 offset:8
	s_waitcnt lgkmcnt(1)
	v_mov_b64_e32 v[8:9], v[4:5]
.LBB158_170:                            ;   in Loop: Header=BB158_2 Depth=1
	s_or_b64 exec, exec, s[18:19]
	v_add_u32_e32 v15, 1, v13
	v_add_u32_e32 v14, 1, v12
	v_cndmask_b32_e64 v17, v15, v13, s[16:17]
	v_cndmask_b32_e64 v16, v12, v14, s[16:17]
	v_cmp_ge_i32_e64 s[20:21], v17, v86
	s_waitcnt lgkmcnt(0)
	v_cmp_lt_i64_e64 s[22:23], v[10:11], v[8:9]
	v_cmp_lt_i32_e64 s[18:19], v16, v87
	s_or_b64 s[20:21], s[20:21], s[22:23]
	s_and_b64 s[18:19], s[18:19], s[20:21]
	s_xor_b64 s[20:21], s[18:19], -1
                                        ; implicit-def: $vgpr12_vgpr13
	s_and_saveexec_b64 s[22:23], s[20:21]
	s_xor_b64 s[20:21], exec, s[22:23]
	s_cbranch_execz .LBB158_172
; %bb.171:                              ;   in Loop: Header=BB158_2 Depth=1
	v_lshlrev_b32_e32 v12, 3, v17
	ds_read_b64 v[12:13], v12 offset:8
.LBB158_172:                            ;   in Loop: Header=BB158_2 Depth=1
	s_or_saveexec_b64 s[20:21], s[20:21]
	v_mov_b64_e32 v[14:15], v[10:11]
	s_xor_b64 exec, exec, s[20:21]
	s_cbranch_execz .LBB158_174
; %bb.173:                              ;   in Loop: Header=BB158_2 Depth=1
	s_waitcnt lgkmcnt(0)
	v_lshlrev_b32_e32 v12, 3, v16
	ds_read_b64 v[14:15], v12 offset:8
	v_mov_b64_e32 v[12:13], v[8:9]
.LBB158_174:                            ;   in Loop: Header=BB158_2 Depth=1
	s_or_b64 exec, exec, s[20:21]
	v_add_u32_e32 v19, 1, v17
	v_add_u32_e32 v18, 1, v16
	v_cndmask_b32_e64 v21, v19, v17, s[18:19]
	v_cndmask_b32_e64 v20, v16, v18, s[18:19]
	v_cmp_ge_i32_e64 s[22:23], v21, v86
	s_waitcnt lgkmcnt(0)
	v_cmp_lt_i64_e64 s[24:25], v[14:15], v[12:13]
	v_cmp_lt_i32_e64 s[20:21], v20, v87
	s_or_b64 s[22:23], s[22:23], s[24:25]
	s_and_b64 s[20:21], s[20:21], s[22:23]
	s_xor_b64 s[22:23], s[20:21], -1
                                        ; implicit-def: $vgpr16_vgpr17
	s_and_saveexec_b64 s[24:25], s[22:23]
	s_xor_b64 s[22:23], exec, s[24:25]
	s_cbranch_execz .LBB158_176
; %bb.175:                              ;   in Loop: Header=BB158_2 Depth=1
	v_lshlrev_b32_e32 v16, 3, v21
	ds_read_b64 v[16:17], v16 offset:8
.LBB158_176:                            ;   in Loop: Header=BB158_2 Depth=1
	s_or_saveexec_b64 s[22:23], s[22:23]
	v_mov_b64_e32 v[18:19], v[14:15]
	s_xor_b64 exec, exec, s[22:23]
	s_cbranch_execz .LBB158_178
; %bb.177:                              ;   in Loop: Header=BB158_2 Depth=1
	s_waitcnt lgkmcnt(0)
	v_lshlrev_b32_e32 v16, 3, v20
	ds_read_b64 v[18:19], v16 offset:8
	v_mov_b64_e32 v[16:17], v[12:13]
.LBB158_178:                            ;   in Loop: Header=BB158_2 Depth=1
	s_or_b64 exec, exec, s[22:23]
	v_add_u32_e32 v23, 1, v21
	v_add_u32_e32 v22, 1, v20
	v_cndmask_b32_e64 v25, v23, v21, s[20:21]
	v_cndmask_b32_e64 v24, v20, v22, s[20:21]
	v_cmp_ge_i32_e64 s[24:25], v25, v86
	s_waitcnt lgkmcnt(0)
	v_cmp_lt_i64_e64 s[26:27], v[18:19], v[16:17]
	v_cmp_lt_i32_e64 s[22:23], v24, v87
	s_or_b64 s[24:25], s[24:25], s[26:27]
	s_and_b64 s[22:23], s[22:23], s[24:25]
	s_xor_b64 s[24:25], s[22:23], -1
                                        ; implicit-def: $vgpr20_vgpr21
	s_and_saveexec_b64 s[26:27], s[24:25]
	s_xor_b64 s[24:25], exec, s[26:27]
	s_cbranch_execz .LBB158_180
; %bb.179:                              ;   in Loop: Header=BB158_2 Depth=1
	v_lshlrev_b32_e32 v20, 3, v25
	ds_read_b64 v[20:21], v20 offset:8
.LBB158_180:                            ;   in Loop: Header=BB158_2 Depth=1
	s_or_saveexec_b64 s[24:25], s[24:25]
	v_mov_b64_e32 v[22:23], v[18:19]
	s_xor_b64 exec, exec, s[24:25]
	s_cbranch_execz .LBB158_182
; %bb.181:                              ;   in Loop: Header=BB158_2 Depth=1
	s_waitcnt lgkmcnt(0)
	v_lshlrev_b32_e32 v20, 3, v24
	ds_read_b64 v[22:23], v20 offset:8
	v_mov_b64_e32 v[20:21], v[16:17]
.LBB158_182:                            ;   in Loop: Header=BB158_2 Depth=1
	s_or_b64 exec, exec, s[24:25]
	v_add_u32_e32 v27, 1, v25
	v_add_u32_e32 v26, 1, v24
	v_cndmask_b32_e64 v29, v27, v25, s[22:23]
	v_cndmask_b32_e64 v28, v24, v26, s[22:23]
	v_cmp_ge_i32_e64 s[26:27], v29, v86
	s_waitcnt lgkmcnt(0)
	v_cmp_lt_i64_e64 s[28:29], v[22:23], v[20:21]
	v_cmp_lt_i32_e64 s[24:25], v28, v87
	s_or_b64 s[26:27], s[26:27], s[28:29]
	s_and_b64 s[24:25], s[24:25], s[26:27]
	s_xor_b64 s[26:27], s[24:25], -1
                                        ; implicit-def: $vgpr24_vgpr25
	s_and_saveexec_b64 s[28:29], s[26:27]
	s_xor_b64 s[26:27], exec, s[28:29]
	s_cbranch_execz .LBB158_184
; %bb.183:                              ;   in Loop: Header=BB158_2 Depth=1
	v_lshlrev_b32_e32 v24, 3, v29
	ds_read_b64 v[24:25], v24 offset:8
.LBB158_184:                            ;   in Loop: Header=BB158_2 Depth=1
	s_or_saveexec_b64 s[26:27], s[26:27]
	v_mov_b64_e32 v[26:27], v[22:23]
	s_xor_b64 exec, exec, s[26:27]
	s_cbranch_execz .LBB158_186
; %bb.185:                              ;   in Loop: Header=BB158_2 Depth=1
	s_waitcnt lgkmcnt(0)
	v_lshlrev_b32_e32 v24, 3, v28
	ds_read_b64 v[26:27], v24 offset:8
	v_mov_b64_e32 v[24:25], v[20:21]
.LBB158_186:                            ;   in Loop: Header=BB158_2 Depth=1
	s_or_b64 exec, exec, s[26:27]
	v_add_u32_e32 v31, 1, v29
	v_add_u32_e32 v30, 1, v28
	v_cndmask_b32_e64 v33, v31, v29, s[24:25]
	v_cndmask_b32_e64 v32, v28, v30, s[24:25]
	v_cmp_ge_i32_e64 s[28:29], v33, v86
	s_waitcnt lgkmcnt(0)
	v_cmp_lt_i64_e64 s[30:31], v[26:27], v[24:25]
	v_cmp_lt_i32_e64 s[26:27], v32, v87
	s_or_b64 s[28:29], s[28:29], s[30:31]
	s_and_b64 s[26:27], s[26:27], s[28:29]
	s_xor_b64 s[28:29], s[26:27], -1
                                        ; implicit-def: $vgpr28_vgpr29
	s_and_saveexec_b64 s[30:31], s[28:29]
	s_xor_b64 s[28:29], exec, s[30:31]
	s_cbranch_execz .LBB158_188
; %bb.187:                              ;   in Loop: Header=BB158_2 Depth=1
	v_lshlrev_b32_e32 v28, 3, v33
	ds_read_b64 v[28:29], v28 offset:8
.LBB158_188:                            ;   in Loop: Header=BB158_2 Depth=1
	s_or_saveexec_b64 s[28:29], s[28:29]
	v_mov_b64_e32 v[30:31], v[26:27]
	s_xor_b64 exec, exec, s[28:29]
	s_cbranch_execz .LBB158_190
; %bb.189:                              ;   in Loop: Header=BB158_2 Depth=1
	s_waitcnt lgkmcnt(0)
	v_lshlrev_b32_e32 v28, 3, v32
	ds_read_b64 v[30:31], v28 offset:8
	v_mov_b64_e32 v[28:29], v[24:25]
.LBB158_190:                            ;   in Loop: Header=BB158_2 Depth=1
	s_or_b64 exec, exec, s[28:29]
	v_add_u32_e32 v35, 1, v33
	v_add_u32_e32 v34, 1, v32
	v_cndmask_b32_e64 v37, v35, v33, s[26:27]
	v_cndmask_b32_e64 v36, v32, v34, s[26:27]
	v_cmp_ge_i32_e64 s[30:31], v37, v86
	s_waitcnt lgkmcnt(0)
	v_cmp_lt_i64_e64 s[34:35], v[30:31], v[28:29]
	v_cmp_lt_i32_e64 s[28:29], v36, v87
	s_or_b64 s[30:31], s[30:31], s[34:35]
	s_and_b64 s[28:29], s[28:29], s[30:31]
	s_xor_b64 s[30:31], s[28:29], -1
                                        ; implicit-def: $vgpr32_vgpr33
	s_and_saveexec_b64 s[34:35], s[30:31]
	s_xor_b64 s[30:31], exec, s[34:35]
	s_cbranch_execz .LBB158_192
; %bb.191:                              ;   in Loop: Header=BB158_2 Depth=1
	v_lshlrev_b32_e32 v32, 3, v37
	ds_read_b64 v[32:33], v32 offset:8
.LBB158_192:                            ;   in Loop: Header=BB158_2 Depth=1
	s_or_saveexec_b64 s[30:31], s[30:31]
	v_mov_b64_e32 v[34:35], v[30:31]
	s_xor_b64 exec, exec, s[30:31]
	s_cbranch_execz .LBB158_194
; %bb.193:                              ;   in Loop: Header=BB158_2 Depth=1
	s_waitcnt lgkmcnt(0)
	v_lshlrev_b32_e32 v32, 3, v36
	ds_read_b64 v[34:35], v32 offset:8
	v_mov_b64_e32 v[32:33], v[28:29]
.LBB158_194:                            ;   in Loop: Header=BB158_2 Depth=1
	s_or_b64 exec, exec, s[30:31]
	v_cndmask_b32_e64 v29, v29, v31, s[28:29]
	v_add_u32_e32 v31, 1, v37
	v_cndmask_b32_e64 v28, v28, v30, s[28:29]
	v_add_u32_e32 v30, 1, v36
	v_cndmask_b32_e64 v31, v31, v37, s[28:29]
	v_cndmask_b32_e64 v30, v36, v30, s[28:29]
	;; [unrolled: 1-line block ×6, first 2 shown]
	v_cmp_ge_i32_e64 s[18:19], v31, v86
	s_waitcnt lgkmcnt(0)
	v_cmp_lt_i64_e64 s[20:21], v[34:35], v[32:33]
	v_cndmask_b32_e64 v5, v5, v7, s[16:17]
	v_cndmask_b32_e64 v4, v4, v6, s[16:17]
	v_cmp_lt_i32_e64 s[16:17], v30, v87
	s_or_b64 s[18:19], s[18:19], s[20:21]
	s_and_b64 s[16:17], s[16:17], s[18:19]
	v_cndmask_b32_e64 v25, v25, v27, s[26:27]
	v_cndmask_b32_e64 v24, v24, v26, s[26:27]
	;; [unrolled: 1-line block ×8, first 2 shown]
	s_barrier
	ds_write2_b64 v1, v[4:5], v[8:9] offset1:1
	ds_write2_b64 v1, v[12:13], v[16:17] offset0:2 offset1:3
	ds_write2_b64 v1, v[20:21], v[24:25] offset0:4 offset1:5
	;; [unrolled: 1-line block ×3, first 2 shown]
	v_mov_b32_e32 v8, v99
	s_waitcnt lgkmcnt(0)
	s_barrier
	s_and_saveexec_b64 s[18:19], s[10:11]
	s_cbranch_execz .LBB158_198
; %bb.195:                              ;   in Loop: Header=BB158_2 Depth=1
	s_mov_b64 s[20:21], 0
	v_mov_b32_e32 v8, v99
	v_mov_b32_e32 v4, v100
.LBB158_196:                            ;   Parent Loop BB158_2 Depth=1
                                        ; =>  This Inner Loop Header: Depth=2
	v_sub_u32_e32 v5, v4, v8
	v_lshrrev_b32_e32 v6, 31, v5
	v_add_u32_e32 v5, v5, v6
	v_ashrrev_i32_e32 v5, 1, v5
	v_add_u32_e32 v5, v5, v8
	v_lshl_add_u32 v6, v5, 3, v97
	v_xad_u32 v7, v5, -1, v94
	v_lshl_add_u32 v9, v7, 3, v98
	ds_read_b64 v[6:7], v6
	ds_read_b64 v[10:11], v9
	v_add_u32_e32 v9, 1, v5
	s_waitcnt lgkmcnt(0)
	v_cmp_lt_i64_e64 s[16:17], v[10:11], v[6:7]
	s_nop 1
	v_cndmask_b32_e64 v4, v4, v5, s[16:17]
	v_cndmask_b32_e64 v8, v9, v8, s[16:17]
	v_cmp_ge_i32_e64 s[16:17], v8, v4
	s_or_b64 s[20:21], s[16:17], s[20:21]
	s_andn2_b64 exec, exec, s[20:21]
	s_cbranch_execnz .LBB158_196
; %bb.197:                              ;   in Loop: Header=BB158_2 Depth=1
	s_or_b64 exec, exec, s[20:21]
.LBB158_198:                            ;   in Loop: Header=BB158_2 Depth=1
	s_or_b64 exec, exec, s[18:19]
	v_sub_u32_e32 v12, v101, v8
	v_lshl_add_u32 v10, v8, 3, v97
	v_lshlrev_b32_e32 v14, 3, v12
	ds_read_b64 v[4:5], v10
	ds_read_b64 v[6:7], v14
	v_add_u32_e32 v13, v8, v93
	v_cmp_le_i32_e64 s[18:19], v95, v13
	v_cmp_gt_i32_e64 s[16:17], v96, v12
                                        ; implicit-def: $vgpr8_vgpr9
	s_waitcnt lgkmcnt(0)
	v_cmp_lt_i64_e64 s[20:21], v[6:7], v[4:5]
	s_or_b64 s[18:19], s[18:19], s[20:21]
	s_and_b64 s[16:17], s[16:17], s[18:19]
	s_xor_b64 s[18:19], s[16:17], -1
	s_and_saveexec_b64 s[20:21], s[18:19]
	s_xor_b64 s[18:19], exec, s[20:21]
	s_cbranch_execz .LBB158_200
; %bb.199:                              ;   in Loop: Header=BB158_2 Depth=1
	ds_read_b64 v[8:9], v10 offset:8
                                        ; implicit-def: $vgpr14
.LBB158_200:                            ;   in Loop: Header=BB158_2 Depth=1
	s_or_saveexec_b64 s[18:19], s[18:19]
	v_mov_b64_e32 v[10:11], v[6:7]
	s_xor_b64 exec, exec, s[18:19]
	s_cbranch_execz .LBB158_202
; %bb.201:                              ;   in Loop: Header=BB158_2 Depth=1
	ds_read_b64 v[10:11], v14 offset:8
	s_waitcnt lgkmcnt(1)
	v_mov_b64_e32 v[8:9], v[4:5]
.LBB158_202:                            ;   in Loop: Header=BB158_2 Depth=1
	s_or_b64 exec, exec, s[18:19]
	v_add_u32_e32 v15, 1, v13
	v_add_u32_e32 v14, 1, v12
	v_cndmask_b32_e64 v17, v15, v13, s[16:17]
	v_cndmask_b32_e64 v16, v12, v14, s[16:17]
	v_cmp_ge_i32_e64 s[20:21], v17, v95
	s_waitcnt lgkmcnt(0)
	v_cmp_lt_i64_e64 s[22:23], v[10:11], v[8:9]
	v_cmp_lt_i32_e64 s[18:19], v16, v96
	s_or_b64 s[20:21], s[20:21], s[22:23]
	s_and_b64 s[18:19], s[18:19], s[20:21]
	s_xor_b64 s[20:21], s[18:19], -1
                                        ; implicit-def: $vgpr12_vgpr13
	s_and_saveexec_b64 s[22:23], s[20:21]
	s_xor_b64 s[20:21], exec, s[22:23]
	s_cbranch_execz .LBB158_204
; %bb.203:                              ;   in Loop: Header=BB158_2 Depth=1
	v_lshlrev_b32_e32 v12, 3, v17
	ds_read_b64 v[12:13], v12 offset:8
.LBB158_204:                            ;   in Loop: Header=BB158_2 Depth=1
	s_or_saveexec_b64 s[20:21], s[20:21]
	v_mov_b64_e32 v[14:15], v[10:11]
	s_xor_b64 exec, exec, s[20:21]
	s_cbranch_execz .LBB158_206
; %bb.205:                              ;   in Loop: Header=BB158_2 Depth=1
	s_waitcnt lgkmcnt(0)
	v_lshlrev_b32_e32 v12, 3, v16
	ds_read_b64 v[14:15], v12 offset:8
	v_mov_b64_e32 v[12:13], v[8:9]
.LBB158_206:                            ;   in Loop: Header=BB158_2 Depth=1
	s_or_b64 exec, exec, s[20:21]
	v_add_u32_e32 v19, 1, v17
	v_add_u32_e32 v18, 1, v16
	v_cndmask_b32_e64 v21, v19, v17, s[18:19]
	v_cndmask_b32_e64 v20, v16, v18, s[18:19]
	v_cmp_ge_i32_e64 s[22:23], v21, v95
	s_waitcnt lgkmcnt(0)
	v_cmp_lt_i64_e64 s[24:25], v[14:15], v[12:13]
	v_cmp_lt_i32_e64 s[20:21], v20, v96
	s_or_b64 s[22:23], s[22:23], s[24:25]
	s_and_b64 s[20:21], s[20:21], s[22:23]
	s_xor_b64 s[22:23], s[20:21], -1
                                        ; implicit-def: $vgpr16_vgpr17
	s_and_saveexec_b64 s[24:25], s[22:23]
	s_xor_b64 s[22:23], exec, s[24:25]
	s_cbranch_execz .LBB158_208
; %bb.207:                              ;   in Loop: Header=BB158_2 Depth=1
	v_lshlrev_b32_e32 v16, 3, v21
	ds_read_b64 v[16:17], v16 offset:8
.LBB158_208:                            ;   in Loop: Header=BB158_2 Depth=1
	s_or_saveexec_b64 s[22:23], s[22:23]
	v_mov_b64_e32 v[18:19], v[14:15]
	s_xor_b64 exec, exec, s[22:23]
	s_cbranch_execz .LBB158_210
; %bb.209:                              ;   in Loop: Header=BB158_2 Depth=1
	s_waitcnt lgkmcnt(0)
	v_lshlrev_b32_e32 v16, 3, v20
	ds_read_b64 v[18:19], v16 offset:8
	v_mov_b64_e32 v[16:17], v[12:13]
.LBB158_210:                            ;   in Loop: Header=BB158_2 Depth=1
	s_or_b64 exec, exec, s[22:23]
	v_add_u32_e32 v23, 1, v21
	v_add_u32_e32 v22, 1, v20
	v_cndmask_b32_e64 v25, v23, v21, s[20:21]
	v_cndmask_b32_e64 v24, v20, v22, s[20:21]
	v_cmp_ge_i32_e64 s[24:25], v25, v95
	s_waitcnt lgkmcnt(0)
	v_cmp_lt_i64_e64 s[26:27], v[18:19], v[16:17]
	v_cmp_lt_i32_e64 s[22:23], v24, v96
	s_or_b64 s[24:25], s[24:25], s[26:27]
	s_and_b64 s[22:23], s[22:23], s[24:25]
	s_xor_b64 s[24:25], s[22:23], -1
                                        ; implicit-def: $vgpr20_vgpr21
	s_and_saveexec_b64 s[26:27], s[24:25]
	s_xor_b64 s[24:25], exec, s[26:27]
	s_cbranch_execz .LBB158_212
; %bb.211:                              ;   in Loop: Header=BB158_2 Depth=1
	v_lshlrev_b32_e32 v20, 3, v25
	ds_read_b64 v[20:21], v20 offset:8
.LBB158_212:                            ;   in Loop: Header=BB158_2 Depth=1
	s_or_saveexec_b64 s[24:25], s[24:25]
	v_mov_b64_e32 v[22:23], v[18:19]
	s_xor_b64 exec, exec, s[24:25]
	s_cbranch_execz .LBB158_214
; %bb.213:                              ;   in Loop: Header=BB158_2 Depth=1
	s_waitcnt lgkmcnt(0)
	v_lshlrev_b32_e32 v20, 3, v24
	ds_read_b64 v[22:23], v20 offset:8
	v_mov_b64_e32 v[20:21], v[16:17]
.LBB158_214:                            ;   in Loop: Header=BB158_2 Depth=1
	s_or_b64 exec, exec, s[24:25]
	v_add_u32_e32 v27, 1, v25
	v_add_u32_e32 v26, 1, v24
	v_cndmask_b32_e64 v29, v27, v25, s[22:23]
	v_cndmask_b32_e64 v28, v24, v26, s[22:23]
	v_cmp_ge_i32_e64 s[26:27], v29, v95
	s_waitcnt lgkmcnt(0)
	v_cmp_lt_i64_e64 s[28:29], v[22:23], v[20:21]
	v_cmp_lt_i32_e64 s[24:25], v28, v96
	s_or_b64 s[26:27], s[26:27], s[28:29]
	s_and_b64 s[24:25], s[24:25], s[26:27]
	s_xor_b64 s[26:27], s[24:25], -1
                                        ; implicit-def: $vgpr24_vgpr25
	s_and_saveexec_b64 s[28:29], s[26:27]
	s_xor_b64 s[26:27], exec, s[28:29]
	s_cbranch_execz .LBB158_216
; %bb.215:                              ;   in Loop: Header=BB158_2 Depth=1
	v_lshlrev_b32_e32 v24, 3, v29
	ds_read_b64 v[24:25], v24 offset:8
.LBB158_216:                            ;   in Loop: Header=BB158_2 Depth=1
	s_or_saveexec_b64 s[26:27], s[26:27]
	v_mov_b64_e32 v[26:27], v[22:23]
	s_xor_b64 exec, exec, s[26:27]
	s_cbranch_execz .LBB158_218
; %bb.217:                              ;   in Loop: Header=BB158_2 Depth=1
	s_waitcnt lgkmcnt(0)
	v_lshlrev_b32_e32 v24, 3, v28
	ds_read_b64 v[26:27], v24 offset:8
	v_mov_b64_e32 v[24:25], v[20:21]
.LBB158_218:                            ;   in Loop: Header=BB158_2 Depth=1
	s_or_b64 exec, exec, s[26:27]
	v_add_u32_e32 v31, 1, v29
	v_add_u32_e32 v30, 1, v28
	v_cndmask_b32_e64 v33, v31, v29, s[24:25]
	v_cndmask_b32_e64 v32, v28, v30, s[24:25]
	v_cmp_ge_i32_e64 s[28:29], v33, v95
	s_waitcnt lgkmcnt(0)
	v_cmp_lt_i64_e64 s[30:31], v[26:27], v[24:25]
	v_cmp_lt_i32_e64 s[26:27], v32, v96
	s_or_b64 s[28:29], s[28:29], s[30:31]
	s_and_b64 s[26:27], s[26:27], s[28:29]
	s_xor_b64 s[28:29], s[26:27], -1
                                        ; implicit-def: $vgpr28_vgpr29
	s_and_saveexec_b64 s[30:31], s[28:29]
	s_xor_b64 s[28:29], exec, s[30:31]
	s_cbranch_execz .LBB158_220
; %bb.219:                              ;   in Loop: Header=BB158_2 Depth=1
	v_lshlrev_b32_e32 v28, 3, v33
	ds_read_b64 v[28:29], v28 offset:8
.LBB158_220:                            ;   in Loop: Header=BB158_2 Depth=1
	s_or_saveexec_b64 s[28:29], s[28:29]
	v_mov_b64_e32 v[30:31], v[26:27]
	s_xor_b64 exec, exec, s[28:29]
	s_cbranch_execz .LBB158_222
; %bb.221:                              ;   in Loop: Header=BB158_2 Depth=1
	s_waitcnt lgkmcnt(0)
	v_lshlrev_b32_e32 v28, 3, v32
	ds_read_b64 v[30:31], v28 offset:8
	v_mov_b64_e32 v[28:29], v[24:25]
.LBB158_222:                            ;   in Loop: Header=BB158_2 Depth=1
	s_or_b64 exec, exec, s[28:29]
	v_add_u32_e32 v35, 1, v33
	v_add_u32_e32 v34, 1, v32
	v_cndmask_b32_e64 v37, v35, v33, s[26:27]
	v_cndmask_b32_e64 v36, v32, v34, s[26:27]
	v_cmp_ge_i32_e64 s[30:31], v37, v95
	s_waitcnt lgkmcnt(0)
	v_cmp_lt_i64_e64 s[34:35], v[30:31], v[28:29]
	v_cmp_lt_i32_e64 s[28:29], v36, v96
	s_or_b64 s[30:31], s[30:31], s[34:35]
	s_and_b64 s[28:29], s[28:29], s[30:31]
	s_xor_b64 s[30:31], s[28:29], -1
                                        ; implicit-def: $vgpr32_vgpr33
	s_and_saveexec_b64 s[34:35], s[30:31]
	s_xor_b64 s[30:31], exec, s[34:35]
	s_cbranch_execz .LBB158_224
; %bb.223:                              ;   in Loop: Header=BB158_2 Depth=1
	v_lshlrev_b32_e32 v32, 3, v37
	ds_read_b64 v[32:33], v32 offset:8
.LBB158_224:                            ;   in Loop: Header=BB158_2 Depth=1
	s_or_saveexec_b64 s[30:31], s[30:31]
	v_mov_b64_e32 v[34:35], v[30:31]
	s_xor_b64 exec, exec, s[30:31]
	s_cbranch_execz .LBB158_226
; %bb.225:                              ;   in Loop: Header=BB158_2 Depth=1
	s_waitcnt lgkmcnt(0)
	v_lshlrev_b32_e32 v32, 3, v36
	ds_read_b64 v[34:35], v32 offset:8
	v_mov_b64_e32 v[32:33], v[28:29]
.LBB158_226:                            ;   in Loop: Header=BB158_2 Depth=1
	s_or_b64 exec, exec, s[30:31]
	v_cndmask_b32_e64 v29, v29, v31, s[28:29]
	v_add_u32_e32 v31, 1, v37
	v_cndmask_b32_e64 v28, v28, v30, s[28:29]
	v_add_u32_e32 v30, 1, v36
	v_cndmask_b32_e64 v31, v31, v37, s[28:29]
	v_cndmask_b32_e64 v30, v36, v30, s[28:29]
	;; [unrolled: 1-line block ×6, first 2 shown]
	v_cmp_ge_i32_e64 s[18:19], v31, v95
	s_waitcnt lgkmcnt(0)
	v_cmp_lt_i64_e64 s[20:21], v[34:35], v[32:33]
	v_cndmask_b32_e64 v5, v5, v7, s[16:17]
	v_cndmask_b32_e64 v4, v4, v6, s[16:17]
	v_cmp_lt_i32_e64 s[16:17], v30, v96
	s_or_b64 s[18:19], s[18:19], s[20:21]
	s_and_b64 s[16:17], s[16:17], s[18:19]
	v_cndmask_b32_e64 v25, v25, v27, s[26:27]
	v_cndmask_b32_e64 v24, v24, v26, s[26:27]
	;; [unrolled: 1-line block ×8, first 2 shown]
	s_barrier
	ds_write2_b64 v1, v[4:5], v[8:9] offset1:1
	ds_write2_b64 v1, v[12:13], v[16:17] offset0:2 offset1:3
	ds_write2_b64 v1, v[20:21], v[24:25] offset0:4 offset1:5
	ds_write2_b64 v1, v[28:29], v[6:7] offset0:6 offset1:7
	v_mov_b32_e32 v8, v109
	s_waitcnt lgkmcnt(0)
	s_barrier
	s_and_saveexec_b64 s[18:19], s[12:13]
	s_cbranch_execz .LBB158_230
; %bb.227:                              ;   in Loop: Header=BB158_2 Depth=1
	s_mov_b64 s[20:21], 0
	v_mov_b32_e32 v8, v109
	v_mov_b32_e32 v4, v110
.LBB158_228:                            ;   Parent Loop BB158_2 Depth=1
                                        ; =>  This Inner Loop Header: Depth=2
	v_sub_u32_e32 v5, v4, v8
	v_lshrrev_b32_e32 v6, 31, v5
	v_add_u32_e32 v5, v5, v6
	v_ashrrev_i32_e32 v5, 1, v5
	v_add_u32_e32 v5, v5, v8
	v_lshl_add_u32 v6, v5, 3, v107
	v_xad_u32 v7, v5, -1, v104
	v_lshl_add_u32 v9, v7, 3, v108
	ds_read_b64 v[6:7], v6
	ds_read_b64 v[10:11], v9
	v_add_u32_e32 v9, 1, v5
	s_waitcnt lgkmcnt(0)
	v_cmp_lt_i64_e64 s[16:17], v[10:11], v[6:7]
	s_nop 1
	v_cndmask_b32_e64 v4, v4, v5, s[16:17]
	v_cndmask_b32_e64 v8, v9, v8, s[16:17]
	v_cmp_ge_i32_e64 s[16:17], v8, v4
	s_or_b64 s[20:21], s[16:17], s[20:21]
	s_andn2_b64 exec, exec, s[20:21]
	s_cbranch_execnz .LBB158_228
; %bb.229:                              ;   in Loop: Header=BB158_2 Depth=1
	s_or_b64 exec, exec, s[20:21]
.LBB158_230:                            ;   in Loop: Header=BB158_2 Depth=1
	s_or_b64 exec, exec, s[18:19]
	v_sub_u32_e32 v12, v111, v8
	v_lshl_add_u32 v10, v8, 3, v107
	v_lshlrev_b32_e32 v14, 3, v12
	ds_read_b64 v[4:5], v10
	ds_read_b64 v[6:7], v14
	v_add_u32_e32 v13, v8, v103
	v_cmp_le_i32_e64 s[18:19], v105, v13
	v_cmp_gt_i32_e64 s[16:17], v106, v12
                                        ; implicit-def: $vgpr8_vgpr9
	s_waitcnt lgkmcnt(0)
	v_cmp_lt_i64_e64 s[20:21], v[6:7], v[4:5]
	s_or_b64 s[18:19], s[18:19], s[20:21]
	s_and_b64 s[16:17], s[16:17], s[18:19]
	s_xor_b64 s[18:19], s[16:17], -1
	s_and_saveexec_b64 s[20:21], s[18:19]
	s_xor_b64 s[18:19], exec, s[20:21]
	s_cbranch_execz .LBB158_232
; %bb.231:                              ;   in Loop: Header=BB158_2 Depth=1
	ds_read_b64 v[8:9], v10 offset:8
                                        ; implicit-def: $vgpr14
.LBB158_232:                            ;   in Loop: Header=BB158_2 Depth=1
	s_or_saveexec_b64 s[18:19], s[18:19]
	v_mov_b64_e32 v[10:11], v[6:7]
	s_xor_b64 exec, exec, s[18:19]
	s_cbranch_execz .LBB158_234
; %bb.233:                              ;   in Loop: Header=BB158_2 Depth=1
	ds_read_b64 v[10:11], v14 offset:8
	s_waitcnt lgkmcnt(1)
	v_mov_b64_e32 v[8:9], v[4:5]
.LBB158_234:                            ;   in Loop: Header=BB158_2 Depth=1
	s_or_b64 exec, exec, s[18:19]
	v_add_u32_e32 v15, 1, v13
	v_add_u32_e32 v14, 1, v12
	v_cndmask_b32_e64 v17, v15, v13, s[16:17]
	v_cndmask_b32_e64 v16, v12, v14, s[16:17]
	v_cmp_ge_i32_e64 s[20:21], v17, v105
	s_waitcnt lgkmcnt(0)
	v_cmp_lt_i64_e64 s[22:23], v[10:11], v[8:9]
	v_cmp_lt_i32_e64 s[18:19], v16, v106
	s_or_b64 s[20:21], s[20:21], s[22:23]
	s_and_b64 s[18:19], s[18:19], s[20:21]
	s_xor_b64 s[20:21], s[18:19], -1
                                        ; implicit-def: $vgpr12_vgpr13
	s_and_saveexec_b64 s[22:23], s[20:21]
	s_xor_b64 s[20:21], exec, s[22:23]
	s_cbranch_execz .LBB158_236
; %bb.235:                              ;   in Loop: Header=BB158_2 Depth=1
	v_lshlrev_b32_e32 v12, 3, v17
	ds_read_b64 v[12:13], v12 offset:8
.LBB158_236:                            ;   in Loop: Header=BB158_2 Depth=1
	s_or_saveexec_b64 s[20:21], s[20:21]
	v_mov_b64_e32 v[14:15], v[10:11]
	s_xor_b64 exec, exec, s[20:21]
	s_cbranch_execz .LBB158_238
; %bb.237:                              ;   in Loop: Header=BB158_2 Depth=1
	s_waitcnt lgkmcnt(0)
	v_lshlrev_b32_e32 v12, 3, v16
	ds_read_b64 v[14:15], v12 offset:8
	v_mov_b64_e32 v[12:13], v[8:9]
.LBB158_238:                            ;   in Loop: Header=BB158_2 Depth=1
	s_or_b64 exec, exec, s[20:21]
	v_add_u32_e32 v19, 1, v17
	v_add_u32_e32 v18, 1, v16
	v_cndmask_b32_e64 v21, v19, v17, s[18:19]
	v_cndmask_b32_e64 v20, v16, v18, s[18:19]
	v_cmp_ge_i32_e64 s[22:23], v21, v105
	s_waitcnt lgkmcnt(0)
	v_cmp_lt_i64_e64 s[24:25], v[14:15], v[12:13]
	v_cmp_lt_i32_e64 s[20:21], v20, v106
	s_or_b64 s[22:23], s[22:23], s[24:25]
	s_and_b64 s[20:21], s[20:21], s[22:23]
	s_xor_b64 s[22:23], s[20:21], -1
                                        ; implicit-def: $vgpr16_vgpr17
	s_and_saveexec_b64 s[24:25], s[22:23]
	s_xor_b64 s[22:23], exec, s[24:25]
	s_cbranch_execz .LBB158_240
; %bb.239:                              ;   in Loop: Header=BB158_2 Depth=1
	v_lshlrev_b32_e32 v16, 3, v21
	ds_read_b64 v[16:17], v16 offset:8
.LBB158_240:                            ;   in Loop: Header=BB158_2 Depth=1
	s_or_saveexec_b64 s[22:23], s[22:23]
	v_mov_b64_e32 v[18:19], v[14:15]
	s_xor_b64 exec, exec, s[22:23]
	s_cbranch_execz .LBB158_242
; %bb.241:                              ;   in Loop: Header=BB158_2 Depth=1
	s_waitcnt lgkmcnt(0)
	v_lshlrev_b32_e32 v16, 3, v20
	ds_read_b64 v[18:19], v16 offset:8
	v_mov_b64_e32 v[16:17], v[12:13]
.LBB158_242:                            ;   in Loop: Header=BB158_2 Depth=1
	s_or_b64 exec, exec, s[22:23]
	v_add_u32_e32 v23, 1, v21
	v_add_u32_e32 v22, 1, v20
	v_cndmask_b32_e64 v25, v23, v21, s[20:21]
	v_cndmask_b32_e64 v24, v20, v22, s[20:21]
	v_cmp_ge_i32_e64 s[24:25], v25, v105
	s_waitcnt lgkmcnt(0)
	v_cmp_lt_i64_e64 s[26:27], v[18:19], v[16:17]
	v_cmp_lt_i32_e64 s[22:23], v24, v106
	s_or_b64 s[24:25], s[24:25], s[26:27]
	s_and_b64 s[22:23], s[22:23], s[24:25]
	s_xor_b64 s[24:25], s[22:23], -1
                                        ; implicit-def: $vgpr20_vgpr21
	s_and_saveexec_b64 s[26:27], s[24:25]
	s_xor_b64 s[24:25], exec, s[26:27]
	s_cbranch_execz .LBB158_244
; %bb.243:                              ;   in Loop: Header=BB158_2 Depth=1
	v_lshlrev_b32_e32 v20, 3, v25
	ds_read_b64 v[20:21], v20 offset:8
.LBB158_244:                            ;   in Loop: Header=BB158_2 Depth=1
	s_or_saveexec_b64 s[24:25], s[24:25]
	v_mov_b64_e32 v[22:23], v[18:19]
	s_xor_b64 exec, exec, s[24:25]
	s_cbranch_execz .LBB158_246
; %bb.245:                              ;   in Loop: Header=BB158_2 Depth=1
	s_waitcnt lgkmcnt(0)
	v_lshlrev_b32_e32 v20, 3, v24
	ds_read_b64 v[22:23], v20 offset:8
	v_mov_b64_e32 v[20:21], v[16:17]
.LBB158_246:                            ;   in Loop: Header=BB158_2 Depth=1
	s_or_b64 exec, exec, s[24:25]
	v_add_u32_e32 v27, 1, v25
	v_add_u32_e32 v26, 1, v24
	v_cndmask_b32_e64 v29, v27, v25, s[22:23]
	v_cndmask_b32_e64 v28, v24, v26, s[22:23]
	v_cmp_ge_i32_e64 s[26:27], v29, v105
	s_waitcnt lgkmcnt(0)
	v_cmp_lt_i64_e64 s[28:29], v[22:23], v[20:21]
	v_cmp_lt_i32_e64 s[24:25], v28, v106
	s_or_b64 s[26:27], s[26:27], s[28:29]
	s_and_b64 s[24:25], s[24:25], s[26:27]
	s_xor_b64 s[26:27], s[24:25], -1
                                        ; implicit-def: $vgpr24_vgpr25
	s_and_saveexec_b64 s[28:29], s[26:27]
	s_xor_b64 s[26:27], exec, s[28:29]
	s_cbranch_execz .LBB158_248
; %bb.247:                              ;   in Loop: Header=BB158_2 Depth=1
	v_lshlrev_b32_e32 v24, 3, v29
	ds_read_b64 v[24:25], v24 offset:8
.LBB158_248:                            ;   in Loop: Header=BB158_2 Depth=1
	s_or_saveexec_b64 s[26:27], s[26:27]
	v_mov_b64_e32 v[26:27], v[22:23]
	s_xor_b64 exec, exec, s[26:27]
	s_cbranch_execz .LBB158_250
; %bb.249:                              ;   in Loop: Header=BB158_2 Depth=1
	s_waitcnt lgkmcnt(0)
	v_lshlrev_b32_e32 v24, 3, v28
	ds_read_b64 v[26:27], v24 offset:8
	v_mov_b64_e32 v[24:25], v[20:21]
.LBB158_250:                            ;   in Loop: Header=BB158_2 Depth=1
	s_or_b64 exec, exec, s[26:27]
	v_add_u32_e32 v31, 1, v29
	v_add_u32_e32 v30, 1, v28
	v_cndmask_b32_e64 v33, v31, v29, s[24:25]
	v_cndmask_b32_e64 v32, v28, v30, s[24:25]
	v_cmp_ge_i32_e64 s[28:29], v33, v105
	s_waitcnt lgkmcnt(0)
	v_cmp_lt_i64_e64 s[30:31], v[26:27], v[24:25]
	v_cmp_lt_i32_e64 s[26:27], v32, v106
	s_or_b64 s[28:29], s[28:29], s[30:31]
	s_and_b64 s[26:27], s[26:27], s[28:29]
	s_xor_b64 s[28:29], s[26:27], -1
                                        ; implicit-def: $vgpr28_vgpr29
	s_and_saveexec_b64 s[30:31], s[28:29]
	s_xor_b64 s[28:29], exec, s[30:31]
	s_cbranch_execz .LBB158_252
; %bb.251:                              ;   in Loop: Header=BB158_2 Depth=1
	v_lshlrev_b32_e32 v28, 3, v33
	ds_read_b64 v[28:29], v28 offset:8
.LBB158_252:                            ;   in Loop: Header=BB158_2 Depth=1
	s_or_saveexec_b64 s[28:29], s[28:29]
	v_mov_b64_e32 v[30:31], v[26:27]
	s_xor_b64 exec, exec, s[28:29]
	s_cbranch_execz .LBB158_254
; %bb.253:                              ;   in Loop: Header=BB158_2 Depth=1
	s_waitcnt lgkmcnt(0)
	v_lshlrev_b32_e32 v28, 3, v32
	ds_read_b64 v[30:31], v28 offset:8
	v_mov_b64_e32 v[28:29], v[24:25]
.LBB158_254:                            ;   in Loop: Header=BB158_2 Depth=1
	s_or_b64 exec, exec, s[28:29]
	v_add_u32_e32 v35, 1, v33
	v_add_u32_e32 v34, 1, v32
	v_cndmask_b32_e64 v37, v35, v33, s[26:27]
	v_cndmask_b32_e64 v36, v32, v34, s[26:27]
	v_cmp_ge_i32_e64 s[30:31], v37, v105
	s_waitcnt lgkmcnt(0)
	v_cmp_lt_i64_e64 s[34:35], v[30:31], v[28:29]
	v_cmp_lt_i32_e64 s[28:29], v36, v106
	s_or_b64 s[30:31], s[30:31], s[34:35]
	s_and_b64 s[28:29], s[28:29], s[30:31]
	s_xor_b64 s[30:31], s[28:29], -1
                                        ; implicit-def: $vgpr32_vgpr33
	s_and_saveexec_b64 s[34:35], s[30:31]
	s_xor_b64 s[30:31], exec, s[34:35]
	s_cbranch_execz .LBB158_256
; %bb.255:                              ;   in Loop: Header=BB158_2 Depth=1
	v_lshlrev_b32_e32 v32, 3, v37
	ds_read_b64 v[32:33], v32 offset:8
.LBB158_256:                            ;   in Loop: Header=BB158_2 Depth=1
	s_or_saveexec_b64 s[30:31], s[30:31]
	v_mov_b64_e32 v[34:35], v[30:31]
	s_xor_b64 exec, exec, s[30:31]
	s_cbranch_execz .LBB158_258
; %bb.257:                              ;   in Loop: Header=BB158_2 Depth=1
	s_waitcnt lgkmcnt(0)
	v_lshlrev_b32_e32 v32, 3, v36
	ds_read_b64 v[34:35], v32 offset:8
	v_mov_b64_e32 v[32:33], v[28:29]
.LBB158_258:                            ;   in Loop: Header=BB158_2 Depth=1
	s_or_b64 exec, exec, s[30:31]
	v_cndmask_b32_e64 v29, v29, v31, s[28:29]
	v_add_u32_e32 v31, 1, v37
	v_cndmask_b32_e64 v28, v28, v30, s[28:29]
	v_add_u32_e32 v30, 1, v36
	v_cndmask_b32_e64 v31, v31, v37, s[28:29]
	v_cndmask_b32_e64 v30, v36, v30, s[28:29]
	;; [unrolled: 1-line block ×6, first 2 shown]
	v_cmp_ge_i32_e64 s[18:19], v31, v105
	s_waitcnt lgkmcnt(0)
	v_cmp_lt_i64_e64 s[20:21], v[34:35], v[32:33]
	v_cndmask_b32_e64 v5, v5, v7, s[16:17]
	v_cndmask_b32_e64 v4, v4, v6, s[16:17]
	v_cmp_lt_i32_e64 s[16:17], v30, v106
	s_or_b64 s[18:19], s[18:19], s[20:21]
	s_and_b64 s[16:17], s[16:17], s[18:19]
	v_cndmask_b32_e64 v25, v25, v27, s[26:27]
	v_cndmask_b32_e64 v24, v24, v26, s[26:27]
	;; [unrolled: 1-line block ×8, first 2 shown]
	s_barrier
	ds_write2_b64 v1, v[4:5], v[8:9] offset1:1
	ds_write2_b64 v1, v[12:13], v[16:17] offset0:2 offset1:3
	ds_write2_b64 v1, v[20:21], v[24:25] offset0:4 offset1:5
	;; [unrolled: 1-line block ×3, first 2 shown]
	v_mov_b32_e32 v12, v113
	s_waitcnt lgkmcnt(0)
	s_barrier
	s_and_saveexec_b64 s[18:19], s[14:15]
	s_cbranch_execz .LBB158_262
; %bb.259:                              ;   in Loop: Header=BB158_2 Depth=1
	s_mov_b64 s[20:21], 0
	v_mov_b32_e32 v12, v113
	v_mov_b32_e32 v4, v114
.LBB158_260:                            ;   Parent Loop BB158_2 Depth=1
                                        ; =>  This Inner Loop Header: Depth=2
	v_sub_u32_e32 v5, v4, v12
	v_lshrrev_b32_e32 v6, 31, v5
	v_add_u32_e32 v5, v5, v6
	v_ashrrev_i32_e32 v5, 1, v5
	v_add_u32_e32 v5, v5, v12
	v_xad_u32 v7, v5, -1, v2
	v_lshlrev_b32_e32 v6, 3, v5
	v_lshl_add_u32 v8, v7, 3, v112
	ds_read_b64 v[6:7], v6
	ds_read_b64 v[8:9], v8
	v_add_u32_e32 v10, 1, v5
	s_waitcnt lgkmcnt(0)
	v_cmp_lt_i64_e64 s[16:17], v[8:9], v[6:7]
	s_nop 1
	v_cndmask_b32_e64 v4, v4, v5, s[16:17]
	v_cndmask_b32_e64 v12, v10, v12, s[16:17]
	v_cmp_ge_i32_e64 s[16:17], v12, v4
	s_or_b64 s[20:21], s[16:17], s[20:21]
	s_andn2_b64 exec, exec, s[20:21]
	s_cbranch_execnz .LBB158_260
; %bb.261:                              ;   in Loop: Header=BB158_2 Depth=1
	s_or_b64 exec, exec, s[20:21]
.LBB158_262:                            ;   in Loop: Header=BB158_2 Depth=1
	s_or_b64 exec, exec, s[18:19]
	v_sub_u32_e32 v13, v115, v12
	v_lshlrev_b32_e32 v10, 3, v12
	v_lshlrev_b32_e32 v14, 3, v13
	ds_read_b64 v[4:5], v10
	ds_read_b64 v[6:7], v14
	v_cmp_le_i32_e64 s[18:19], v102, v12
	v_cmp_gt_i32_e64 s[16:17], s33, v13
                                        ; implicit-def: $vgpr8_vgpr9
	s_waitcnt lgkmcnt(0)
	v_cmp_lt_i64_e64 s[20:21], v[6:7], v[4:5]
	s_or_b64 s[18:19], s[18:19], s[20:21]
	s_and_b64 s[16:17], s[16:17], s[18:19]
	s_xor_b64 s[18:19], s[16:17], -1
	s_and_saveexec_b64 s[20:21], s[18:19]
	s_xor_b64 s[18:19], exec, s[20:21]
	s_cbranch_execz .LBB158_264
; %bb.263:                              ;   in Loop: Header=BB158_2 Depth=1
	ds_read_b64 v[8:9], v10 offset:8
                                        ; implicit-def: $vgpr14
.LBB158_264:                            ;   in Loop: Header=BB158_2 Depth=1
	s_or_saveexec_b64 s[18:19], s[18:19]
	v_mov_b64_e32 v[10:11], v[6:7]
	s_xor_b64 exec, exec, s[18:19]
	s_cbranch_execz .LBB158_266
; %bb.265:                              ;   in Loop: Header=BB158_2 Depth=1
	ds_read_b64 v[10:11], v14 offset:8
	s_waitcnt lgkmcnt(1)
	v_mov_b64_e32 v[8:9], v[4:5]
.LBB158_266:                            ;   in Loop: Header=BB158_2 Depth=1
	s_or_b64 exec, exec, s[18:19]
	v_add_u32_e32 v15, 1, v12
	v_add_u32_e32 v14, 1, v13
	v_cndmask_b32_e64 v17, v15, v12, s[16:17]
	v_cndmask_b32_e64 v16, v13, v14, s[16:17]
	v_cmp_ge_i32_e64 s[20:21], v17, v102
	s_waitcnt lgkmcnt(0)
	v_cmp_lt_i64_e64 s[22:23], v[10:11], v[8:9]
	v_cmp_gt_i32_e64 s[18:19], s33, v16
	s_or_b64 s[20:21], s[20:21], s[22:23]
	s_and_b64 s[18:19], s[18:19], s[20:21]
	s_xor_b64 s[20:21], s[18:19], -1
                                        ; implicit-def: $vgpr12_vgpr13
	s_and_saveexec_b64 s[22:23], s[20:21]
	s_xor_b64 s[20:21], exec, s[22:23]
	s_cbranch_execz .LBB158_268
; %bb.267:                              ;   in Loop: Header=BB158_2 Depth=1
	v_lshlrev_b32_e32 v12, 3, v17
	ds_read_b64 v[12:13], v12 offset:8
.LBB158_268:                            ;   in Loop: Header=BB158_2 Depth=1
	s_or_saveexec_b64 s[20:21], s[20:21]
	v_mov_b64_e32 v[14:15], v[10:11]
	s_xor_b64 exec, exec, s[20:21]
	s_cbranch_execz .LBB158_270
; %bb.269:                              ;   in Loop: Header=BB158_2 Depth=1
	s_waitcnt lgkmcnt(0)
	v_lshlrev_b32_e32 v12, 3, v16
	ds_read_b64 v[14:15], v12 offset:8
	v_mov_b64_e32 v[12:13], v[8:9]
.LBB158_270:                            ;   in Loop: Header=BB158_2 Depth=1
	s_or_b64 exec, exec, s[20:21]
	v_add_u32_e32 v19, 1, v17
	v_add_u32_e32 v18, 1, v16
	v_cndmask_b32_e64 v17, v19, v17, s[18:19]
	v_cndmask_b32_e64 v16, v16, v18, s[18:19]
	v_cmp_ge_i32_e64 s[22:23], v17, v102
	s_waitcnt lgkmcnt(0)
	v_cmp_lt_i64_e64 s[24:25], v[14:15], v[12:13]
	v_cmp_gt_i32_e64 s[20:21], s33, v16
	s_or_b64 s[22:23], s[22:23], s[24:25]
	s_and_b64 s[20:21], s[20:21], s[22:23]
	s_xor_b64 s[22:23], s[20:21], -1
                                        ; implicit-def: $vgpr18_vgpr19
	s_and_saveexec_b64 s[24:25], s[22:23]
	s_xor_b64 s[22:23], exec, s[24:25]
	s_cbranch_execz .LBB158_272
; %bb.271:                              ;   in Loop: Header=BB158_2 Depth=1
	v_lshlrev_b32_e32 v18, 3, v17
	ds_read_b64 v[18:19], v18 offset:8
.LBB158_272:                            ;   in Loop: Header=BB158_2 Depth=1
	s_or_saveexec_b64 s[22:23], s[22:23]
	v_mov_b64_e32 v[22:23], v[14:15]
	s_xor_b64 exec, exec, s[22:23]
	s_cbranch_execz .LBB158_274
; %bb.273:                              ;   in Loop: Header=BB158_2 Depth=1
	s_waitcnt lgkmcnt(0)
	v_lshlrev_b32_e32 v18, 3, v16
	ds_read_b64 v[22:23], v18 offset:8
	v_mov_b64_e32 v[18:19], v[12:13]
.LBB158_274:                            ;   in Loop: Header=BB158_2 Depth=1
	s_or_b64 exec, exec, s[22:23]
	v_add_u32_e32 v21, 1, v17
	v_add_u32_e32 v20, 1, v16
	v_cndmask_b32_e64 v17, v21, v17, s[20:21]
	v_cndmask_b32_e64 v16, v16, v20, s[20:21]
	v_cmp_ge_i32_e64 s[24:25], v17, v102
	s_waitcnt lgkmcnt(0)
	v_cmp_lt_i64_e64 s[26:27], v[22:23], v[18:19]
	v_cmp_gt_i32_e64 s[22:23], s33, v16
	s_or_b64 s[24:25], s[24:25], s[26:27]
	s_and_b64 s[22:23], s[22:23], s[24:25]
	s_xor_b64 s[24:25], s[22:23], -1
                                        ; implicit-def: $vgpr24_vgpr25
	s_and_saveexec_b64 s[26:27], s[24:25]
	s_xor_b64 s[24:25], exec, s[26:27]
	s_cbranch_execz .LBB158_276
; %bb.275:                              ;   in Loop: Header=BB158_2 Depth=1
	v_lshlrev_b32_e32 v20, 3, v17
	ds_read_b64 v[24:25], v20 offset:8
.LBB158_276:                            ;   in Loop: Header=BB158_2 Depth=1
	s_or_saveexec_b64 s[24:25], s[24:25]
	v_mov_b64_e32 v[26:27], v[22:23]
	s_xor_b64 exec, exec, s[24:25]
	s_cbranch_execz .LBB158_278
; %bb.277:                              ;   in Loop: Header=BB158_2 Depth=1
	v_lshlrev_b32_e32 v20, 3, v16
	ds_read_b64 v[26:27], v20 offset:8
	s_waitcnt lgkmcnt(1)
	v_mov_b64_e32 v[24:25], v[18:19]
.LBB158_278:                            ;   in Loop: Header=BB158_2 Depth=1
	s_or_b64 exec, exec, s[24:25]
	v_add_u32_e32 v21, 1, v17
	v_add_u32_e32 v20, 1, v16
	v_cndmask_b32_e64 v17, v21, v17, s[22:23]
	v_cndmask_b32_e64 v16, v16, v20, s[22:23]
	v_cmp_ge_i32_e64 s[26:27], v17, v102
	s_waitcnt lgkmcnt(0)
	v_cmp_lt_i64_e64 s[28:29], v[26:27], v[24:25]
	v_cmp_gt_i32_e64 s[24:25], s33, v16
	s_or_b64 s[26:27], s[26:27], s[28:29]
	s_and_b64 s[24:25], s[24:25], s[26:27]
	s_xor_b64 s[26:27], s[24:25], -1
                                        ; implicit-def: $vgpr28_vgpr29
	s_and_saveexec_b64 s[28:29], s[26:27]
	s_xor_b64 s[26:27], exec, s[28:29]
	s_cbranch_execz .LBB158_280
; %bb.279:                              ;   in Loop: Header=BB158_2 Depth=1
	v_lshlrev_b32_e32 v20, 3, v17
	ds_read_b64 v[28:29], v20 offset:8
.LBB158_280:                            ;   in Loop: Header=BB158_2 Depth=1
	s_or_saveexec_b64 s[26:27], s[26:27]
	v_mov_b64_e32 v[30:31], v[26:27]
	s_xor_b64 exec, exec, s[26:27]
	s_cbranch_execz .LBB158_282
; %bb.281:                              ;   in Loop: Header=BB158_2 Depth=1
	v_lshlrev_b32_e32 v20, 3, v16
	ds_read_b64 v[30:31], v20 offset:8
	s_waitcnt lgkmcnt(1)
	v_mov_b64_e32 v[28:29], v[24:25]
.LBB158_282:                            ;   in Loop: Header=BB158_2 Depth=1
	s_or_b64 exec, exec, s[26:27]
	v_add_u32_e32 v21, 1, v17
	v_add_u32_e32 v20, 1, v16
	v_cndmask_b32_e64 v17, v21, v17, s[24:25]
	v_cndmask_b32_e64 v16, v16, v20, s[24:25]
	v_cmp_ge_i32_e64 s[28:29], v17, v102
	s_waitcnt lgkmcnt(0)
	v_cmp_lt_i64_e64 s[30:31], v[30:31], v[28:29]
	v_cmp_gt_i32_e64 s[26:27], s33, v16
	s_or_b64 s[28:29], s[28:29], s[30:31]
	s_and_b64 s[26:27], s[26:27], s[28:29]
	s_xor_b64 s[28:29], s[26:27], -1
                                        ; implicit-def: $vgpr32_vgpr33
	s_and_saveexec_b64 s[30:31], s[28:29]
	s_xor_b64 s[28:29], exec, s[30:31]
	s_cbranch_execz .LBB158_284
; %bb.283:                              ;   in Loop: Header=BB158_2 Depth=1
	v_lshlrev_b32_e32 v20, 3, v17
	ds_read_b64 v[32:33], v20 offset:8
.LBB158_284:                            ;   in Loop: Header=BB158_2 Depth=1
	s_or_saveexec_b64 s[28:29], s[28:29]
	v_mov_b64_e32 v[34:35], v[30:31]
	s_xor_b64 exec, exec, s[28:29]
	s_cbranch_execz .LBB158_286
; %bb.285:                              ;   in Loop: Header=BB158_2 Depth=1
	v_lshlrev_b32_e32 v20, 3, v16
	ds_read_b64 v[34:35], v20 offset:8
	s_waitcnt lgkmcnt(1)
	v_mov_b64_e32 v[32:33], v[28:29]
.LBB158_286:                            ;   in Loop: Header=BB158_2 Depth=1
	s_or_b64 exec, exec, s[28:29]
	v_add_u32_e32 v20, 1, v16
	v_add_u32_e32 v21, 1, v17
	v_cndmask_b32_e64 v116, v16, v20, s[26:27]
	v_cndmask_b32_e64 v16, v21, v17, s[26:27]
	v_cmp_ge_i32_e64 s[30:31], v16, v102
	s_waitcnt lgkmcnt(0)
	v_cmp_lt_i64_e64 s[34:35], v[34:35], v[32:33]
	v_cmp_gt_i32_e64 s[28:29], s33, v116
	s_or_b64 s[30:31], s[30:31], s[34:35]
	s_and_b64 s[28:29], s[28:29], s[30:31]
	s_xor_b64 s[30:31], s[28:29], -1
                                        ; implicit-def: $vgpr36_vgpr37
                                        ; implicit-def: $vgpr117
	s_and_saveexec_b64 s[34:35], s[30:31]
	s_xor_b64 s[30:31], exec, s[34:35]
	s_cbranch_execz .LBB158_288
; %bb.287:                              ;   in Loop: Header=BB158_2 Depth=1
	v_lshlrev_b32_e32 v17, 3, v16
	ds_read_b64 v[36:37], v17 offset:8
	v_add_u32_e32 v117, 1, v16
                                        ; implicit-def: $vgpr16
.LBB158_288:                            ;   in Loop: Header=BB158_2 Depth=1
	s_or_saveexec_b64 s[30:31], s[30:31]
	v_mov_b64_e32 v[38:39], v[34:35]
	s_xor_b64 exec, exec, s[30:31]
	s_cbranch_execz .LBB158_1
; %bb.289:                              ;   in Loop: Header=BB158_2 Depth=1
	v_lshlrev_b32_e32 v17, 3, v116
	ds_read_b64 v[38:39], v17 offset:8
	v_add_u32_e32 v116, 1, v116
	v_mov_b32_e32 v117, v16
	s_waitcnt lgkmcnt(1)
	v_mov_b64_e32 v[36:37], v[32:33]
	s_branch .LBB158_1
.LBB158_290:
	s_add_u32 s0, s38, s42
	s_addc_u32 s1, s39, s43
	v_lshlrev_b32_e32 v0, 3, v0
	v_mov_b32_e32 v1, 0
	v_lshl_add_u64 v[2:3], s[0:1], 0, v[0:1]
	global_store_dwordx2 v0, v[20:21], s[0:1]
	v_add_co_u32_e32 v0, vcc, 0x1000, v2
	s_nop 1
	v_addc_co_u32_e32 v1, vcc, 0, v3, vcc
	global_store_dwordx2 v[0:1], v[16:17], off
	v_add_co_u32_e32 v0, vcc, 0x2000, v2
	s_nop 1
	v_addc_co_u32_e32 v1, vcc, 0, v3, vcc
	global_store_dwordx2 v[0:1], v[8:9], off
	;; [unrolled: 4-line block ×7, first 2 shown]
	s_endpgm
	.section	.rodata,"a",@progbits
	.p2align	6, 0x0
	.amdhsa_kernel _Z16sort_keys_kernelIxLj512ELj8EN10test_utils4lessELj10EEvPKT_PS2_T2_
		.amdhsa_group_segment_fixed_size 32776
		.amdhsa_private_segment_fixed_size 0
		.amdhsa_kernarg_size 20
		.amdhsa_user_sgpr_count 2
		.amdhsa_user_sgpr_dispatch_ptr 0
		.amdhsa_user_sgpr_queue_ptr 0
		.amdhsa_user_sgpr_kernarg_segment_ptr 1
		.amdhsa_user_sgpr_dispatch_id 0
		.amdhsa_user_sgpr_kernarg_preload_length 0
		.amdhsa_user_sgpr_kernarg_preload_offset 0
		.amdhsa_user_sgpr_private_segment_size 0
		.amdhsa_uses_dynamic_stack 0
		.amdhsa_enable_private_segment 0
		.amdhsa_system_sgpr_workgroup_id_x 1
		.amdhsa_system_sgpr_workgroup_id_y 0
		.amdhsa_system_sgpr_workgroup_id_z 0
		.amdhsa_system_sgpr_workgroup_info 0
		.amdhsa_system_vgpr_workitem_id 0
		.amdhsa_next_free_vgpr 118
		.amdhsa_next_free_sgpr 44
		.amdhsa_accum_offset 120
		.amdhsa_reserve_vcc 1
		.amdhsa_float_round_mode_32 0
		.amdhsa_float_round_mode_16_64 0
		.amdhsa_float_denorm_mode_32 3
		.amdhsa_float_denorm_mode_16_64 3
		.amdhsa_dx10_clamp 1
		.amdhsa_ieee_mode 1
		.amdhsa_fp16_overflow 0
		.amdhsa_tg_split 0
		.amdhsa_exception_fp_ieee_invalid_op 0
		.amdhsa_exception_fp_denorm_src 0
		.amdhsa_exception_fp_ieee_div_zero 0
		.amdhsa_exception_fp_ieee_overflow 0
		.amdhsa_exception_fp_ieee_underflow 0
		.amdhsa_exception_fp_ieee_inexact 0
		.amdhsa_exception_int_div_zero 0
	.end_amdhsa_kernel
	.section	.text._Z16sort_keys_kernelIxLj512ELj8EN10test_utils4lessELj10EEvPKT_PS2_T2_,"axG",@progbits,_Z16sort_keys_kernelIxLj512ELj8EN10test_utils4lessELj10EEvPKT_PS2_T2_,comdat
.Lfunc_end158:
	.size	_Z16sort_keys_kernelIxLj512ELj8EN10test_utils4lessELj10EEvPKT_PS2_T2_, .Lfunc_end158-_Z16sort_keys_kernelIxLj512ELj8EN10test_utils4lessELj10EEvPKT_PS2_T2_
                                        ; -- End function
	.section	.AMDGPU.csdata,"",@progbits
; Kernel info:
; codeLenInByte = 14648
; NumSgprs: 50
; NumVgprs: 118
; NumAgprs: 0
; TotalNumVgprs: 118
; ScratchSize: 0
; MemoryBound: 0
; FloatMode: 240
; IeeeMode: 1
; LDSByteSize: 32776 bytes/workgroup (compile time only)
; SGPRBlocks: 6
; VGPRBlocks: 14
; NumSGPRsForWavesPerEU: 50
; NumVGPRsForWavesPerEU: 118
; AccumOffset: 120
; Occupancy: 2
; WaveLimiterHint : 1
; COMPUTE_PGM_RSRC2:SCRATCH_EN: 0
; COMPUTE_PGM_RSRC2:USER_SGPR: 2
; COMPUTE_PGM_RSRC2:TRAP_HANDLER: 0
; COMPUTE_PGM_RSRC2:TGID_X_EN: 1
; COMPUTE_PGM_RSRC2:TGID_Y_EN: 0
; COMPUTE_PGM_RSRC2:TGID_Z_EN: 0
; COMPUTE_PGM_RSRC2:TIDIG_COMP_CNT: 0
; COMPUTE_PGM_RSRC3_GFX90A:ACCUM_OFFSET: 29
; COMPUTE_PGM_RSRC3_GFX90A:TG_SPLIT: 0
	.section	.text._Z17sort_pairs_kernelIxLj512ELj8EN10test_utils4lessELj10EEvPKT_PS2_T2_,"axG",@progbits,_Z17sort_pairs_kernelIxLj512ELj8EN10test_utils4lessELj10EEvPKT_PS2_T2_,comdat
	.protected	_Z17sort_pairs_kernelIxLj512ELj8EN10test_utils4lessELj10EEvPKT_PS2_T2_ ; -- Begin function _Z17sort_pairs_kernelIxLj512ELj8EN10test_utils4lessELj10EEvPKT_PS2_T2_
	.globl	_Z17sort_pairs_kernelIxLj512ELj8EN10test_utils4lessELj10EEvPKT_PS2_T2_
	.p2align	8
	.type	_Z17sort_pairs_kernelIxLj512ELj8EN10test_utils4lessELj10EEvPKT_PS2_T2_,@function
_Z17sort_pairs_kernelIxLj512ELj8EN10test_utils4lessELj10EEvPKT_PS2_T2_: ; @_Z17sort_pairs_kernelIxLj512ELj8EN10test_utils4lessELj10EEvPKT_PS2_T2_
; %bb.0:
	s_load_dwordx4 s[92:95], s[0:1], 0x0
	s_lshl_b32 s98, s2, 12
	s_mov_b32 s99, 0
	s_lshl_b64 s[96:97], s[98:99], 3
	v_mov_b32_e32 v3, 0
	s_waitcnt lgkmcnt(0)
	s_add_u32 s0, s92, s96
	s_addc_u32 s1, s93, s97
	v_lshlrev_b32_e32 v2, 3, v0
	v_lshl_add_u64 v[4:5], s[0:1], 0, v[2:3]
	s_movk_i32 s2, 0x2000
	v_add_co_u32_e32 v6, vcc, s2, v4
	v_and_b32_e32 v78, 0xf80, v2
	s_nop 0
	v_addc_co_u32_e32 v7, vcc, 0, v5, vcc
	global_load_dwordx2 v[20:21], v2, s[0:1]
	global_load_dwordx2 v[24:25], v[6:7], off offset:-4096
	global_load_dwordx2 v[22:23], v[6:7], off
	s_movk_i32 s0, 0x4000
	v_add_co_u32_e32 v6, vcc, s0, v4
	s_movk_i32 s0, 0x6000
	s_nop 0
	v_addc_co_u32_e32 v7, vcc, 0, v5, vcc
	v_add_co_u32_e32 v8, vcc, s0, v4
	s_movk_i32 s0, 0x7000
	s_nop 0
	v_addc_co_u32_e32 v9, vcc, 0, v5, vcc
	v_add_co_u32_e32 v4, vcc, s0, v4
	global_load_dwordx2 v[30:31], v[6:7], off offset:-4096
	global_load_dwordx2 v[26:27], v[6:7], off
	global_load_dwordx2 v[32:33], v[8:9], off offset:-4096
	global_load_dwordx2 v[28:29], v[8:9], off
	v_addc_co_u32_e32 v5, vcc, 0, v5, vcc
	global_load_dwordx2 v[34:35], v[4:5], off
	v_or_b32_e32 v80, 64, v78
	v_add_u32_e32 v81, 0x80, v78
	v_and_b32_e32 v87, 0xf00, v2
	v_and_b32_e32 v3, 0xff0, v2
	;; [unrolled: 1-line block ×3, first 2 shown]
	v_sub_u32_e32 v37, v81, v80
	v_or_b32_e32 v89, 0x80, v87
	v_add_u32_e32 v90, 0x100, v87
	v_and_b32_e32 v96, 0xe00, v2
	v_and_b32_e32 v53, 0xfe0, v2
	v_or_b32_e32 v57, 8, v3
	v_add_u32_e32 v58, 16, v3
	v_sub_u32_e32 v36, v80, v78
	v_sub_u32_e32 v38, v79, v37
	v_cmp_ge_i32_e64 s[4:5], v79, v37
	v_and_b32_e32 v88, 0xf8, v2
	v_sub_u32_e32 v37, v90, v89
	v_or_b32_e32 v98, 0x100, v96
	v_add_u32_e32 v99, 0x200, v96
	v_and_b32_e32 v105, 0xc00, v2
	v_and_b32_e32 v52, 8, v2
	;; [unrolled: 1-line block ×3, first 2 shown]
	v_or_b32_e32 v60, 16, v53
	v_add_u32_e32 v61, 32, v53
	v_sub_u32_e32 v5, v58, v57
	v_cndmask_b32_e64 v84, 0, v38, s[4:5]
	v_min_i32_e32 v85, v79, v36
	v_sub_u32_e32 v36, v89, v87
	v_sub_u32_e32 v38, v88, v37
	v_cmp_ge_i32_e64 s[6:7], v88, v37
	v_and_b32_e32 v97, 0x1f8, v2
	v_sub_u32_e32 v37, v99, v98
	v_or_b32_e32 v107, 0x200, v105
	v_add_u32_e32 v108, 0x400, v105
	v_and_b32_e32 v115, 0x800, v2
	v_and_b32_e32 v54, 24, v2
	v_or_b32_e32 v63, 32, v55
	v_add_u32_e32 v64, 64, v55
	v_sub_u32_e32 v4, v57, v3
	v_sub_u32_e32 v7, v61, v60
	;; [unrolled: 1-line block ×3, first 2 shown]
	v_cmp_ge_i32_e32 vcc, v52, v5
	v_cndmask_b32_e64 v93, 0, v38, s[6:7]
	v_min_i32_e32 v94, v88, v36
	v_sub_u32_e32 v36, v98, v96
	v_sub_u32_e32 v38, v97, v37
	v_cmp_ge_i32_e64 s[8:9], v97, v37
	v_and_b32_e32 v106, 0x3f8, v2
	v_sub_u32_e32 v37, v108, v107
	v_or_b32_e32 v117, 0x400, v115
	v_add_u32_e32 v118, 0x800, v115
	v_and_b32_e32 v56, 56, v2
	v_sub_u32_e32 v6, v60, v53
	v_sub_u32_e32 v9, v64, v63
	v_min_i32_e32 v71, v52, v4
	v_sub_u32_e32 v4, v54, v7
	v_cndmask_b32_e32 v74, 0, v10, vcc
	v_cmp_ge_i32_e32 vcc, v54, v7
	v_cndmask_b32_e64 v102, 0, v38, s[8:9]
	v_min_i32_e32 v103, v97, v36
	v_sub_u32_e32 v36, v107, v105
	v_sub_u32_e32 v38, v106, v37
	v_cmp_ge_i32_e64 s[10:11], v106, v37
	v_and_b32_e32 v116, 0x7f8, v2
	v_sub_u32_e32 v37, v118, v117
	v_sub_u32_e32 v8, v63, v55
	v_min_i32_e32 v72, v54, v6
	v_sub_u32_e32 v6, v56, v9
	v_cndmask_b32_e32 v75, 0, v4, vcc
	v_cmp_ge_i32_e32 vcc, v56, v9
	v_cndmask_b32_e64 v111, 0, v38, s[10:11]
	v_min_i32_e32 v112, v106, v36
	v_mov_b32_e32 v114, 0x800
	v_sub_u32_e32 v36, v117, v115
	v_sub_u32_e32 v38, v116, v37
	v_cmp_ge_i32_e64 s[12:13], v116, v37
	v_min_i32_e32 v73, v56, v8
	v_cndmask_b32_e32 v76, 0, v6, vcc
	v_cndmask_b32_e64 v121, 0, v38, s[12:13]
	v_min_i32_e32 v122, v116, v36
	v_sub_u32_e64 v125, v2, v114 clamp
	v_min_i32_e32 v126, 0x800, v2
	s_movk_i32 s33, 0x1000
	v_lshlrev_b32_e32 v1, 6, v0
	v_lshlrev_b32_e32 v59, 3, v3
	;; [unrolled: 1-line block ×5, first 2 shown]
	v_add_u32_e32 v67, v57, v52
	v_lshlrev_b32_e32 v68, 3, v60
	v_add_u32_e32 v69, v60, v54
	v_lshlrev_b32_e32 v70, 3, v63
	v_cmp_lt_i32_e32 vcc, v74, v71
	v_cmp_lt_i32_e64 s[0:1], v75, v72
	v_cmp_lt_i32_e64 s[2:3], v76, v73
	s_waitcnt vmcnt(7)
	v_lshl_add_u64 v[8:9], v[20:21], 0, 1
	s_waitcnt vmcnt(6)
	v_lshl_add_u64 v[10:11], v[24:25], 0, 1
	;; [unrolled: 2-line block ×8, first 2 shown]
	v_add_u32_e32 v77, v63, v56
	v_lshlrev_b32_e32 v82, 3, v78
	v_lshlrev_b32_e32 v83, 3, v80
	v_cmp_lt_i32_e64 s[4:5], v84, v85
	v_add_u32_e32 v86, v80, v79
	v_lshlrev_b32_e32 v91, 3, v87
	v_lshlrev_b32_e32 v92, 3, v89
	v_cmp_lt_i32_e64 s[6:7], v93, v94
	;; [unrolled: 4-line block ×5, first 2 shown]
	v_add_u32_e32 v123, v117, v116
	v_mov_b32_e32 v124, 0x4000
	v_cmp_lt_i32_e64 s[14:15], v125, v126
	v_add_u32_e32 v127, 0x800, v2
	s_branch .LBB159_2
.LBB159_1:                              ;   in Loop: Header=BB159_2 Depth=1
	s_or_b64 exec, exec, s[30:31]
	v_cndmask_b32_e64 v21, v21, v23, s[16:17]
	v_cndmask_b32_e64 v20, v20, v22, s[16:17]
	;; [unrolled: 1-line block ×10, first 2 shown]
	v_cmp_ge_i32_e64 s[18:19], v142, v114
	s_waitcnt lgkmcnt(0)
	v_cmp_lt_i64_e64 s[20:21], v[50:51], v[44:45]
	v_cndmask_b32_e64 v29, v37, v41, s[26:27]
	v_cndmask_b32_e64 v41, v128, v129, s[16:17]
	v_cmp_gt_i32_e64 s[16:17], s33, v141
	s_or_b64 s[18:19], s[18:19], s[20:21]
	s_and_b64 s[16:17], s[16:17], s[18:19]
	v_cndmask_b32_e64 v30, v32, v34, s[22:23]
	v_cndmask_b32_e64 v28, v139, v138, s[28:29]
	v_cndmask_b32_e64 v34, v137, v136, s[24:25]
	v_cndmask_b32_e64 v37, v135, v134, s[22:23]
	v_cndmask_b32_e64 v42, v142, v141, s[16:17]
	s_barrier
	ds_write2_b64 v1, v[16:17], v[18:19] offset1:1
	ds_write2_b64 v1, v[10:11], v[14:15] offset0:2 offset1:3
	ds_write2_b64 v1, v[8:9], v[12:13] offset0:4 offset1:5
	;; [unrolled: 1-line block ×3, first 2 shown]
	v_lshlrev_b32_e32 v4, 3, v41
	v_lshlrev_b32_e32 v5, 3, v39
	;; [unrolled: 1-line block ×8, first 2 shown]
	s_waitcnt lgkmcnt(0)
	s_barrier
	ds_read_b64 v[8:9], v4
	ds_read_b64 v[10:11], v5
	;; [unrolled: 1-line block ×8, first 2 shown]
	s_add_i32 s99, s99, 1
	v_cndmask_b32_e64 v31, v33, v35, s[22:23]
	v_cndmask_b32_e64 v33, v47, v49, s[28:29]
	v_cndmask_b32_e64 v32, v46, v48, s[28:29]
	v_cndmask_b32_e64 v35, v45, v51, s[16:17]
	v_cndmask_b32_e64 v28, v36, v40, s[26:27]
	s_cmp_eq_u32 s99, 10
	v_cndmask_b32_e64 v34, v44, v50, s[16:17]
	s_cbranch_scc1 .LBB159_290
.LBB159_2:                              ; =>This Loop Header: Depth=1
                                        ;     Child Loop BB159_4 Depth 2
                                        ;     Child Loop BB159_36 Depth 2
	;; [unrolled: 1-line block ×9, first 2 shown]
	v_cmp_lt_i64_e64 s[16:17], v[24:25], v[20:21]
	v_cmp_lt_i64_e64 s[18:19], v[30:31], v[22:23]
	v_cmp_lt_i64_e64 s[20:21], v[32:33], v[26:27]
	v_cmp_lt_i64_e64 s[22:23], v[34:35], v[28:29]
	v_cndmask_b32_e64 v37, v21, v25, s[16:17]
	v_cndmask_b32_e64 v36, v20, v24, s[16:17]
	;; [unrolled: 1-line block ×16, first 2 shown]
	v_cmp_lt_i64_e64 s[24:25], v[22:23], v[20:21]
	v_cmp_lt_i64_e64 s[26:27], v[26:27], v[24:25]
	;; [unrolled: 1-line block ×3, first 2 shown]
	v_cndmask_b32_e64 v35, v23, v21, s[24:25]
	v_cndmask_b32_e64 v34, v22, v20, s[24:25]
	;; [unrolled: 1-line block ×12, first 2 shown]
	v_cmp_lt_i64_e64 s[30:31], v[20:21], v[36:37]
	v_cmp_lt_i64_e64 s[34:35], v[24:25], v[34:35]
	;; [unrolled: 1-line block ×4, first 2 shown]
	v_cndmask_b32_e64 v31, v37, v21, s[30:31]
	v_cndmask_b32_e64 v30, v36, v20, s[30:31]
	;; [unrolled: 1-line block ×16, first 2 shown]
	v_cmp_lt_i64_e64 s[40:41], v[24:25], v[20:21]
	v_cmp_lt_i64_e64 s[42:43], v[22:23], v[36:37]
	v_cmp_lt_i64_e64 s[44:45], v[26:27], v[34:35]
	v_cndmask_b32_e64 v33, v25, v21, s[40:41]
	v_cndmask_b32_e64 v32, v24, v20, s[40:41]
	v_cndmask_b32_e64 v21, v21, v25, s[40:41]
	v_cndmask_b32_e64 v20, v20, v24, s[40:41]
	v_cndmask_b32_e64 v25, v23, v37, s[42:43]
	v_cndmask_b32_e64 v24, v22, v36, s[42:43]
	v_cndmask_b32_e64 v23, v37, v23, s[42:43]
	v_cndmask_b32_e64 v22, v36, v22, s[42:43]
	v_cndmask_b32_e64 v37, v27, v35, s[44:45]
	v_cndmask_b32_e64 v36, v26, v34, s[44:45]
	v_cndmask_b32_e64 v27, v35, v27, s[44:45]
	v_cndmask_b32_e64 v26, v34, v26, s[44:45]
	v_cmp_lt_i64_e64 s[46:47], v[20:21], v[30:31]
	v_cmp_lt_i64_e64 s[48:49], v[22:23], v[32:33]
	v_cmp_lt_i64_e64 s[50:51], v[26:27], v[24:25]
	v_cndmask_b32_e64 v35, v31, v21, s[46:47]
	v_cndmask_b32_e64 v34, v30, v20, s[46:47]
	v_cndmask_b32_e64 v21, v21, v31, s[46:47]
	v_cndmask_b32_e64 v20, v20, v30, s[46:47]
	v_cndmask_b32_e64 v31, v23, v33, s[48:49]
	v_cndmask_b32_e64 v30, v22, v32, s[48:49]
	v_cndmask_b32_e64 v23, v33, v23, s[48:49]
	v_cndmask_b32_e64 v22, v32, v22, s[48:49]
	v_cndmask_b32_e64 v33, v27, v25, s[50:51]
	v_cndmask_b32_e64 v32, v26, v24, s[50:51]
	v_cndmask_b32_e64 v25, v25, v27, s[50:51]
	v_cndmask_b32_e64 v24, v24, v26, s[50:51]
	;; [unrolled: 15-line block ×5, first 2 shown]
	v_cmp_lt_i64_e64 s[70:71], v[22:23], v[34:35]
	v_cmp_lt_i64_e64 s[72:73], v[28:29], v[36:37]
	s_nop 0
	v_cndmask_b32_e64 v33, v23, v35, s[70:71]
	v_cndmask_b32_e64 v32, v22, v34, s[70:71]
	v_cndmask_b32_e64 v23, v35, v23, s[70:71]
	v_cndmask_b32_e64 v22, v34, v22, s[70:71]
	v_cndmask_b32_e64 v35, v29, v37, s[72:73]
	v_cndmask_b32_e64 v34, v28, v36, s[72:73]
	v_cndmask_b32_e64 v29, v37, v29, s[72:73]
	v_cndmask_b32_e64 v28, v36, v28, s[72:73]
	s_barrier
	ds_write2_b64 v1, v[20:21], v[24:25] offset1:1
	ds_write2_b64 v1, v[30:31], v[22:23] offset0:2 offset1:3
	ds_write2_b64 v1, v[32:33], v[28:29] offset0:4 offset1:5
	;; [unrolled: 1-line block ×3, first 2 shown]
	v_mov_b32_e32 v24, v74
	s_waitcnt lgkmcnt(0)
	s_barrier
	s_and_saveexec_b64 s[76:77], vcc
	s_cbranch_execz .LBB159_6
; %bb.3:                                ;   in Loop: Header=BB159_2 Depth=1
	s_mov_b64 s[78:79], 0
	v_mov_b32_e32 v24, v74
	v_mov_b32_e32 v20, v71
.LBB159_4:                              ;   Parent Loop BB159_2 Depth=1
                                        ; =>  This Inner Loop Header: Depth=2
	v_sub_u32_e32 v21, v20, v24
	v_lshrrev_b32_e32 v22, 31, v21
	v_add_u32_e32 v21, v21, v22
	v_ashrrev_i32_e32 v21, 1, v21
	v_add_u32_e32 v21, v21, v24
	v_lshl_add_u32 v22, v21, 3, v59
	v_xad_u32 v23, v21, -1, v52
	v_lshl_add_u32 v25, v23, 3, v66
	ds_read_b64 v[22:23], v22
	ds_read_b64 v[26:27], v25
	v_add_u32_e32 v25, 1, v21
	s_waitcnt lgkmcnt(0)
	v_cmp_lt_i64_e64 s[74:75], v[26:27], v[22:23]
	s_nop 1
	v_cndmask_b32_e64 v20, v20, v21, s[74:75]
	v_cndmask_b32_e64 v24, v25, v24, s[74:75]
	v_cmp_ge_i32_e64 s[74:75], v24, v20
	s_or_b64 s[78:79], s[74:75], s[78:79]
	s_andn2_b64 exec, exec, s[78:79]
	s_cbranch_execnz .LBB159_4
; %bb.5:                                ;   in Loop: Header=BB159_2 Depth=1
	s_or_b64 exec, exec, s[78:79]
.LBB159_6:                              ;   in Loop: Header=BB159_2 Depth=1
	s_or_b64 exec, exec, s[76:77]
	v_sub_u32_e32 v128, v67, v24
	v_lshl_add_u32 v26, v24, 3, v59
	v_lshlrev_b32_e32 v28, 3, v128
	ds_read_b64 v[20:21], v26
	ds_read_b64 v[22:23], v28
	v_add_u32_e32 v129, v24, v3
	v_cmp_le_i32_e64 s[76:77], v57, v129
	v_cmp_gt_i32_e64 s[74:75], v58, v128
                                        ; implicit-def: $vgpr24_vgpr25
	s_waitcnt lgkmcnt(0)
	v_cmp_lt_i64_e64 s[78:79], v[22:23], v[20:21]
	s_or_b64 s[76:77], s[76:77], s[78:79]
	s_and_b64 s[74:75], s[74:75], s[76:77]
	s_xor_b64 s[76:77], s[74:75], -1
	s_and_saveexec_b64 s[78:79], s[76:77]
	s_xor_b64 s[76:77], exec, s[78:79]
	s_cbranch_execz .LBB159_8
; %bb.7:                                ;   in Loop: Header=BB159_2 Depth=1
	ds_read_b64 v[24:25], v26 offset:8
                                        ; implicit-def: $vgpr28
.LBB159_8:                              ;   in Loop: Header=BB159_2 Depth=1
	s_or_saveexec_b64 s[76:77], s[76:77]
	v_mov_b64_e32 v[26:27], v[22:23]
	s_xor_b64 exec, exec, s[76:77]
	s_cbranch_execz .LBB159_10
; %bb.9:                                ;   in Loop: Header=BB159_2 Depth=1
	ds_read_b64 v[26:27], v28 offset:8
	s_waitcnt lgkmcnt(1)
	v_mov_b64_e32 v[24:25], v[20:21]
.LBB159_10:                             ;   in Loop: Header=BB159_2 Depth=1
	s_or_b64 exec, exec, s[76:77]
	v_add_u32_e32 v29, 1, v129
	v_add_u32_e32 v28, 1, v128
	v_cndmask_b32_e64 v131, v29, v129, s[74:75]
	v_cndmask_b32_e64 v130, v128, v28, s[74:75]
	v_cmp_ge_i32_e64 s[78:79], v131, v57
	s_waitcnt lgkmcnt(0)
	v_cmp_lt_i64_e64 s[80:81], v[26:27], v[24:25]
	v_cmp_lt_i32_e64 s[76:77], v130, v58
	s_or_b64 s[78:79], s[78:79], s[80:81]
	s_and_b64 s[76:77], s[76:77], s[78:79]
	s_xor_b64 s[78:79], s[76:77], -1
                                        ; implicit-def: $vgpr28_vgpr29
	s_and_saveexec_b64 s[80:81], s[78:79]
	s_xor_b64 s[78:79], exec, s[80:81]
	s_cbranch_execz .LBB159_12
; %bb.11:                               ;   in Loop: Header=BB159_2 Depth=1
	v_lshlrev_b32_e32 v28, 3, v131
	ds_read_b64 v[28:29], v28 offset:8
.LBB159_12:                             ;   in Loop: Header=BB159_2 Depth=1
	s_or_saveexec_b64 s[78:79], s[78:79]
	v_mov_b64_e32 v[30:31], v[26:27]
	s_xor_b64 exec, exec, s[78:79]
	s_cbranch_execz .LBB159_14
; %bb.13:                               ;   in Loop: Header=BB159_2 Depth=1
	s_waitcnt lgkmcnt(0)
	v_lshlrev_b32_e32 v28, 3, v130
	ds_read_b64 v[30:31], v28 offset:8
	v_mov_b64_e32 v[28:29], v[24:25]
.LBB159_14:                             ;   in Loop: Header=BB159_2 Depth=1
	s_or_b64 exec, exec, s[78:79]
	v_add_u32_e32 v33, 1, v131
	v_add_u32_e32 v32, 1, v130
	v_cndmask_b32_e64 v133, v33, v131, s[76:77]
	v_cndmask_b32_e64 v132, v130, v32, s[76:77]
	v_cmp_ge_i32_e64 s[80:81], v133, v57
	s_waitcnt lgkmcnt(0)
	v_cmp_lt_i64_e64 s[82:83], v[30:31], v[28:29]
	v_cmp_lt_i32_e64 s[78:79], v132, v58
	s_or_b64 s[80:81], s[80:81], s[82:83]
	s_and_b64 s[78:79], s[78:79], s[80:81]
	s_xor_b64 s[80:81], s[78:79], -1
                                        ; implicit-def: $vgpr32_vgpr33
	s_and_saveexec_b64 s[82:83], s[80:81]
	s_xor_b64 s[80:81], exec, s[82:83]
	s_cbranch_execz .LBB159_16
; %bb.15:                               ;   in Loop: Header=BB159_2 Depth=1
	v_lshlrev_b32_e32 v32, 3, v133
	ds_read_b64 v[32:33], v32 offset:8
.LBB159_16:                             ;   in Loop: Header=BB159_2 Depth=1
	s_or_saveexec_b64 s[80:81], s[80:81]
	v_mov_b64_e32 v[34:35], v[30:31]
	s_xor_b64 exec, exec, s[80:81]
	s_cbranch_execz .LBB159_18
; %bb.17:                               ;   in Loop: Header=BB159_2 Depth=1
	s_waitcnt lgkmcnt(0)
	v_lshlrev_b32_e32 v32, 3, v132
	ds_read_b64 v[34:35], v32 offset:8
	v_mov_b64_e32 v[32:33], v[28:29]
.LBB159_18:                             ;   in Loop: Header=BB159_2 Depth=1
	s_or_b64 exec, exec, s[80:81]
	v_add_u32_e32 v37, 1, v133
	v_add_u32_e32 v36, 1, v132
	v_cndmask_b32_e64 v135, v37, v133, s[78:79]
	v_cndmask_b32_e64 v134, v132, v36, s[78:79]
	v_cmp_ge_i32_e64 s[82:83], v135, v57
	s_waitcnt lgkmcnt(0)
	v_cmp_lt_i64_e64 s[84:85], v[34:35], v[32:33]
	v_cmp_lt_i32_e64 s[80:81], v134, v58
	s_or_b64 s[82:83], s[82:83], s[84:85]
	s_and_b64 s[80:81], s[80:81], s[82:83]
	s_xor_b64 s[82:83], s[80:81], -1
                                        ; implicit-def: $vgpr38_vgpr39
	s_and_saveexec_b64 s[84:85], s[82:83]
	s_xor_b64 s[82:83], exec, s[84:85]
	s_cbranch_execz .LBB159_20
; %bb.19:                               ;   in Loop: Header=BB159_2 Depth=1
	v_lshlrev_b32_e32 v36, 3, v135
	ds_read_b64 v[38:39], v36 offset:8
.LBB159_20:                             ;   in Loop: Header=BB159_2 Depth=1
	s_or_saveexec_b64 s[82:83], s[82:83]
	v_mov_b64_e32 v[42:43], v[34:35]
	s_xor_b64 exec, exec, s[82:83]
	s_cbranch_execz .LBB159_22
; %bb.21:                               ;   in Loop: Header=BB159_2 Depth=1
	v_lshlrev_b32_e32 v36, 3, v134
	ds_read_b64 v[42:43], v36 offset:8
	s_waitcnt lgkmcnt(1)
	v_mov_b64_e32 v[38:39], v[32:33]
.LBB159_22:                             ;   in Loop: Header=BB159_2 Depth=1
	s_or_b64 exec, exec, s[82:83]
	v_add_u32_e32 v37, 1, v135
	v_add_u32_e32 v36, 1, v134
	v_cndmask_b32_e64 v137, v37, v135, s[80:81]
	v_cndmask_b32_e64 v136, v134, v36, s[80:81]
	v_cmp_ge_i32_e64 s[84:85], v137, v57
	s_waitcnt lgkmcnt(0)
	v_cmp_lt_i64_e64 s[86:87], v[42:43], v[38:39]
	v_cmp_lt_i32_e64 s[82:83], v136, v58
	s_or_b64 s[84:85], s[84:85], s[86:87]
	s_and_b64 s[82:83], s[82:83], s[84:85]
	s_xor_b64 s[84:85], s[82:83], -1
                                        ; implicit-def: $vgpr44_vgpr45
	s_and_saveexec_b64 s[86:87], s[84:85]
	s_xor_b64 s[84:85], exec, s[86:87]
	s_cbranch_execz .LBB159_24
; %bb.23:                               ;   in Loop: Header=BB159_2 Depth=1
	v_lshlrev_b32_e32 v36, 3, v137
	ds_read_b64 v[44:45], v36 offset:8
.LBB159_24:                             ;   in Loop: Header=BB159_2 Depth=1
	s_or_saveexec_b64 s[84:85], s[84:85]
	v_mov_b64_e32 v[46:47], v[42:43]
	s_xor_b64 exec, exec, s[84:85]
	s_cbranch_execz .LBB159_26
; %bb.25:                               ;   in Loop: Header=BB159_2 Depth=1
	v_lshlrev_b32_e32 v36, 3, v136
	ds_read_b64 v[46:47], v36 offset:8
	s_waitcnt lgkmcnt(1)
	v_mov_b64_e32 v[44:45], v[38:39]
.LBB159_26:                             ;   in Loop: Header=BB159_2 Depth=1
	s_or_b64 exec, exec, s[84:85]
	v_add_u32_e32 v37, 1, v137
	v_add_u32_e32 v36, 1, v136
	v_cndmask_b32_e64 v139, v37, v137, s[82:83]
	v_cndmask_b32_e64 v138, v136, v36, s[82:83]
	v_cmp_ge_i32_e64 s[86:87], v139, v57
	s_waitcnt lgkmcnt(0)
	v_cmp_lt_i64_e64 s[88:89], v[46:47], v[44:45]
	v_cmp_lt_i32_e64 s[84:85], v138, v58
	s_or_b64 s[86:87], s[86:87], s[88:89]
	s_and_b64 s[84:85], s[84:85], s[86:87]
	s_xor_b64 s[86:87], s[84:85], -1
                                        ; implicit-def: $vgpr48_vgpr49
	s_and_saveexec_b64 s[88:89], s[86:87]
	s_xor_b64 s[86:87], exec, s[88:89]
	s_cbranch_execz .LBB159_28
; %bb.27:                               ;   in Loop: Header=BB159_2 Depth=1
	v_lshlrev_b32_e32 v36, 3, v139
	ds_read_b64 v[48:49], v36 offset:8
.LBB159_28:                             ;   in Loop: Header=BB159_2 Depth=1
	s_or_saveexec_b64 s[86:87], s[86:87]
	v_mov_b64_e32 v[50:51], v[46:47]
	s_xor_b64 exec, exec, s[86:87]
	s_cbranch_execz .LBB159_30
; %bb.29:                               ;   in Loop: Header=BB159_2 Depth=1
	v_lshlrev_b32_e32 v36, 3, v138
	ds_read_b64 v[50:51], v36 offset:8
	s_waitcnt lgkmcnt(1)
	v_mov_b64_e32 v[48:49], v[44:45]
.LBB159_30:                             ;   in Loop: Header=BB159_2 Depth=1
	s_or_b64 exec, exec, s[86:87]
	v_add_u32_e32 v37, 1, v139
	v_add_u32_e32 v36, 1, v138
	v_cndmask_b32_e64 v141, v37, v139, s[84:85]
	v_cndmask_b32_e64 v140, v138, v36, s[84:85]
	v_cmp_ge_i32_e64 s[88:89], v141, v57
	s_waitcnt lgkmcnt(0)
	v_cmp_lt_i64_e64 s[90:91], v[50:51], v[48:49]
	v_cmp_lt_i32_e64 s[86:87], v140, v58
	s_or_b64 s[88:89], s[88:89], s[90:91]
	s_and_b64 s[86:87], s[86:87], s[88:89]
	s_xor_b64 s[88:89], s[86:87], -1
                                        ; implicit-def: $vgpr36_vgpr37
	s_and_saveexec_b64 s[90:91], s[88:89]
	s_xor_b64 s[88:89], exec, s[90:91]
	s_cbranch_execz .LBB159_32
; %bb.31:                               ;   in Loop: Header=BB159_2 Depth=1
	v_lshlrev_b32_e32 v36, 3, v141
	ds_read_b64 v[36:37], v36 offset:8
.LBB159_32:                             ;   in Loop: Header=BB159_2 Depth=1
	s_or_saveexec_b64 s[88:89], s[88:89]
	v_mov_b64_e32 v[40:41], v[50:51]
	s_xor_b64 exec, exec, s[88:89]
	s_cbranch_execz .LBB159_34
; %bb.33:                               ;   in Loop: Header=BB159_2 Depth=1
	s_waitcnt lgkmcnt(0)
	v_lshlrev_b32_e32 v36, 3, v140
	ds_read_b64 v[40:41], v36 offset:8
	v_mov_b64_e32 v[36:37], v[48:49]
.LBB159_34:                             ;   in Loop: Header=BB159_2 Depth=1
	s_or_b64 exec, exec, s[88:89]
	v_cndmask_b32_e64 v21, v21, v23, s[74:75]
	v_cndmask_b32_e64 v20, v20, v22, s[74:75]
	;; [unrolled: 1-line block ×47, first 2 shown]
	v_add_u32_e32 v51, 1, v141
	v_cndmask_b32_e64 v18, v11, v5, s[40:41]
	v_cndmask_b32_e64 v19, v10, v4, s[40:41]
	;; [unrolled: 1-line block ×13, first 2 shown]
	v_add_u32_e32 v50, 1, v140
	v_cndmask_b32_e64 v51, v51, v141, s[86:87]
	v_cndmask_b32_e64 v16, v13, v4, s[46:47]
	;; [unrolled: 1-line block ×28, first 2 shown]
	v_cmp_ge_i32_e64 s[18:19], v51, v57
	s_waitcnt lgkmcnt(0)
	v_cmp_lt_i64_e64 s[20:21], v[40:41], v[36:37]
	v_cndmask_b32_e64 v12, v9, v19, s[58:59]
	v_cndmask_b32_e64 v13, v8, v18, s[58:59]
	;; [unrolled: 1-line block ×12, first 2 shown]
	v_cmp_lt_i32_e64 s[16:17], v50, v58
	s_or_b64 s[18:19], s[18:19], s[20:21]
	v_cndmask_b32_e64 v45, v45, v47, s[84:85]
	v_cndmask_b32_e64 v39, v39, v43, s[82:83]
	;; [unrolled: 1-line block ×22, first 2 shown]
	s_and_b64 s[16:17], s[16:17], s[18:19]
	v_cndmask_b32_e64 v140, v141, v140, s[86:87]
	v_cndmask_b32_e64 v44, v44, v46, s[84:85]
	;; [unrolled: 1-line block ×14, first 2 shown]
	s_barrier
	ds_write2_b64 v1, v[4:5], v[10:11] offset1:1
	ds_write2_b64 v1, v[8:9], v[14:15] offset0:2 offset1:3
	ds_write2_b64 v1, v[12:13], v[18:19] offset0:4 offset1:5
	;; [unrolled: 1-line block ×3, first 2 shown]
	v_lshlrev_b32_e32 v4, 3, v27
	v_lshlrev_b32_e32 v5, 3, v26
	;; [unrolled: 1-line block ×4, first 2 shown]
	s_waitcnt lgkmcnt(0)
	s_barrier
	ds_read_b64 v[16:17], v4
	ds_read_b64 v[18:19], v5
	;; [unrolled: 1-line block ×4, first 2 shown]
	v_lshlrev_b32_e32 v4, 3, v42
	v_lshlrev_b32_e32 v5, 3, v46
	;; [unrolled: 1-line block ×4, first 2 shown]
	ds_read_b64 v[8:9], v4
	ds_read_b64 v[12:13], v5
	;; [unrolled: 1-line block ×4, first 2 shown]
	v_cndmask_b32_e64 v23, v37, v41, s[16:17]
	v_cndmask_b32_e64 v22, v36, v40, s[16:17]
	s_waitcnt lgkmcnt(0)
	s_barrier
	ds_write2_b64 v1, v[20:21], v[24:25] offset1:1
	ds_write2_b64 v1, v[28:29], v[32:33] offset0:2 offset1:3
	ds_write2_b64 v1, v[38:39], v[44:45] offset0:4 offset1:5
	;; [unrolled: 1-line block ×3, first 2 shown]
	v_mov_b32_e32 v24, v75
	s_waitcnt lgkmcnt(0)
	s_barrier
	s_and_saveexec_b64 s[18:19], s[0:1]
	s_cbranch_execz .LBB159_38
; %bb.35:                               ;   in Loop: Header=BB159_2 Depth=1
	s_mov_b64 s[20:21], 0
	v_mov_b32_e32 v24, v75
	v_mov_b32_e32 v20, v72
.LBB159_36:                             ;   Parent Loop BB159_2 Depth=1
                                        ; =>  This Inner Loop Header: Depth=2
	v_sub_u32_e32 v21, v20, v24
	v_lshrrev_b32_e32 v22, 31, v21
	v_add_u32_e32 v21, v21, v22
	v_ashrrev_i32_e32 v21, 1, v21
	v_add_u32_e32 v21, v21, v24
	v_lshl_add_u32 v22, v21, 3, v62
	v_xad_u32 v23, v21, -1, v54
	v_lshl_add_u32 v25, v23, 3, v68
	ds_read_b64 v[22:23], v22
	ds_read_b64 v[26:27], v25
	v_add_u32_e32 v25, 1, v21
	s_waitcnt lgkmcnt(0)
	v_cmp_lt_i64_e64 s[16:17], v[26:27], v[22:23]
	s_nop 1
	v_cndmask_b32_e64 v20, v20, v21, s[16:17]
	v_cndmask_b32_e64 v24, v25, v24, s[16:17]
	v_cmp_ge_i32_e64 s[16:17], v24, v20
	s_or_b64 s[20:21], s[16:17], s[20:21]
	s_andn2_b64 exec, exec, s[20:21]
	s_cbranch_execnz .LBB159_36
; %bb.37:                               ;   in Loop: Header=BB159_2 Depth=1
	s_or_b64 exec, exec, s[20:21]
.LBB159_38:                             ;   in Loop: Header=BB159_2 Depth=1
	s_or_b64 exec, exec, s[18:19]
	v_sub_u32_e32 v128, v69, v24
	v_lshl_add_u32 v26, v24, 3, v62
	v_lshlrev_b32_e32 v28, 3, v128
	ds_read_b64 v[20:21], v26
	ds_read_b64 v[22:23], v28
	v_add_u32_e32 v129, v24, v53
	v_cmp_le_i32_e64 s[18:19], v60, v129
	v_cmp_gt_i32_e64 s[16:17], v61, v128
                                        ; implicit-def: $vgpr24_vgpr25
	s_waitcnt lgkmcnt(0)
	v_cmp_lt_i64_e64 s[20:21], v[22:23], v[20:21]
	s_or_b64 s[18:19], s[18:19], s[20:21]
	s_and_b64 s[16:17], s[16:17], s[18:19]
	s_xor_b64 s[18:19], s[16:17], -1
	s_and_saveexec_b64 s[20:21], s[18:19]
	s_xor_b64 s[18:19], exec, s[20:21]
	s_cbranch_execz .LBB159_40
; %bb.39:                               ;   in Loop: Header=BB159_2 Depth=1
	ds_read_b64 v[24:25], v26 offset:8
                                        ; implicit-def: $vgpr28
.LBB159_40:                             ;   in Loop: Header=BB159_2 Depth=1
	s_or_saveexec_b64 s[18:19], s[18:19]
	v_mov_b64_e32 v[26:27], v[22:23]
	s_xor_b64 exec, exec, s[18:19]
	s_cbranch_execz .LBB159_42
; %bb.41:                               ;   in Loop: Header=BB159_2 Depth=1
	ds_read_b64 v[26:27], v28 offset:8
	s_waitcnt lgkmcnt(1)
	v_mov_b64_e32 v[24:25], v[20:21]
.LBB159_42:                             ;   in Loop: Header=BB159_2 Depth=1
	s_or_b64 exec, exec, s[18:19]
	v_add_u32_e32 v29, 1, v129
	v_add_u32_e32 v28, 1, v128
	v_cndmask_b32_e64 v131, v29, v129, s[16:17]
	v_cndmask_b32_e64 v130, v128, v28, s[16:17]
	v_cmp_ge_i32_e64 s[20:21], v131, v60
	s_waitcnt lgkmcnt(0)
	v_cmp_lt_i64_e64 s[22:23], v[26:27], v[24:25]
	v_cmp_lt_i32_e64 s[18:19], v130, v61
	s_or_b64 s[20:21], s[20:21], s[22:23]
	s_and_b64 s[18:19], s[18:19], s[20:21]
	s_xor_b64 s[20:21], s[18:19], -1
                                        ; implicit-def: $vgpr28_vgpr29
	s_and_saveexec_b64 s[22:23], s[20:21]
	s_xor_b64 s[20:21], exec, s[22:23]
	s_cbranch_execz .LBB159_44
; %bb.43:                               ;   in Loop: Header=BB159_2 Depth=1
	v_lshlrev_b32_e32 v28, 3, v131
	ds_read_b64 v[28:29], v28 offset:8
.LBB159_44:                             ;   in Loop: Header=BB159_2 Depth=1
	s_or_saveexec_b64 s[20:21], s[20:21]
	v_mov_b64_e32 v[30:31], v[26:27]
	s_xor_b64 exec, exec, s[20:21]
	s_cbranch_execz .LBB159_46
; %bb.45:                               ;   in Loop: Header=BB159_2 Depth=1
	s_waitcnt lgkmcnt(0)
	v_lshlrev_b32_e32 v28, 3, v130
	ds_read_b64 v[30:31], v28 offset:8
	v_mov_b64_e32 v[28:29], v[24:25]
.LBB159_46:                             ;   in Loop: Header=BB159_2 Depth=1
	s_or_b64 exec, exec, s[20:21]
	v_add_u32_e32 v33, 1, v131
	v_add_u32_e32 v32, 1, v130
	v_cndmask_b32_e64 v133, v33, v131, s[18:19]
	v_cndmask_b32_e64 v132, v130, v32, s[18:19]
	v_cmp_ge_i32_e64 s[22:23], v133, v60
	s_waitcnt lgkmcnt(0)
	v_cmp_lt_i64_e64 s[24:25], v[30:31], v[28:29]
	v_cmp_lt_i32_e64 s[20:21], v132, v61
	s_or_b64 s[22:23], s[22:23], s[24:25]
	s_and_b64 s[20:21], s[20:21], s[22:23]
	s_xor_b64 s[22:23], s[20:21], -1
                                        ; implicit-def: $vgpr32_vgpr33
	s_and_saveexec_b64 s[24:25], s[22:23]
	s_xor_b64 s[22:23], exec, s[24:25]
	s_cbranch_execz .LBB159_48
; %bb.47:                               ;   in Loop: Header=BB159_2 Depth=1
	v_lshlrev_b32_e32 v32, 3, v133
	ds_read_b64 v[32:33], v32 offset:8
.LBB159_48:                             ;   in Loop: Header=BB159_2 Depth=1
	s_or_saveexec_b64 s[22:23], s[22:23]
	v_mov_b64_e32 v[34:35], v[30:31]
	s_xor_b64 exec, exec, s[22:23]
	s_cbranch_execz .LBB159_50
; %bb.49:                               ;   in Loop: Header=BB159_2 Depth=1
	s_waitcnt lgkmcnt(0)
	v_lshlrev_b32_e32 v32, 3, v132
	ds_read_b64 v[34:35], v32 offset:8
	v_mov_b64_e32 v[32:33], v[28:29]
.LBB159_50:                             ;   in Loop: Header=BB159_2 Depth=1
	s_or_b64 exec, exec, s[22:23]
	v_add_u32_e32 v37, 1, v133
	v_add_u32_e32 v36, 1, v132
	v_cndmask_b32_e64 v135, v37, v133, s[20:21]
	v_cndmask_b32_e64 v134, v132, v36, s[20:21]
	v_cmp_ge_i32_e64 s[24:25], v135, v60
	s_waitcnt lgkmcnt(0)
	v_cmp_lt_i64_e64 s[26:27], v[34:35], v[32:33]
	v_cmp_lt_i32_e64 s[22:23], v134, v61
	s_or_b64 s[24:25], s[24:25], s[26:27]
	s_and_b64 s[22:23], s[22:23], s[24:25]
	s_xor_b64 s[24:25], s[22:23], -1
                                        ; implicit-def: $vgpr36_vgpr37
	s_and_saveexec_b64 s[26:27], s[24:25]
	s_xor_b64 s[24:25], exec, s[26:27]
	s_cbranch_execz .LBB159_52
; %bb.51:                               ;   in Loop: Header=BB159_2 Depth=1
	v_lshlrev_b32_e32 v36, 3, v135
	ds_read_b64 v[36:37], v36 offset:8
.LBB159_52:                             ;   in Loop: Header=BB159_2 Depth=1
	s_or_saveexec_b64 s[24:25], s[24:25]
	v_mov_b64_e32 v[38:39], v[34:35]
	s_xor_b64 exec, exec, s[24:25]
	s_cbranch_execz .LBB159_54
; %bb.53:                               ;   in Loop: Header=BB159_2 Depth=1
	s_waitcnt lgkmcnt(0)
	v_lshlrev_b32_e32 v36, 3, v134
	ds_read_b64 v[38:39], v36 offset:8
	v_mov_b64_e32 v[36:37], v[32:33]
.LBB159_54:                             ;   in Loop: Header=BB159_2 Depth=1
	s_or_b64 exec, exec, s[24:25]
	v_add_u32_e32 v41, 1, v135
	v_add_u32_e32 v40, 1, v134
	v_cndmask_b32_e64 v137, v41, v135, s[22:23]
	v_cndmask_b32_e64 v136, v134, v40, s[22:23]
	v_cmp_ge_i32_e64 s[26:27], v137, v60
	s_waitcnt lgkmcnt(0)
	v_cmp_lt_i64_e64 s[28:29], v[38:39], v[36:37]
	v_cmp_lt_i32_e64 s[24:25], v136, v61
	s_or_b64 s[26:27], s[26:27], s[28:29]
	s_and_b64 s[24:25], s[24:25], s[26:27]
	s_xor_b64 s[26:27], s[24:25], -1
                                        ; implicit-def: $vgpr40_vgpr41
	s_and_saveexec_b64 s[28:29], s[26:27]
	s_xor_b64 s[26:27], exec, s[28:29]
	s_cbranch_execz .LBB159_56
; %bb.55:                               ;   in Loop: Header=BB159_2 Depth=1
	v_lshlrev_b32_e32 v40, 3, v137
	ds_read_b64 v[40:41], v40 offset:8
.LBB159_56:                             ;   in Loop: Header=BB159_2 Depth=1
	s_or_saveexec_b64 s[26:27], s[26:27]
	v_mov_b64_e32 v[42:43], v[38:39]
	s_xor_b64 exec, exec, s[26:27]
	s_cbranch_execz .LBB159_58
; %bb.57:                               ;   in Loop: Header=BB159_2 Depth=1
	s_waitcnt lgkmcnt(0)
	v_lshlrev_b32_e32 v40, 3, v136
	ds_read_b64 v[42:43], v40 offset:8
	v_mov_b64_e32 v[40:41], v[36:37]
.LBB159_58:                             ;   in Loop: Header=BB159_2 Depth=1
	s_or_b64 exec, exec, s[26:27]
	v_add_u32_e32 v45, 1, v137
	v_add_u32_e32 v44, 1, v136
	v_cndmask_b32_e64 v139, v45, v137, s[24:25]
	v_cndmask_b32_e64 v138, v136, v44, s[24:25]
	v_cmp_ge_i32_e64 s[28:29], v139, v60
	s_waitcnt lgkmcnt(0)
	v_cmp_lt_i64_e64 s[30:31], v[42:43], v[40:41]
	v_cmp_lt_i32_e64 s[26:27], v138, v61
	s_or_b64 s[28:29], s[28:29], s[30:31]
	s_and_b64 s[26:27], s[26:27], s[28:29]
	s_xor_b64 s[28:29], s[26:27], -1
                                        ; implicit-def: $vgpr44_vgpr45
	s_and_saveexec_b64 s[30:31], s[28:29]
	s_xor_b64 s[28:29], exec, s[30:31]
	s_cbranch_execz .LBB159_60
; %bb.59:                               ;   in Loop: Header=BB159_2 Depth=1
	v_lshlrev_b32_e32 v44, 3, v139
	ds_read_b64 v[44:45], v44 offset:8
.LBB159_60:                             ;   in Loop: Header=BB159_2 Depth=1
	s_or_saveexec_b64 s[28:29], s[28:29]
	v_mov_b64_e32 v[48:49], v[42:43]
	s_xor_b64 exec, exec, s[28:29]
	s_cbranch_execz .LBB159_62
; %bb.61:                               ;   in Loop: Header=BB159_2 Depth=1
	s_waitcnt lgkmcnt(0)
	v_lshlrev_b32_e32 v44, 3, v138
	ds_read_b64 v[48:49], v44 offset:8
	v_mov_b64_e32 v[44:45], v[40:41]
.LBB159_62:                             ;   in Loop: Header=BB159_2 Depth=1
	s_or_b64 exec, exec, s[28:29]
	v_add_u32_e32 v47, 1, v139
	v_add_u32_e32 v46, 1, v138
	v_cndmask_b32_e64 v141, v47, v139, s[26:27]
	v_cndmask_b32_e64 v140, v138, v46, s[26:27]
	v_cmp_ge_i32_e64 s[30:31], v141, v60
	s_waitcnt lgkmcnt(0)
	v_cmp_lt_i64_e64 s[34:35], v[48:49], v[44:45]
	v_cmp_lt_i32_e64 s[28:29], v140, v61
	s_or_b64 s[30:31], s[30:31], s[34:35]
	s_and_b64 s[28:29], s[28:29], s[30:31]
	s_xor_b64 s[30:31], s[28:29], -1
                                        ; implicit-def: $vgpr46_vgpr47
	s_and_saveexec_b64 s[34:35], s[30:31]
	s_xor_b64 s[30:31], exec, s[34:35]
	s_cbranch_execz .LBB159_64
; %bb.63:                               ;   in Loop: Header=BB159_2 Depth=1
	v_lshlrev_b32_e32 v46, 3, v141
	ds_read_b64 v[46:47], v46 offset:8
.LBB159_64:                             ;   in Loop: Header=BB159_2 Depth=1
	s_or_saveexec_b64 s[30:31], s[30:31]
	v_mov_b64_e32 v[50:51], v[48:49]
	s_xor_b64 exec, exec, s[30:31]
	s_cbranch_execz .LBB159_66
; %bb.65:                               ;   in Loop: Header=BB159_2 Depth=1
	s_waitcnt lgkmcnt(0)
	v_lshlrev_b32_e32 v46, 3, v140
	ds_read_b64 v[50:51], v46 offset:8
	v_mov_b64_e32 v[46:47], v[44:45]
.LBB159_66:                             ;   in Loop: Header=BB159_2 Depth=1
	s_or_b64 exec, exec, s[30:31]
	v_cndmask_b32_e64 v45, v45, v49, s[28:29]
	v_add_u32_e32 v49, 1, v141
	v_cndmask_b32_e64 v44, v44, v48, s[28:29]
	v_add_u32_e32 v48, 1, v140
	v_cndmask_b32_e64 v49, v49, v141, s[28:29]
	v_cndmask_b32_e64 v48, v140, v48, s[28:29]
	v_cndmask_b32_e64 v29, v29, v31, s[20:21]
	v_cndmask_b32_e64 v28, v28, v30, s[20:21]
	v_cndmask_b32_e64 v30, v133, v132, s[20:21]
	v_cndmask_b32_e64 v25, v25, v27, s[18:19]
	v_cndmask_b32_e64 v24, v24, v26, s[18:19]
	v_cndmask_b32_e64 v26, v131, v130, s[18:19]
	v_cmp_ge_i32_e64 s[18:19], v49, v60
	s_waitcnt lgkmcnt(0)
	v_cmp_lt_i64_e64 s[20:21], v[50:51], v[46:47]
	v_cndmask_b32_e64 v21, v21, v23, s[16:17]
	v_cndmask_b32_e64 v20, v20, v22, s[16:17]
	;; [unrolled: 1-line block ×3, first 2 shown]
	v_cmp_lt_i32_e64 s[16:17], v48, v61
	s_or_b64 s[18:19], s[18:19], s[20:21]
	v_cndmask_b32_e64 v32, v32, v34, s[22:23]
	v_cndmask_b32_e64 v34, v135, v134, s[22:23]
	s_and_b64 s[16:17], s[16:17], s[18:19]
	v_cndmask_b32_e64 v140, v141, v140, s[28:29]
	v_cndmask_b32_e64 v40, v40, v42, s[26:27]
	v_cndmask_b32_e64 v42, v139, v138, s[26:27]
	v_cndmask_b32_e64 v36, v36, v38, s[24:25]
	v_cndmask_b32_e64 v38, v137, v136, s[24:25]
	v_cndmask_b32_e64 v31, v49, v48, s[16:17]
	s_barrier
	ds_write2_b64 v1, v[16:17], v[18:19] offset1:1
	ds_write2_b64 v1, v[10:11], v[14:15] offset0:2 offset1:3
	ds_write2_b64 v1, v[8:9], v[12:13] offset0:4 offset1:5
	;; [unrolled: 1-line block ×3, first 2 shown]
	v_lshlrev_b32_e32 v4, 3, v27
	v_lshlrev_b32_e32 v5, 3, v26
	v_lshlrev_b32_e32 v6, 3, v30
	v_lshlrev_b32_e32 v7, 3, v34
	s_waitcnt lgkmcnt(0)
	s_barrier
	ds_read_b64 v[16:17], v4
	ds_read_b64 v[18:19], v5
	ds_read_b64 v[10:11], v6
	ds_read_b64 v[14:15], v7
	v_lshlrev_b32_e32 v4, 3, v38
	v_lshlrev_b32_e32 v5, 3, v42
	v_lshlrev_b32_e32 v6, 3, v140
	v_lshlrev_b32_e32 v7, 3, v31
	ds_read_b64 v[8:9], v4
	ds_read_b64 v[12:13], v5
	;; [unrolled: 1-line block ×4, first 2 shown]
	v_cndmask_b32_e64 v41, v41, v43, s[26:27]
	v_cndmask_b32_e64 v37, v37, v39, s[24:25]
	;; [unrolled: 1-line block ×5, first 2 shown]
	s_waitcnt lgkmcnt(0)
	s_barrier
	ds_write2_b64 v1, v[20:21], v[24:25] offset1:1
	ds_write2_b64 v1, v[28:29], v[32:33] offset0:2 offset1:3
	ds_write2_b64 v1, v[36:37], v[40:41] offset0:4 offset1:5
	;; [unrolled: 1-line block ×3, first 2 shown]
	v_mov_b32_e32 v24, v76
	s_waitcnt lgkmcnt(0)
	s_barrier
	s_and_saveexec_b64 s[18:19], s[2:3]
	s_cbranch_execz .LBB159_70
; %bb.67:                               ;   in Loop: Header=BB159_2 Depth=1
	s_mov_b64 s[20:21], 0
	v_mov_b32_e32 v24, v76
	v_mov_b32_e32 v20, v73
.LBB159_68:                             ;   Parent Loop BB159_2 Depth=1
                                        ; =>  This Inner Loop Header: Depth=2
	v_sub_u32_e32 v21, v20, v24
	v_lshrrev_b32_e32 v22, 31, v21
	v_add_u32_e32 v21, v21, v22
	v_ashrrev_i32_e32 v21, 1, v21
	v_add_u32_e32 v21, v21, v24
	v_lshl_add_u32 v22, v21, 3, v65
	v_xad_u32 v23, v21, -1, v56
	v_lshl_add_u32 v25, v23, 3, v70
	ds_read_b64 v[22:23], v22
	ds_read_b64 v[26:27], v25
	v_add_u32_e32 v25, 1, v21
	s_waitcnt lgkmcnt(0)
	v_cmp_lt_i64_e64 s[16:17], v[26:27], v[22:23]
	s_nop 1
	v_cndmask_b32_e64 v20, v20, v21, s[16:17]
	v_cndmask_b32_e64 v24, v25, v24, s[16:17]
	v_cmp_ge_i32_e64 s[16:17], v24, v20
	s_or_b64 s[20:21], s[16:17], s[20:21]
	s_andn2_b64 exec, exec, s[20:21]
	s_cbranch_execnz .LBB159_68
; %bb.69:                               ;   in Loop: Header=BB159_2 Depth=1
	s_or_b64 exec, exec, s[20:21]
.LBB159_70:                             ;   in Loop: Header=BB159_2 Depth=1
	s_or_b64 exec, exec, s[18:19]
	v_sub_u32_e32 v128, v77, v24
	v_lshl_add_u32 v26, v24, 3, v65
	v_lshlrev_b32_e32 v28, 3, v128
	ds_read_b64 v[20:21], v26
	ds_read_b64 v[22:23], v28
	v_add_u32_e32 v129, v24, v55
	v_cmp_le_i32_e64 s[18:19], v63, v129
	v_cmp_gt_i32_e64 s[16:17], v64, v128
                                        ; implicit-def: $vgpr24_vgpr25
	s_waitcnt lgkmcnt(0)
	v_cmp_lt_i64_e64 s[20:21], v[22:23], v[20:21]
	s_or_b64 s[18:19], s[18:19], s[20:21]
	s_and_b64 s[16:17], s[16:17], s[18:19]
	s_xor_b64 s[18:19], s[16:17], -1
	s_and_saveexec_b64 s[20:21], s[18:19]
	s_xor_b64 s[18:19], exec, s[20:21]
	s_cbranch_execz .LBB159_72
; %bb.71:                               ;   in Loop: Header=BB159_2 Depth=1
	ds_read_b64 v[24:25], v26 offset:8
                                        ; implicit-def: $vgpr28
.LBB159_72:                             ;   in Loop: Header=BB159_2 Depth=1
	s_or_saveexec_b64 s[18:19], s[18:19]
	v_mov_b64_e32 v[26:27], v[22:23]
	s_xor_b64 exec, exec, s[18:19]
	s_cbranch_execz .LBB159_74
; %bb.73:                               ;   in Loop: Header=BB159_2 Depth=1
	ds_read_b64 v[26:27], v28 offset:8
	s_waitcnt lgkmcnt(1)
	v_mov_b64_e32 v[24:25], v[20:21]
.LBB159_74:                             ;   in Loop: Header=BB159_2 Depth=1
	s_or_b64 exec, exec, s[18:19]
	v_add_u32_e32 v29, 1, v129
	v_add_u32_e32 v28, 1, v128
	v_cndmask_b32_e64 v131, v29, v129, s[16:17]
	v_cndmask_b32_e64 v130, v128, v28, s[16:17]
	v_cmp_ge_i32_e64 s[20:21], v131, v63
	s_waitcnt lgkmcnt(0)
	v_cmp_lt_i64_e64 s[22:23], v[26:27], v[24:25]
	v_cmp_lt_i32_e64 s[18:19], v130, v64
	s_or_b64 s[20:21], s[20:21], s[22:23]
	s_and_b64 s[18:19], s[18:19], s[20:21]
	s_xor_b64 s[20:21], s[18:19], -1
                                        ; implicit-def: $vgpr28_vgpr29
	s_and_saveexec_b64 s[22:23], s[20:21]
	s_xor_b64 s[20:21], exec, s[22:23]
	s_cbranch_execz .LBB159_76
; %bb.75:                               ;   in Loop: Header=BB159_2 Depth=1
	v_lshlrev_b32_e32 v28, 3, v131
	ds_read_b64 v[28:29], v28 offset:8
.LBB159_76:                             ;   in Loop: Header=BB159_2 Depth=1
	s_or_saveexec_b64 s[20:21], s[20:21]
	v_mov_b64_e32 v[30:31], v[26:27]
	s_xor_b64 exec, exec, s[20:21]
	s_cbranch_execz .LBB159_78
; %bb.77:                               ;   in Loop: Header=BB159_2 Depth=1
	s_waitcnt lgkmcnt(0)
	v_lshlrev_b32_e32 v28, 3, v130
	ds_read_b64 v[30:31], v28 offset:8
	v_mov_b64_e32 v[28:29], v[24:25]
.LBB159_78:                             ;   in Loop: Header=BB159_2 Depth=1
	s_or_b64 exec, exec, s[20:21]
	v_add_u32_e32 v33, 1, v131
	v_add_u32_e32 v32, 1, v130
	v_cndmask_b32_e64 v133, v33, v131, s[18:19]
	v_cndmask_b32_e64 v132, v130, v32, s[18:19]
	v_cmp_ge_i32_e64 s[22:23], v133, v63
	s_waitcnt lgkmcnt(0)
	v_cmp_lt_i64_e64 s[24:25], v[30:31], v[28:29]
	v_cmp_lt_i32_e64 s[20:21], v132, v64
	s_or_b64 s[22:23], s[22:23], s[24:25]
	s_and_b64 s[20:21], s[20:21], s[22:23]
	s_xor_b64 s[22:23], s[20:21], -1
                                        ; implicit-def: $vgpr32_vgpr33
	s_and_saveexec_b64 s[24:25], s[22:23]
	s_xor_b64 s[22:23], exec, s[24:25]
	s_cbranch_execz .LBB159_80
; %bb.79:                               ;   in Loop: Header=BB159_2 Depth=1
	v_lshlrev_b32_e32 v32, 3, v133
	ds_read_b64 v[32:33], v32 offset:8
.LBB159_80:                             ;   in Loop: Header=BB159_2 Depth=1
	s_or_saveexec_b64 s[22:23], s[22:23]
	v_mov_b64_e32 v[34:35], v[30:31]
	s_xor_b64 exec, exec, s[22:23]
	s_cbranch_execz .LBB159_82
; %bb.81:                               ;   in Loop: Header=BB159_2 Depth=1
	s_waitcnt lgkmcnt(0)
	v_lshlrev_b32_e32 v32, 3, v132
	ds_read_b64 v[34:35], v32 offset:8
	v_mov_b64_e32 v[32:33], v[28:29]
.LBB159_82:                             ;   in Loop: Header=BB159_2 Depth=1
	s_or_b64 exec, exec, s[22:23]
	v_add_u32_e32 v37, 1, v133
	v_add_u32_e32 v36, 1, v132
	v_cndmask_b32_e64 v135, v37, v133, s[20:21]
	v_cndmask_b32_e64 v134, v132, v36, s[20:21]
	v_cmp_ge_i32_e64 s[24:25], v135, v63
	s_waitcnt lgkmcnt(0)
	v_cmp_lt_i64_e64 s[26:27], v[34:35], v[32:33]
	v_cmp_lt_i32_e64 s[22:23], v134, v64
	s_or_b64 s[24:25], s[24:25], s[26:27]
	s_and_b64 s[22:23], s[22:23], s[24:25]
	s_xor_b64 s[24:25], s[22:23], -1
                                        ; implicit-def: $vgpr36_vgpr37
	s_and_saveexec_b64 s[26:27], s[24:25]
	s_xor_b64 s[24:25], exec, s[26:27]
	s_cbranch_execz .LBB159_84
; %bb.83:                               ;   in Loop: Header=BB159_2 Depth=1
	v_lshlrev_b32_e32 v36, 3, v135
	ds_read_b64 v[36:37], v36 offset:8
.LBB159_84:                             ;   in Loop: Header=BB159_2 Depth=1
	s_or_saveexec_b64 s[24:25], s[24:25]
	v_mov_b64_e32 v[38:39], v[34:35]
	s_xor_b64 exec, exec, s[24:25]
	s_cbranch_execz .LBB159_86
; %bb.85:                               ;   in Loop: Header=BB159_2 Depth=1
	s_waitcnt lgkmcnt(0)
	v_lshlrev_b32_e32 v36, 3, v134
	ds_read_b64 v[38:39], v36 offset:8
	v_mov_b64_e32 v[36:37], v[32:33]
.LBB159_86:                             ;   in Loop: Header=BB159_2 Depth=1
	s_or_b64 exec, exec, s[24:25]
	v_add_u32_e32 v41, 1, v135
	v_add_u32_e32 v40, 1, v134
	v_cndmask_b32_e64 v137, v41, v135, s[22:23]
	v_cndmask_b32_e64 v136, v134, v40, s[22:23]
	v_cmp_ge_i32_e64 s[26:27], v137, v63
	s_waitcnt lgkmcnt(0)
	v_cmp_lt_i64_e64 s[28:29], v[38:39], v[36:37]
	v_cmp_lt_i32_e64 s[24:25], v136, v64
	s_or_b64 s[26:27], s[26:27], s[28:29]
	s_and_b64 s[24:25], s[24:25], s[26:27]
	s_xor_b64 s[26:27], s[24:25], -1
                                        ; implicit-def: $vgpr40_vgpr41
	s_and_saveexec_b64 s[28:29], s[26:27]
	s_xor_b64 s[26:27], exec, s[28:29]
	s_cbranch_execz .LBB159_88
; %bb.87:                               ;   in Loop: Header=BB159_2 Depth=1
	v_lshlrev_b32_e32 v40, 3, v137
	ds_read_b64 v[40:41], v40 offset:8
.LBB159_88:                             ;   in Loop: Header=BB159_2 Depth=1
	s_or_saveexec_b64 s[26:27], s[26:27]
	v_mov_b64_e32 v[42:43], v[38:39]
	s_xor_b64 exec, exec, s[26:27]
	s_cbranch_execz .LBB159_90
; %bb.89:                               ;   in Loop: Header=BB159_2 Depth=1
	s_waitcnt lgkmcnt(0)
	v_lshlrev_b32_e32 v40, 3, v136
	ds_read_b64 v[42:43], v40 offset:8
	v_mov_b64_e32 v[40:41], v[36:37]
.LBB159_90:                             ;   in Loop: Header=BB159_2 Depth=1
	s_or_b64 exec, exec, s[26:27]
	v_add_u32_e32 v45, 1, v137
	v_add_u32_e32 v44, 1, v136
	v_cndmask_b32_e64 v139, v45, v137, s[24:25]
	v_cndmask_b32_e64 v138, v136, v44, s[24:25]
	v_cmp_ge_i32_e64 s[28:29], v139, v63
	s_waitcnt lgkmcnt(0)
	v_cmp_lt_i64_e64 s[30:31], v[42:43], v[40:41]
	v_cmp_lt_i32_e64 s[26:27], v138, v64
	s_or_b64 s[28:29], s[28:29], s[30:31]
	s_and_b64 s[26:27], s[26:27], s[28:29]
	s_xor_b64 s[28:29], s[26:27], -1
                                        ; implicit-def: $vgpr44_vgpr45
	s_and_saveexec_b64 s[30:31], s[28:29]
	s_xor_b64 s[28:29], exec, s[30:31]
	s_cbranch_execz .LBB159_92
; %bb.91:                               ;   in Loop: Header=BB159_2 Depth=1
	v_lshlrev_b32_e32 v44, 3, v139
	ds_read_b64 v[44:45], v44 offset:8
.LBB159_92:                             ;   in Loop: Header=BB159_2 Depth=1
	s_or_saveexec_b64 s[28:29], s[28:29]
	v_mov_b64_e32 v[48:49], v[42:43]
	s_xor_b64 exec, exec, s[28:29]
	s_cbranch_execz .LBB159_94
; %bb.93:                               ;   in Loop: Header=BB159_2 Depth=1
	s_waitcnt lgkmcnt(0)
	v_lshlrev_b32_e32 v44, 3, v138
	ds_read_b64 v[48:49], v44 offset:8
	v_mov_b64_e32 v[44:45], v[40:41]
.LBB159_94:                             ;   in Loop: Header=BB159_2 Depth=1
	s_or_b64 exec, exec, s[28:29]
	v_add_u32_e32 v47, 1, v139
	v_add_u32_e32 v46, 1, v138
	v_cndmask_b32_e64 v141, v47, v139, s[26:27]
	v_cndmask_b32_e64 v140, v138, v46, s[26:27]
	v_cmp_ge_i32_e64 s[30:31], v141, v63
	s_waitcnt lgkmcnt(0)
	v_cmp_lt_i64_e64 s[34:35], v[48:49], v[44:45]
	v_cmp_lt_i32_e64 s[28:29], v140, v64
	s_or_b64 s[30:31], s[30:31], s[34:35]
	s_and_b64 s[28:29], s[28:29], s[30:31]
	s_xor_b64 s[30:31], s[28:29], -1
                                        ; implicit-def: $vgpr46_vgpr47
	s_and_saveexec_b64 s[34:35], s[30:31]
	s_xor_b64 s[30:31], exec, s[34:35]
	s_cbranch_execz .LBB159_96
; %bb.95:                               ;   in Loop: Header=BB159_2 Depth=1
	v_lshlrev_b32_e32 v46, 3, v141
	ds_read_b64 v[46:47], v46 offset:8
.LBB159_96:                             ;   in Loop: Header=BB159_2 Depth=1
	s_or_saveexec_b64 s[30:31], s[30:31]
	v_mov_b64_e32 v[50:51], v[48:49]
	s_xor_b64 exec, exec, s[30:31]
	s_cbranch_execz .LBB159_98
; %bb.97:                               ;   in Loop: Header=BB159_2 Depth=1
	s_waitcnt lgkmcnt(0)
	v_lshlrev_b32_e32 v46, 3, v140
	ds_read_b64 v[50:51], v46 offset:8
	v_mov_b64_e32 v[46:47], v[44:45]
.LBB159_98:                             ;   in Loop: Header=BB159_2 Depth=1
	s_or_b64 exec, exec, s[30:31]
	v_cndmask_b32_e64 v45, v45, v49, s[28:29]
	v_add_u32_e32 v49, 1, v141
	v_cndmask_b32_e64 v44, v44, v48, s[28:29]
	v_add_u32_e32 v48, 1, v140
	v_cndmask_b32_e64 v49, v49, v141, s[28:29]
	v_cndmask_b32_e64 v48, v140, v48, s[28:29]
	;; [unrolled: 1-line block ×8, first 2 shown]
	v_cmp_ge_i32_e64 s[18:19], v49, v63
	s_waitcnt lgkmcnt(0)
	v_cmp_lt_i64_e64 s[20:21], v[50:51], v[46:47]
	v_cndmask_b32_e64 v21, v21, v23, s[16:17]
	v_cndmask_b32_e64 v20, v20, v22, s[16:17]
	;; [unrolled: 1-line block ×3, first 2 shown]
	v_cmp_lt_i32_e64 s[16:17], v48, v64
	s_or_b64 s[18:19], s[18:19], s[20:21]
	v_cndmask_b32_e64 v32, v32, v34, s[22:23]
	v_cndmask_b32_e64 v34, v135, v134, s[22:23]
	s_and_b64 s[16:17], s[16:17], s[18:19]
	v_cndmask_b32_e64 v140, v141, v140, s[28:29]
	v_cndmask_b32_e64 v40, v40, v42, s[26:27]
	;; [unrolled: 1-line block ×6, first 2 shown]
	s_barrier
	ds_write2_b64 v1, v[16:17], v[18:19] offset1:1
	ds_write2_b64 v1, v[10:11], v[14:15] offset0:2 offset1:3
	ds_write2_b64 v1, v[8:9], v[12:13] offset0:4 offset1:5
	;; [unrolled: 1-line block ×3, first 2 shown]
	v_lshlrev_b32_e32 v4, 3, v27
	v_lshlrev_b32_e32 v5, 3, v26
	;; [unrolled: 1-line block ×4, first 2 shown]
	s_waitcnt lgkmcnt(0)
	s_barrier
	ds_read_b64 v[16:17], v4
	ds_read_b64 v[18:19], v5
	;; [unrolled: 1-line block ×4, first 2 shown]
	v_lshlrev_b32_e32 v4, 3, v38
	v_lshlrev_b32_e32 v5, 3, v42
	;; [unrolled: 1-line block ×4, first 2 shown]
	ds_read_b64 v[8:9], v4
	ds_read_b64 v[12:13], v5
	;; [unrolled: 1-line block ×4, first 2 shown]
	v_cndmask_b32_e64 v41, v41, v43, s[26:27]
	v_cndmask_b32_e64 v37, v37, v39, s[24:25]
	;; [unrolled: 1-line block ×5, first 2 shown]
	s_waitcnt lgkmcnt(0)
	s_barrier
	ds_write2_b64 v1, v[20:21], v[24:25] offset1:1
	ds_write2_b64 v1, v[28:29], v[32:33] offset0:2 offset1:3
	ds_write2_b64 v1, v[36:37], v[40:41] offset0:4 offset1:5
	;; [unrolled: 1-line block ×3, first 2 shown]
	v_mov_b32_e32 v24, v84
	s_waitcnt lgkmcnt(0)
	s_barrier
	s_and_saveexec_b64 s[18:19], s[4:5]
	s_cbranch_execz .LBB159_102
; %bb.99:                               ;   in Loop: Header=BB159_2 Depth=1
	s_mov_b64 s[20:21], 0
	v_mov_b32_e32 v24, v84
	v_mov_b32_e32 v20, v85
.LBB159_100:                            ;   Parent Loop BB159_2 Depth=1
                                        ; =>  This Inner Loop Header: Depth=2
	v_sub_u32_e32 v21, v20, v24
	v_lshrrev_b32_e32 v22, 31, v21
	v_add_u32_e32 v21, v21, v22
	v_ashrrev_i32_e32 v21, 1, v21
	v_add_u32_e32 v21, v21, v24
	v_lshl_add_u32 v22, v21, 3, v82
	v_xad_u32 v23, v21, -1, v79
	v_lshl_add_u32 v25, v23, 3, v83
	ds_read_b64 v[22:23], v22
	ds_read_b64 v[26:27], v25
	v_add_u32_e32 v25, 1, v21
	s_waitcnt lgkmcnt(0)
	v_cmp_lt_i64_e64 s[16:17], v[26:27], v[22:23]
	s_nop 1
	v_cndmask_b32_e64 v20, v20, v21, s[16:17]
	v_cndmask_b32_e64 v24, v25, v24, s[16:17]
	v_cmp_ge_i32_e64 s[16:17], v24, v20
	s_or_b64 s[20:21], s[16:17], s[20:21]
	s_andn2_b64 exec, exec, s[20:21]
	s_cbranch_execnz .LBB159_100
; %bb.101:                              ;   in Loop: Header=BB159_2 Depth=1
	s_or_b64 exec, exec, s[20:21]
.LBB159_102:                            ;   in Loop: Header=BB159_2 Depth=1
	s_or_b64 exec, exec, s[18:19]
	v_sub_u32_e32 v128, v86, v24
	v_lshl_add_u32 v26, v24, 3, v82
	v_lshlrev_b32_e32 v28, 3, v128
	ds_read_b64 v[20:21], v26
	ds_read_b64 v[22:23], v28
	v_add_u32_e32 v129, v24, v78
	v_cmp_le_i32_e64 s[18:19], v80, v129
	v_cmp_gt_i32_e64 s[16:17], v81, v128
                                        ; implicit-def: $vgpr24_vgpr25
	s_waitcnt lgkmcnt(0)
	v_cmp_lt_i64_e64 s[20:21], v[22:23], v[20:21]
	s_or_b64 s[18:19], s[18:19], s[20:21]
	s_and_b64 s[16:17], s[16:17], s[18:19]
	s_xor_b64 s[18:19], s[16:17], -1
	s_and_saveexec_b64 s[20:21], s[18:19]
	s_xor_b64 s[18:19], exec, s[20:21]
	s_cbranch_execz .LBB159_104
; %bb.103:                              ;   in Loop: Header=BB159_2 Depth=1
	ds_read_b64 v[24:25], v26 offset:8
                                        ; implicit-def: $vgpr28
.LBB159_104:                            ;   in Loop: Header=BB159_2 Depth=1
	s_or_saveexec_b64 s[18:19], s[18:19]
	v_mov_b64_e32 v[26:27], v[22:23]
	s_xor_b64 exec, exec, s[18:19]
	s_cbranch_execz .LBB159_106
; %bb.105:                              ;   in Loop: Header=BB159_2 Depth=1
	ds_read_b64 v[26:27], v28 offset:8
	s_waitcnt lgkmcnt(1)
	v_mov_b64_e32 v[24:25], v[20:21]
.LBB159_106:                            ;   in Loop: Header=BB159_2 Depth=1
	s_or_b64 exec, exec, s[18:19]
	v_add_u32_e32 v29, 1, v129
	v_add_u32_e32 v28, 1, v128
	v_cndmask_b32_e64 v131, v29, v129, s[16:17]
	v_cndmask_b32_e64 v130, v128, v28, s[16:17]
	v_cmp_ge_i32_e64 s[20:21], v131, v80
	s_waitcnt lgkmcnt(0)
	v_cmp_lt_i64_e64 s[22:23], v[26:27], v[24:25]
	v_cmp_lt_i32_e64 s[18:19], v130, v81
	s_or_b64 s[20:21], s[20:21], s[22:23]
	s_and_b64 s[18:19], s[18:19], s[20:21]
	s_xor_b64 s[20:21], s[18:19], -1
                                        ; implicit-def: $vgpr28_vgpr29
	s_and_saveexec_b64 s[22:23], s[20:21]
	s_xor_b64 s[20:21], exec, s[22:23]
	s_cbranch_execz .LBB159_108
; %bb.107:                              ;   in Loop: Header=BB159_2 Depth=1
	v_lshlrev_b32_e32 v28, 3, v131
	ds_read_b64 v[28:29], v28 offset:8
.LBB159_108:                            ;   in Loop: Header=BB159_2 Depth=1
	s_or_saveexec_b64 s[20:21], s[20:21]
	v_mov_b64_e32 v[30:31], v[26:27]
	s_xor_b64 exec, exec, s[20:21]
	s_cbranch_execz .LBB159_110
; %bb.109:                              ;   in Loop: Header=BB159_2 Depth=1
	s_waitcnt lgkmcnt(0)
	v_lshlrev_b32_e32 v28, 3, v130
	ds_read_b64 v[30:31], v28 offset:8
	v_mov_b64_e32 v[28:29], v[24:25]
.LBB159_110:                            ;   in Loop: Header=BB159_2 Depth=1
	s_or_b64 exec, exec, s[20:21]
	v_add_u32_e32 v33, 1, v131
	v_add_u32_e32 v32, 1, v130
	v_cndmask_b32_e64 v133, v33, v131, s[18:19]
	v_cndmask_b32_e64 v132, v130, v32, s[18:19]
	v_cmp_ge_i32_e64 s[22:23], v133, v80
	s_waitcnt lgkmcnt(0)
	v_cmp_lt_i64_e64 s[24:25], v[30:31], v[28:29]
	v_cmp_lt_i32_e64 s[20:21], v132, v81
	s_or_b64 s[22:23], s[22:23], s[24:25]
	s_and_b64 s[20:21], s[20:21], s[22:23]
	s_xor_b64 s[22:23], s[20:21], -1
                                        ; implicit-def: $vgpr32_vgpr33
	s_and_saveexec_b64 s[24:25], s[22:23]
	s_xor_b64 s[22:23], exec, s[24:25]
	s_cbranch_execz .LBB159_112
; %bb.111:                              ;   in Loop: Header=BB159_2 Depth=1
	v_lshlrev_b32_e32 v32, 3, v133
	ds_read_b64 v[32:33], v32 offset:8
.LBB159_112:                            ;   in Loop: Header=BB159_2 Depth=1
	s_or_saveexec_b64 s[22:23], s[22:23]
	v_mov_b64_e32 v[34:35], v[30:31]
	s_xor_b64 exec, exec, s[22:23]
	s_cbranch_execz .LBB159_114
; %bb.113:                              ;   in Loop: Header=BB159_2 Depth=1
	s_waitcnt lgkmcnt(0)
	v_lshlrev_b32_e32 v32, 3, v132
	ds_read_b64 v[34:35], v32 offset:8
	v_mov_b64_e32 v[32:33], v[28:29]
.LBB159_114:                            ;   in Loop: Header=BB159_2 Depth=1
	s_or_b64 exec, exec, s[22:23]
	v_add_u32_e32 v37, 1, v133
	v_add_u32_e32 v36, 1, v132
	v_cndmask_b32_e64 v135, v37, v133, s[20:21]
	v_cndmask_b32_e64 v134, v132, v36, s[20:21]
	v_cmp_ge_i32_e64 s[24:25], v135, v80
	s_waitcnt lgkmcnt(0)
	v_cmp_lt_i64_e64 s[26:27], v[34:35], v[32:33]
	v_cmp_lt_i32_e64 s[22:23], v134, v81
	s_or_b64 s[24:25], s[24:25], s[26:27]
	s_and_b64 s[22:23], s[22:23], s[24:25]
	s_xor_b64 s[24:25], s[22:23], -1
                                        ; implicit-def: $vgpr36_vgpr37
	s_and_saveexec_b64 s[26:27], s[24:25]
	s_xor_b64 s[24:25], exec, s[26:27]
	s_cbranch_execz .LBB159_116
; %bb.115:                              ;   in Loop: Header=BB159_2 Depth=1
	v_lshlrev_b32_e32 v36, 3, v135
	ds_read_b64 v[36:37], v36 offset:8
.LBB159_116:                            ;   in Loop: Header=BB159_2 Depth=1
	s_or_saveexec_b64 s[24:25], s[24:25]
	v_mov_b64_e32 v[38:39], v[34:35]
	s_xor_b64 exec, exec, s[24:25]
	s_cbranch_execz .LBB159_118
; %bb.117:                              ;   in Loop: Header=BB159_2 Depth=1
	s_waitcnt lgkmcnt(0)
	v_lshlrev_b32_e32 v36, 3, v134
	ds_read_b64 v[38:39], v36 offset:8
	v_mov_b64_e32 v[36:37], v[32:33]
.LBB159_118:                            ;   in Loop: Header=BB159_2 Depth=1
	s_or_b64 exec, exec, s[24:25]
	v_add_u32_e32 v41, 1, v135
	v_add_u32_e32 v40, 1, v134
	v_cndmask_b32_e64 v137, v41, v135, s[22:23]
	v_cndmask_b32_e64 v136, v134, v40, s[22:23]
	v_cmp_ge_i32_e64 s[26:27], v137, v80
	s_waitcnt lgkmcnt(0)
	v_cmp_lt_i64_e64 s[28:29], v[38:39], v[36:37]
	v_cmp_lt_i32_e64 s[24:25], v136, v81
	s_or_b64 s[26:27], s[26:27], s[28:29]
	s_and_b64 s[24:25], s[24:25], s[26:27]
	s_xor_b64 s[26:27], s[24:25], -1
                                        ; implicit-def: $vgpr40_vgpr41
	s_and_saveexec_b64 s[28:29], s[26:27]
	s_xor_b64 s[26:27], exec, s[28:29]
	s_cbranch_execz .LBB159_120
; %bb.119:                              ;   in Loop: Header=BB159_2 Depth=1
	v_lshlrev_b32_e32 v40, 3, v137
	ds_read_b64 v[40:41], v40 offset:8
.LBB159_120:                            ;   in Loop: Header=BB159_2 Depth=1
	s_or_saveexec_b64 s[26:27], s[26:27]
	v_mov_b64_e32 v[42:43], v[38:39]
	s_xor_b64 exec, exec, s[26:27]
	s_cbranch_execz .LBB159_122
; %bb.121:                              ;   in Loop: Header=BB159_2 Depth=1
	s_waitcnt lgkmcnt(0)
	v_lshlrev_b32_e32 v40, 3, v136
	ds_read_b64 v[42:43], v40 offset:8
	v_mov_b64_e32 v[40:41], v[36:37]
.LBB159_122:                            ;   in Loop: Header=BB159_2 Depth=1
	s_or_b64 exec, exec, s[26:27]
	v_add_u32_e32 v45, 1, v137
	v_add_u32_e32 v44, 1, v136
	v_cndmask_b32_e64 v139, v45, v137, s[24:25]
	v_cndmask_b32_e64 v138, v136, v44, s[24:25]
	v_cmp_ge_i32_e64 s[28:29], v139, v80
	s_waitcnt lgkmcnt(0)
	v_cmp_lt_i64_e64 s[30:31], v[42:43], v[40:41]
	v_cmp_lt_i32_e64 s[26:27], v138, v81
	s_or_b64 s[28:29], s[28:29], s[30:31]
	s_and_b64 s[26:27], s[26:27], s[28:29]
	s_xor_b64 s[28:29], s[26:27], -1
                                        ; implicit-def: $vgpr44_vgpr45
	s_and_saveexec_b64 s[30:31], s[28:29]
	s_xor_b64 s[28:29], exec, s[30:31]
	s_cbranch_execz .LBB159_124
; %bb.123:                              ;   in Loop: Header=BB159_2 Depth=1
	v_lshlrev_b32_e32 v44, 3, v139
	ds_read_b64 v[44:45], v44 offset:8
.LBB159_124:                            ;   in Loop: Header=BB159_2 Depth=1
	s_or_saveexec_b64 s[28:29], s[28:29]
	v_mov_b64_e32 v[48:49], v[42:43]
	s_xor_b64 exec, exec, s[28:29]
	s_cbranch_execz .LBB159_126
; %bb.125:                              ;   in Loop: Header=BB159_2 Depth=1
	s_waitcnt lgkmcnt(0)
	v_lshlrev_b32_e32 v44, 3, v138
	ds_read_b64 v[48:49], v44 offset:8
	v_mov_b64_e32 v[44:45], v[40:41]
.LBB159_126:                            ;   in Loop: Header=BB159_2 Depth=1
	s_or_b64 exec, exec, s[28:29]
	v_add_u32_e32 v47, 1, v139
	v_add_u32_e32 v46, 1, v138
	v_cndmask_b32_e64 v141, v47, v139, s[26:27]
	v_cndmask_b32_e64 v140, v138, v46, s[26:27]
	v_cmp_ge_i32_e64 s[30:31], v141, v80
	s_waitcnt lgkmcnt(0)
	v_cmp_lt_i64_e64 s[34:35], v[48:49], v[44:45]
	v_cmp_lt_i32_e64 s[28:29], v140, v81
	s_or_b64 s[30:31], s[30:31], s[34:35]
	s_and_b64 s[28:29], s[28:29], s[30:31]
	s_xor_b64 s[30:31], s[28:29], -1
                                        ; implicit-def: $vgpr46_vgpr47
	s_and_saveexec_b64 s[34:35], s[30:31]
	s_xor_b64 s[30:31], exec, s[34:35]
	s_cbranch_execz .LBB159_128
; %bb.127:                              ;   in Loop: Header=BB159_2 Depth=1
	v_lshlrev_b32_e32 v46, 3, v141
	ds_read_b64 v[46:47], v46 offset:8
.LBB159_128:                            ;   in Loop: Header=BB159_2 Depth=1
	s_or_saveexec_b64 s[30:31], s[30:31]
	v_mov_b64_e32 v[50:51], v[48:49]
	s_xor_b64 exec, exec, s[30:31]
	s_cbranch_execz .LBB159_130
; %bb.129:                              ;   in Loop: Header=BB159_2 Depth=1
	s_waitcnt lgkmcnt(0)
	v_lshlrev_b32_e32 v46, 3, v140
	ds_read_b64 v[50:51], v46 offset:8
	v_mov_b64_e32 v[46:47], v[44:45]
.LBB159_130:                            ;   in Loop: Header=BB159_2 Depth=1
	s_or_b64 exec, exec, s[30:31]
	v_cndmask_b32_e64 v45, v45, v49, s[28:29]
	v_add_u32_e32 v49, 1, v141
	v_cndmask_b32_e64 v44, v44, v48, s[28:29]
	v_add_u32_e32 v48, 1, v140
	v_cndmask_b32_e64 v49, v49, v141, s[28:29]
	v_cndmask_b32_e64 v48, v140, v48, s[28:29]
	;; [unrolled: 1-line block ×8, first 2 shown]
	v_cmp_ge_i32_e64 s[18:19], v49, v80
	s_waitcnt lgkmcnt(0)
	v_cmp_lt_i64_e64 s[20:21], v[50:51], v[46:47]
	v_cndmask_b32_e64 v21, v21, v23, s[16:17]
	v_cndmask_b32_e64 v20, v20, v22, s[16:17]
	;; [unrolled: 1-line block ×3, first 2 shown]
	v_cmp_lt_i32_e64 s[16:17], v48, v81
	s_or_b64 s[18:19], s[18:19], s[20:21]
	v_cndmask_b32_e64 v32, v32, v34, s[22:23]
	v_cndmask_b32_e64 v34, v135, v134, s[22:23]
	s_and_b64 s[16:17], s[16:17], s[18:19]
	v_cndmask_b32_e64 v140, v141, v140, s[28:29]
	v_cndmask_b32_e64 v40, v40, v42, s[26:27]
	;; [unrolled: 1-line block ×6, first 2 shown]
	s_barrier
	ds_write2_b64 v1, v[16:17], v[18:19] offset1:1
	ds_write2_b64 v1, v[10:11], v[14:15] offset0:2 offset1:3
	ds_write2_b64 v1, v[8:9], v[12:13] offset0:4 offset1:5
	;; [unrolled: 1-line block ×3, first 2 shown]
	v_lshlrev_b32_e32 v4, 3, v27
	v_lshlrev_b32_e32 v5, 3, v26
	;; [unrolled: 1-line block ×4, first 2 shown]
	s_waitcnt lgkmcnt(0)
	s_barrier
	ds_read_b64 v[16:17], v4
	ds_read_b64 v[18:19], v5
	;; [unrolled: 1-line block ×4, first 2 shown]
	v_lshlrev_b32_e32 v4, 3, v38
	v_lshlrev_b32_e32 v5, 3, v42
	;; [unrolled: 1-line block ×4, first 2 shown]
	ds_read_b64 v[8:9], v4
	ds_read_b64 v[12:13], v5
	;; [unrolled: 1-line block ×4, first 2 shown]
	v_cndmask_b32_e64 v41, v41, v43, s[26:27]
	v_cndmask_b32_e64 v37, v37, v39, s[24:25]
	;; [unrolled: 1-line block ×5, first 2 shown]
	s_waitcnt lgkmcnt(0)
	s_barrier
	ds_write2_b64 v1, v[20:21], v[24:25] offset1:1
	ds_write2_b64 v1, v[28:29], v[32:33] offset0:2 offset1:3
	ds_write2_b64 v1, v[36:37], v[40:41] offset0:4 offset1:5
	;; [unrolled: 1-line block ×3, first 2 shown]
	v_mov_b32_e32 v24, v93
	s_waitcnt lgkmcnt(0)
	s_barrier
	s_and_saveexec_b64 s[18:19], s[6:7]
	s_cbranch_execz .LBB159_134
; %bb.131:                              ;   in Loop: Header=BB159_2 Depth=1
	s_mov_b64 s[20:21], 0
	v_mov_b32_e32 v24, v93
	v_mov_b32_e32 v20, v94
.LBB159_132:                            ;   Parent Loop BB159_2 Depth=1
                                        ; =>  This Inner Loop Header: Depth=2
	v_sub_u32_e32 v21, v20, v24
	v_lshrrev_b32_e32 v22, 31, v21
	v_add_u32_e32 v21, v21, v22
	v_ashrrev_i32_e32 v21, 1, v21
	v_add_u32_e32 v21, v21, v24
	v_lshl_add_u32 v22, v21, 3, v91
	v_xad_u32 v23, v21, -1, v88
	v_lshl_add_u32 v25, v23, 3, v92
	ds_read_b64 v[22:23], v22
	ds_read_b64 v[26:27], v25
	v_add_u32_e32 v25, 1, v21
	s_waitcnt lgkmcnt(0)
	v_cmp_lt_i64_e64 s[16:17], v[26:27], v[22:23]
	s_nop 1
	v_cndmask_b32_e64 v20, v20, v21, s[16:17]
	v_cndmask_b32_e64 v24, v25, v24, s[16:17]
	v_cmp_ge_i32_e64 s[16:17], v24, v20
	s_or_b64 s[20:21], s[16:17], s[20:21]
	s_andn2_b64 exec, exec, s[20:21]
	s_cbranch_execnz .LBB159_132
; %bb.133:                              ;   in Loop: Header=BB159_2 Depth=1
	s_or_b64 exec, exec, s[20:21]
.LBB159_134:                            ;   in Loop: Header=BB159_2 Depth=1
	s_or_b64 exec, exec, s[18:19]
	v_sub_u32_e32 v128, v95, v24
	v_lshl_add_u32 v26, v24, 3, v91
	v_lshlrev_b32_e32 v28, 3, v128
	ds_read_b64 v[20:21], v26
	ds_read_b64 v[22:23], v28
	v_add_u32_e32 v129, v24, v87
	v_cmp_le_i32_e64 s[18:19], v89, v129
	v_cmp_gt_i32_e64 s[16:17], v90, v128
                                        ; implicit-def: $vgpr24_vgpr25
	s_waitcnt lgkmcnt(0)
	v_cmp_lt_i64_e64 s[20:21], v[22:23], v[20:21]
	s_or_b64 s[18:19], s[18:19], s[20:21]
	s_and_b64 s[16:17], s[16:17], s[18:19]
	s_xor_b64 s[18:19], s[16:17], -1
	s_and_saveexec_b64 s[20:21], s[18:19]
	s_xor_b64 s[18:19], exec, s[20:21]
	s_cbranch_execz .LBB159_136
; %bb.135:                              ;   in Loop: Header=BB159_2 Depth=1
	ds_read_b64 v[24:25], v26 offset:8
                                        ; implicit-def: $vgpr28
.LBB159_136:                            ;   in Loop: Header=BB159_2 Depth=1
	s_or_saveexec_b64 s[18:19], s[18:19]
	v_mov_b64_e32 v[26:27], v[22:23]
	s_xor_b64 exec, exec, s[18:19]
	s_cbranch_execz .LBB159_138
; %bb.137:                              ;   in Loop: Header=BB159_2 Depth=1
	ds_read_b64 v[26:27], v28 offset:8
	s_waitcnt lgkmcnt(1)
	v_mov_b64_e32 v[24:25], v[20:21]
.LBB159_138:                            ;   in Loop: Header=BB159_2 Depth=1
	s_or_b64 exec, exec, s[18:19]
	v_add_u32_e32 v29, 1, v129
	v_add_u32_e32 v28, 1, v128
	v_cndmask_b32_e64 v131, v29, v129, s[16:17]
	v_cndmask_b32_e64 v130, v128, v28, s[16:17]
	v_cmp_ge_i32_e64 s[20:21], v131, v89
	s_waitcnt lgkmcnt(0)
	v_cmp_lt_i64_e64 s[22:23], v[26:27], v[24:25]
	v_cmp_lt_i32_e64 s[18:19], v130, v90
	s_or_b64 s[20:21], s[20:21], s[22:23]
	s_and_b64 s[18:19], s[18:19], s[20:21]
	s_xor_b64 s[20:21], s[18:19], -1
                                        ; implicit-def: $vgpr28_vgpr29
	s_and_saveexec_b64 s[22:23], s[20:21]
	s_xor_b64 s[20:21], exec, s[22:23]
	s_cbranch_execz .LBB159_140
; %bb.139:                              ;   in Loop: Header=BB159_2 Depth=1
	v_lshlrev_b32_e32 v28, 3, v131
	ds_read_b64 v[28:29], v28 offset:8
.LBB159_140:                            ;   in Loop: Header=BB159_2 Depth=1
	s_or_saveexec_b64 s[20:21], s[20:21]
	v_mov_b64_e32 v[30:31], v[26:27]
	s_xor_b64 exec, exec, s[20:21]
	s_cbranch_execz .LBB159_142
; %bb.141:                              ;   in Loop: Header=BB159_2 Depth=1
	s_waitcnt lgkmcnt(0)
	v_lshlrev_b32_e32 v28, 3, v130
	ds_read_b64 v[30:31], v28 offset:8
	v_mov_b64_e32 v[28:29], v[24:25]
.LBB159_142:                            ;   in Loop: Header=BB159_2 Depth=1
	s_or_b64 exec, exec, s[20:21]
	v_add_u32_e32 v33, 1, v131
	v_add_u32_e32 v32, 1, v130
	v_cndmask_b32_e64 v133, v33, v131, s[18:19]
	v_cndmask_b32_e64 v132, v130, v32, s[18:19]
	v_cmp_ge_i32_e64 s[22:23], v133, v89
	s_waitcnt lgkmcnt(0)
	v_cmp_lt_i64_e64 s[24:25], v[30:31], v[28:29]
	v_cmp_lt_i32_e64 s[20:21], v132, v90
	s_or_b64 s[22:23], s[22:23], s[24:25]
	s_and_b64 s[20:21], s[20:21], s[22:23]
	s_xor_b64 s[22:23], s[20:21], -1
                                        ; implicit-def: $vgpr32_vgpr33
	s_and_saveexec_b64 s[24:25], s[22:23]
	s_xor_b64 s[22:23], exec, s[24:25]
	s_cbranch_execz .LBB159_144
; %bb.143:                              ;   in Loop: Header=BB159_2 Depth=1
	v_lshlrev_b32_e32 v32, 3, v133
	ds_read_b64 v[32:33], v32 offset:8
.LBB159_144:                            ;   in Loop: Header=BB159_2 Depth=1
	s_or_saveexec_b64 s[22:23], s[22:23]
	v_mov_b64_e32 v[34:35], v[30:31]
	s_xor_b64 exec, exec, s[22:23]
	s_cbranch_execz .LBB159_146
; %bb.145:                              ;   in Loop: Header=BB159_2 Depth=1
	s_waitcnt lgkmcnt(0)
	v_lshlrev_b32_e32 v32, 3, v132
	ds_read_b64 v[34:35], v32 offset:8
	v_mov_b64_e32 v[32:33], v[28:29]
.LBB159_146:                            ;   in Loop: Header=BB159_2 Depth=1
	s_or_b64 exec, exec, s[22:23]
	v_add_u32_e32 v37, 1, v133
	v_add_u32_e32 v36, 1, v132
	v_cndmask_b32_e64 v135, v37, v133, s[20:21]
	v_cndmask_b32_e64 v134, v132, v36, s[20:21]
	v_cmp_ge_i32_e64 s[24:25], v135, v89
	s_waitcnt lgkmcnt(0)
	v_cmp_lt_i64_e64 s[26:27], v[34:35], v[32:33]
	v_cmp_lt_i32_e64 s[22:23], v134, v90
	s_or_b64 s[24:25], s[24:25], s[26:27]
	s_and_b64 s[22:23], s[22:23], s[24:25]
	s_xor_b64 s[24:25], s[22:23], -1
                                        ; implicit-def: $vgpr36_vgpr37
	s_and_saveexec_b64 s[26:27], s[24:25]
	s_xor_b64 s[24:25], exec, s[26:27]
	s_cbranch_execz .LBB159_148
; %bb.147:                              ;   in Loop: Header=BB159_2 Depth=1
	v_lshlrev_b32_e32 v36, 3, v135
	ds_read_b64 v[36:37], v36 offset:8
.LBB159_148:                            ;   in Loop: Header=BB159_2 Depth=1
	s_or_saveexec_b64 s[24:25], s[24:25]
	v_mov_b64_e32 v[38:39], v[34:35]
	s_xor_b64 exec, exec, s[24:25]
	s_cbranch_execz .LBB159_150
; %bb.149:                              ;   in Loop: Header=BB159_2 Depth=1
	s_waitcnt lgkmcnt(0)
	v_lshlrev_b32_e32 v36, 3, v134
	ds_read_b64 v[38:39], v36 offset:8
	v_mov_b64_e32 v[36:37], v[32:33]
.LBB159_150:                            ;   in Loop: Header=BB159_2 Depth=1
	s_or_b64 exec, exec, s[24:25]
	v_add_u32_e32 v41, 1, v135
	v_add_u32_e32 v40, 1, v134
	v_cndmask_b32_e64 v137, v41, v135, s[22:23]
	v_cndmask_b32_e64 v136, v134, v40, s[22:23]
	v_cmp_ge_i32_e64 s[26:27], v137, v89
	s_waitcnt lgkmcnt(0)
	v_cmp_lt_i64_e64 s[28:29], v[38:39], v[36:37]
	v_cmp_lt_i32_e64 s[24:25], v136, v90
	s_or_b64 s[26:27], s[26:27], s[28:29]
	s_and_b64 s[24:25], s[24:25], s[26:27]
	s_xor_b64 s[26:27], s[24:25], -1
                                        ; implicit-def: $vgpr40_vgpr41
	s_and_saveexec_b64 s[28:29], s[26:27]
	s_xor_b64 s[26:27], exec, s[28:29]
	s_cbranch_execz .LBB159_152
; %bb.151:                              ;   in Loop: Header=BB159_2 Depth=1
	v_lshlrev_b32_e32 v40, 3, v137
	ds_read_b64 v[40:41], v40 offset:8
.LBB159_152:                            ;   in Loop: Header=BB159_2 Depth=1
	s_or_saveexec_b64 s[26:27], s[26:27]
	v_mov_b64_e32 v[42:43], v[38:39]
	s_xor_b64 exec, exec, s[26:27]
	s_cbranch_execz .LBB159_154
; %bb.153:                              ;   in Loop: Header=BB159_2 Depth=1
	s_waitcnt lgkmcnt(0)
	v_lshlrev_b32_e32 v40, 3, v136
	ds_read_b64 v[42:43], v40 offset:8
	v_mov_b64_e32 v[40:41], v[36:37]
.LBB159_154:                            ;   in Loop: Header=BB159_2 Depth=1
	s_or_b64 exec, exec, s[26:27]
	v_add_u32_e32 v45, 1, v137
	v_add_u32_e32 v44, 1, v136
	v_cndmask_b32_e64 v139, v45, v137, s[24:25]
	v_cndmask_b32_e64 v138, v136, v44, s[24:25]
	v_cmp_ge_i32_e64 s[28:29], v139, v89
	s_waitcnt lgkmcnt(0)
	v_cmp_lt_i64_e64 s[30:31], v[42:43], v[40:41]
	v_cmp_lt_i32_e64 s[26:27], v138, v90
	s_or_b64 s[28:29], s[28:29], s[30:31]
	s_and_b64 s[26:27], s[26:27], s[28:29]
	s_xor_b64 s[28:29], s[26:27], -1
                                        ; implicit-def: $vgpr44_vgpr45
	s_and_saveexec_b64 s[30:31], s[28:29]
	s_xor_b64 s[28:29], exec, s[30:31]
	s_cbranch_execz .LBB159_156
; %bb.155:                              ;   in Loop: Header=BB159_2 Depth=1
	v_lshlrev_b32_e32 v44, 3, v139
	ds_read_b64 v[44:45], v44 offset:8
.LBB159_156:                            ;   in Loop: Header=BB159_2 Depth=1
	s_or_saveexec_b64 s[28:29], s[28:29]
	v_mov_b64_e32 v[48:49], v[42:43]
	s_xor_b64 exec, exec, s[28:29]
	s_cbranch_execz .LBB159_158
; %bb.157:                              ;   in Loop: Header=BB159_2 Depth=1
	s_waitcnt lgkmcnt(0)
	v_lshlrev_b32_e32 v44, 3, v138
	ds_read_b64 v[48:49], v44 offset:8
	v_mov_b64_e32 v[44:45], v[40:41]
.LBB159_158:                            ;   in Loop: Header=BB159_2 Depth=1
	s_or_b64 exec, exec, s[28:29]
	v_add_u32_e32 v47, 1, v139
	v_add_u32_e32 v46, 1, v138
	v_cndmask_b32_e64 v141, v47, v139, s[26:27]
	v_cndmask_b32_e64 v140, v138, v46, s[26:27]
	v_cmp_ge_i32_e64 s[30:31], v141, v89
	s_waitcnt lgkmcnt(0)
	v_cmp_lt_i64_e64 s[34:35], v[48:49], v[44:45]
	v_cmp_lt_i32_e64 s[28:29], v140, v90
	s_or_b64 s[30:31], s[30:31], s[34:35]
	s_and_b64 s[28:29], s[28:29], s[30:31]
	s_xor_b64 s[30:31], s[28:29], -1
                                        ; implicit-def: $vgpr46_vgpr47
	s_and_saveexec_b64 s[34:35], s[30:31]
	s_xor_b64 s[30:31], exec, s[34:35]
	s_cbranch_execz .LBB159_160
; %bb.159:                              ;   in Loop: Header=BB159_2 Depth=1
	v_lshlrev_b32_e32 v46, 3, v141
	ds_read_b64 v[46:47], v46 offset:8
.LBB159_160:                            ;   in Loop: Header=BB159_2 Depth=1
	s_or_saveexec_b64 s[30:31], s[30:31]
	v_mov_b64_e32 v[50:51], v[48:49]
	s_xor_b64 exec, exec, s[30:31]
	s_cbranch_execz .LBB159_162
; %bb.161:                              ;   in Loop: Header=BB159_2 Depth=1
	s_waitcnt lgkmcnt(0)
	v_lshlrev_b32_e32 v46, 3, v140
	ds_read_b64 v[50:51], v46 offset:8
	v_mov_b64_e32 v[46:47], v[44:45]
.LBB159_162:                            ;   in Loop: Header=BB159_2 Depth=1
	s_or_b64 exec, exec, s[30:31]
	v_cndmask_b32_e64 v45, v45, v49, s[28:29]
	v_add_u32_e32 v49, 1, v141
	v_cndmask_b32_e64 v44, v44, v48, s[28:29]
	v_add_u32_e32 v48, 1, v140
	v_cndmask_b32_e64 v49, v49, v141, s[28:29]
	v_cndmask_b32_e64 v48, v140, v48, s[28:29]
	;; [unrolled: 1-line block ×8, first 2 shown]
	v_cmp_ge_i32_e64 s[18:19], v49, v89
	s_waitcnt lgkmcnt(0)
	v_cmp_lt_i64_e64 s[20:21], v[50:51], v[46:47]
	v_cndmask_b32_e64 v21, v21, v23, s[16:17]
	v_cndmask_b32_e64 v20, v20, v22, s[16:17]
	;; [unrolled: 1-line block ×3, first 2 shown]
	v_cmp_lt_i32_e64 s[16:17], v48, v90
	s_or_b64 s[18:19], s[18:19], s[20:21]
	v_cndmask_b32_e64 v32, v32, v34, s[22:23]
	v_cndmask_b32_e64 v34, v135, v134, s[22:23]
	s_and_b64 s[16:17], s[16:17], s[18:19]
	v_cndmask_b32_e64 v140, v141, v140, s[28:29]
	v_cndmask_b32_e64 v40, v40, v42, s[26:27]
	;; [unrolled: 1-line block ×6, first 2 shown]
	s_barrier
	ds_write2_b64 v1, v[16:17], v[18:19] offset1:1
	ds_write2_b64 v1, v[10:11], v[14:15] offset0:2 offset1:3
	ds_write2_b64 v1, v[8:9], v[12:13] offset0:4 offset1:5
	;; [unrolled: 1-line block ×3, first 2 shown]
	v_lshlrev_b32_e32 v4, 3, v27
	v_lshlrev_b32_e32 v5, 3, v26
	;; [unrolled: 1-line block ×4, first 2 shown]
	s_waitcnt lgkmcnt(0)
	s_barrier
	ds_read_b64 v[16:17], v4
	ds_read_b64 v[18:19], v5
	;; [unrolled: 1-line block ×4, first 2 shown]
	v_lshlrev_b32_e32 v4, 3, v38
	v_lshlrev_b32_e32 v5, 3, v42
	;; [unrolled: 1-line block ×4, first 2 shown]
	ds_read_b64 v[8:9], v4
	ds_read_b64 v[12:13], v5
	;; [unrolled: 1-line block ×4, first 2 shown]
	v_cndmask_b32_e64 v41, v41, v43, s[26:27]
	v_cndmask_b32_e64 v37, v37, v39, s[24:25]
	;; [unrolled: 1-line block ×5, first 2 shown]
	s_waitcnt lgkmcnt(0)
	s_barrier
	ds_write2_b64 v1, v[20:21], v[24:25] offset1:1
	ds_write2_b64 v1, v[28:29], v[32:33] offset0:2 offset1:3
	ds_write2_b64 v1, v[36:37], v[40:41] offset0:4 offset1:5
	;; [unrolled: 1-line block ×3, first 2 shown]
	v_mov_b32_e32 v24, v102
	s_waitcnt lgkmcnt(0)
	s_barrier
	s_and_saveexec_b64 s[18:19], s[8:9]
	s_cbranch_execz .LBB159_166
; %bb.163:                              ;   in Loop: Header=BB159_2 Depth=1
	s_mov_b64 s[20:21], 0
	v_mov_b32_e32 v24, v102
	v_mov_b32_e32 v20, v103
.LBB159_164:                            ;   Parent Loop BB159_2 Depth=1
                                        ; =>  This Inner Loop Header: Depth=2
	v_sub_u32_e32 v21, v20, v24
	v_lshrrev_b32_e32 v22, 31, v21
	v_add_u32_e32 v21, v21, v22
	v_ashrrev_i32_e32 v21, 1, v21
	v_add_u32_e32 v21, v21, v24
	v_lshl_add_u32 v22, v21, 3, v100
	v_xad_u32 v23, v21, -1, v97
	v_lshl_add_u32 v25, v23, 3, v101
	ds_read_b64 v[22:23], v22
	ds_read_b64 v[26:27], v25
	v_add_u32_e32 v25, 1, v21
	s_waitcnt lgkmcnt(0)
	v_cmp_lt_i64_e64 s[16:17], v[26:27], v[22:23]
	s_nop 1
	v_cndmask_b32_e64 v20, v20, v21, s[16:17]
	v_cndmask_b32_e64 v24, v25, v24, s[16:17]
	v_cmp_ge_i32_e64 s[16:17], v24, v20
	s_or_b64 s[20:21], s[16:17], s[20:21]
	s_andn2_b64 exec, exec, s[20:21]
	s_cbranch_execnz .LBB159_164
; %bb.165:                              ;   in Loop: Header=BB159_2 Depth=1
	s_or_b64 exec, exec, s[20:21]
.LBB159_166:                            ;   in Loop: Header=BB159_2 Depth=1
	s_or_b64 exec, exec, s[18:19]
	v_sub_u32_e32 v128, v104, v24
	v_lshl_add_u32 v26, v24, 3, v100
	v_lshlrev_b32_e32 v28, 3, v128
	ds_read_b64 v[20:21], v26
	ds_read_b64 v[22:23], v28
	v_add_u32_e32 v129, v24, v96
	v_cmp_le_i32_e64 s[18:19], v98, v129
	v_cmp_gt_i32_e64 s[16:17], v99, v128
                                        ; implicit-def: $vgpr24_vgpr25
	s_waitcnt lgkmcnt(0)
	v_cmp_lt_i64_e64 s[20:21], v[22:23], v[20:21]
	s_or_b64 s[18:19], s[18:19], s[20:21]
	s_and_b64 s[16:17], s[16:17], s[18:19]
	s_xor_b64 s[18:19], s[16:17], -1
	s_and_saveexec_b64 s[20:21], s[18:19]
	s_xor_b64 s[18:19], exec, s[20:21]
	s_cbranch_execz .LBB159_168
; %bb.167:                              ;   in Loop: Header=BB159_2 Depth=1
	ds_read_b64 v[24:25], v26 offset:8
                                        ; implicit-def: $vgpr28
.LBB159_168:                            ;   in Loop: Header=BB159_2 Depth=1
	s_or_saveexec_b64 s[18:19], s[18:19]
	v_mov_b64_e32 v[26:27], v[22:23]
	s_xor_b64 exec, exec, s[18:19]
	s_cbranch_execz .LBB159_170
; %bb.169:                              ;   in Loop: Header=BB159_2 Depth=1
	ds_read_b64 v[26:27], v28 offset:8
	s_waitcnt lgkmcnt(1)
	v_mov_b64_e32 v[24:25], v[20:21]
.LBB159_170:                            ;   in Loop: Header=BB159_2 Depth=1
	s_or_b64 exec, exec, s[18:19]
	v_add_u32_e32 v29, 1, v129
	v_add_u32_e32 v28, 1, v128
	v_cndmask_b32_e64 v131, v29, v129, s[16:17]
	v_cndmask_b32_e64 v130, v128, v28, s[16:17]
	v_cmp_ge_i32_e64 s[20:21], v131, v98
	s_waitcnt lgkmcnt(0)
	v_cmp_lt_i64_e64 s[22:23], v[26:27], v[24:25]
	v_cmp_lt_i32_e64 s[18:19], v130, v99
	s_or_b64 s[20:21], s[20:21], s[22:23]
	s_and_b64 s[18:19], s[18:19], s[20:21]
	s_xor_b64 s[20:21], s[18:19], -1
                                        ; implicit-def: $vgpr28_vgpr29
	s_and_saveexec_b64 s[22:23], s[20:21]
	s_xor_b64 s[20:21], exec, s[22:23]
	s_cbranch_execz .LBB159_172
; %bb.171:                              ;   in Loop: Header=BB159_2 Depth=1
	v_lshlrev_b32_e32 v28, 3, v131
	ds_read_b64 v[28:29], v28 offset:8
.LBB159_172:                            ;   in Loop: Header=BB159_2 Depth=1
	s_or_saveexec_b64 s[20:21], s[20:21]
	v_mov_b64_e32 v[30:31], v[26:27]
	s_xor_b64 exec, exec, s[20:21]
	s_cbranch_execz .LBB159_174
; %bb.173:                              ;   in Loop: Header=BB159_2 Depth=1
	s_waitcnt lgkmcnt(0)
	v_lshlrev_b32_e32 v28, 3, v130
	ds_read_b64 v[30:31], v28 offset:8
	v_mov_b64_e32 v[28:29], v[24:25]
.LBB159_174:                            ;   in Loop: Header=BB159_2 Depth=1
	s_or_b64 exec, exec, s[20:21]
	v_add_u32_e32 v33, 1, v131
	v_add_u32_e32 v32, 1, v130
	v_cndmask_b32_e64 v133, v33, v131, s[18:19]
	v_cndmask_b32_e64 v132, v130, v32, s[18:19]
	v_cmp_ge_i32_e64 s[22:23], v133, v98
	s_waitcnt lgkmcnt(0)
	v_cmp_lt_i64_e64 s[24:25], v[30:31], v[28:29]
	v_cmp_lt_i32_e64 s[20:21], v132, v99
	s_or_b64 s[22:23], s[22:23], s[24:25]
	s_and_b64 s[20:21], s[20:21], s[22:23]
	s_xor_b64 s[22:23], s[20:21], -1
                                        ; implicit-def: $vgpr32_vgpr33
	s_and_saveexec_b64 s[24:25], s[22:23]
	s_xor_b64 s[22:23], exec, s[24:25]
	s_cbranch_execz .LBB159_176
; %bb.175:                              ;   in Loop: Header=BB159_2 Depth=1
	v_lshlrev_b32_e32 v32, 3, v133
	ds_read_b64 v[32:33], v32 offset:8
.LBB159_176:                            ;   in Loop: Header=BB159_2 Depth=1
	s_or_saveexec_b64 s[22:23], s[22:23]
	v_mov_b64_e32 v[34:35], v[30:31]
	s_xor_b64 exec, exec, s[22:23]
	s_cbranch_execz .LBB159_178
; %bb.177:                              ;   in Loop: Header=BB159_2 Depth=1
	s_waitcnt lgkmcnt(0)
	v_lshlrev_b32_e32 v32, 3, v132
	ds_read_b64 v[34:35], v32 offset:8
	v_mov_b64_e32 v[32:33], v[28:29]
.LBB159_178:                            ;   in Loop: Header=BB159_2 Depth=1
	s_or_b64 exec, exec, s[22:23]
	v_add_u32_e32 v37, 1, v133
	v_add_u32_e32 v36, 1, v132
	v_cndmask_b32_e64 v135, v37, v133, s[20:21]
	v_cndmask_b32_e64 v134, v132, v36, s[20:21]
	v_cmp_ge_i32_e64 s[24:25], v135, v98
	s_waitcnt lgkmcnt(0)
	v_cmp_lt_i64_e64 s[26:27], v[34:35], v[32:33]
	v_cmp_lt_i32_e64 s[22:23], v134, v99
	s_or_b64 s[24:25], s[24:25], s[26:27]
	s_and_b64 s[22:23], s[22:23], s[24:25]
	s_xor_b64 s[24:25], s[22:23], -1
                                        ; implicit-def: $vgpr36_vgpr37
	s_and_saveexec_b64 s[26:27], s[24:25]
	s_xor_b64 s[24:25], exec, s[26:27]
	s_cbranch_execz .LBB159_180
; %bb.179:                              ;   in Loop: Header=BB159_2 Depth=1
	v_lshlrev_b32_e32 v36, 3, v135
	ds_read_b64 v[36:37], v36 offset:8
.LBB159_180:                            ;   in Loop: Header=BB159_2 Depth=1
	s_or_saveexec_b64 s[24:25], s[24:25]
	v_mov_b64_e32 v[38:39], v[34:35]
	s_xor_b64 exec, exec, s[24:25]
	s_cbranch_execz .LBB159_182
; %bb.181:                              ;   in Loop: Header=BB159_2 Depth=1
	s_waitcnt lgkmcnt(0)
	v_lshlrev_b32_e32 v36, 3, v134
	ds_read_b64 v[38:39], v36 offset:8
	v_mov_b64_e32 v[36:37], v[32:33]
.LBB159_182:                            ;   in Loop: Header=BB159_2 Depth=1
	s_or_b64 exec, exec, s[24:25]
	v_add_u32_e32 v41, 1, v135
	v_add_u32_e32 v40, 1, v134
	v_cndmask_b32_e64 v137, v41, v135, s[22:23]
	v_cndmask_b32_e64 v136, v134, v40, s[22:23]
	v_cmp_ge_i32_e64 s[26:27], v137, v98
	s_waitcnt lgkmcnt(0)
	v_cmp_lt_i64_e64 s[28:29], v[38:39], v[36:37]
	v_cmp_lt_i32_e64 s[24:25], v136, v99
	s_or_b64 s[26:27], s[26:27], s[28:29]
	s_and_b64 s[24:25], s[24:25], s[26:27]
	s_xor_b64 s[26:27], s[24:25], -1
                                        ; implicit-def: $vgpr40_vgpr41
	s_and_saveexec_b64 s[28:29], s[26:27]
	s_xor_b64 s[26:27], exec, s[28:29]
	s_cbranch_execz .LBB159_184
; %bb.183:                              ;   in Loop: Header=BB159_2 Depth=1
	v_lshlrev_b32_e32 v40, 3, v137
	ds_read_b64 v[40:41], v40 offset:8
.LBB159_184:                            ;   in Loop: Header=BB159_2 Depth=1
	s_or_saveexec_b64 s[26:27], s[26:27]
	v_mov_b64_e32 v[42:43], v[38:39]
	s_xor_b64 exec, exec, s[26:27]
	s_cbranch_execz .LBB159_186
; %bb.185:                              ;   in Loop: Header=BB159_2 Depth=1
	s_waitcnt lgkmcnt(0)
	v_lshlrev_b32_e32 v40, 3, v136
	ds_read_b64 v[42:43], v40 offset:8
	v_mov_b64_e32 v[40:41], v[36:37]
.LBB159_186:                            ;   in Loop: Header=BB159_2 Depth=1
	s_or_b64 exec, exec, s[26:27]
	v_add_u32_e32 v45, 1, v137
	v_add_u32_e32 v44, 1, v136
	v_cndmask_b32_e64 v139, v45, v137, s[24:25]
	v_cndmask_b32_e64 v138, v136, v44, s[24:25]
	v_cmp_ge_i32_e64 s[28:29], v139, v98
	s_waitcnt lgkmcnt(0)
	v_cmp_lt_i64_e64 s[30:31], v[42:43], v[40:41]
	v_cmp_lt_i32_e64 s[26:27], v138, v99
	s_or_b64 s[28:29], s[28:29], s[30:31]
	s_and_b64 s[26:27], s[26:27], s[28:29]
	s_xor_b64 s[28:29], s[26:27], -1
                                        ; implicit-def: $vgpr44_vgpr45
	s_and_saveexec_b64 s[30:31], s[28:29]
	s_xor_b64 s[28:29], exec, s[30:31]
	s_cbranch_execz .LBB159_188
; %bb.187:                              ;   in Loop: Header=BB159_2 Depth=1
	v_lshlrev_b32_e32 v44, 3, v139
	ds_read_b64 v[44:45], v44 offset:8
.LBB159_188:                            ;   in Loop: Header=BB159_2 Depth=1
	s_or_saveexec_b64 s[28:29], s[28:29]
	v_mov_b64_e32 v[48:49], v[42:43]
	s_xor_b64 exec, exec, s[28:29]
	s_cbranch_execz .LBB159_190
; %bb.189:                              ;   in Loop: Header=BB159_2 Depth=1
	s_waitcnt lgkmcnt(0)
	v_lshlrev_b32_e32 v44, 3, v138
	ds_read_b64 v[48:49], v44 offset:8
	v_mov_b64_e32 v[44:45], v[40:41]
.LBB159_190:                            ;   in Loop: Header=BB159_2 Depth=1
	s_or_b64 exec, exec, s[28:29]
	v_add_u32_e32 v47, 1, v139
	v_add_u32_e32 v46, 1, v138
	v_cndmask_b32_e64 v141, v47, v139, s[26:27]
	v_cndmask_b32_e64 v140, v138, v46, s[26:27]
	v_cmp_ge_i32_e64 s[30:31], v141, v98
	s_waitcnt lgkmcnt(0)
	v_cmp_lt_i64_e64 s[34:35], v[48:49], v[44:45]
	v_cmp_lt_i32_e64 s[28:29], v140, v99
	s_or_b64 s[30:31], s[30:31], s[34:35]
	s_and_b64 s[28:29], s[28:29], s[30:31]
	s_xor_b64 s[30:31], s[28:29], -1
                                        ; implicit-def: $vgpr46_vgpr47
	s_and_saveexec_b64 s[34:35], s[30:31]
	s_xor_b64 s[30:31], exec, s[34:35]
	s_cbranch_execz .LBB159_192
; %bb.191:                              ;   in Loop: Header=BB159_2 Depth=1
	v_lshlrev_b32_e32 v46, 3, v141
	ds_read_b64 v[46:47], v46 offset:8
.LBB159_192:                            ;   in Loop: Header=BB159_2 Depth=1
	s_or_saveexec_b64 s[30:31], s[30:31]
	v_mov_b64_e32 v[50:51], v[48:49]
	s_xor_b64 exec, exec, s[30:31]
	s_cbranch_execz .LBB159_194
; %bb.193:                              ;   in Loop: Header=BB159_2 Depth=1
	s_waitcnt lgkmcnt(0)
	v_lshlrev_b32_e32 v46, 3, v140
	ds_read_b64 v[50:51], v46 offset:8
	v_mov_b64_e32 v[46:47], v[44:45]
.LBB159_194:                            ;   in Loop: Header=BB159_2 Depth=1
	s_or_b64 exec, exec, s[30:31]
	v_cndmask_b32_e64 v45, v45, v49, s[28:29]
	v_add_u32_e32 v49, 1, v141
	v_cndmask_b32_e64 v44, v44, v48, s[28:29]
	v_add_u32_e32 v48, 1, v140
	v_cndmask_b32_e64 v49, v49, v141, s[28:29]
	v_cndmask_b32_e64 v48, v140, v48, s[28:29]
	;; [unrolled: 1-line block ×8, first 2 shown]
	v_cmp_ge_i32_e64 s[18:19], v49, v98
	s_waitcnt lgkmcnt(0)
	v_cmp_lt_i64_e64 s[20:21], v[50:51], v[46:47]
	v_cndmask_b32_e64 v21, v21, v23, s[16:17]
	v_cndmask_b32_e64 v20, v20, v22, s[16:17]
	;; [unrolled: 1-line block ×3, first 2 shown]
	v_cmp_lt_i32_e64 s[16:17], v48, v99
	s_or_b64 s[18:19], s[18:19], s[20:21]
	v_cndmask_b32_e64 v32, v32, v34, s[22:23]
	v_cndmask_b32_e64 v34, v135, v134, s[22:23]
	s_and_b64 s[16:17], s[16:17], s[18:19]
	v_cndmask_b32_e64 v140, v141, v140, s[28:29]
	v_cndmask_b32_e64 v40, v40, v42, s[26:27]
	;; [unrolled: 1-line block ×6, first 2 shown]
	s_barrier
	ds_write2_b64 v1, v[16:17], v[18:19] offset1:1
	ds_write2_b64 v1, v[10:11], v[14:15] offset0:2 offset1:3
	ds_write2_b64 v1, v[8:9], v[12:13] offset0:4 offset1:5
	;; [unrolled: 1-line block ×3, first 2 shown]
	v_lshlrev_b32_e32 v4, 3, v27
	v_lshlrev_b32_e32 v5, 3, v26
	;; [unrolled: 1-line block ×4, first 2 shown]
	s_waitcnt lgkmcnt(0)
	s_barrier
	ds_read_b64 v[16:17], v4
	ds_read_b64 v[18:19], v5
	;; [unrolled: 1-line block ×4, first 2 shown]
	v_lshlrev_b32_e32 v4, 3, v38
	v_lshlrev_b32_e32 v5, 3, v42
	;; [unrolled: 1-line block ×4, first 2 shown]
	ds_read_b64 v[8:9], v4
	ds_read_b64 v[12:13], v5
	;; [unrolled: 1-line block ×4, first 2 shown]
	v_cndmask_b32_e64 v41, v41, v43, s[26:27]
	v_cndmask_b32_e64 v37, v37, v39, s[24:25]
	;; [unrolled: 1-line block ×5, first 2 shown]
	s_waitcnt lgkmcnt(0)
	s_barrier
	ds_write2_b64 v1, v[20:21], v[24:25] offset1:1
	ds_write2_b64 v1, v[28:29], v[32:33] offset0:2 offset1:3
	ds_write2_b64 v1, v[36:37], v[40:41] offset0:4 offset1:5
	;; [unrolled: 1-line block ×3, first 2 shown]
	v_mov_b32_e32 v24, v111
	s_waitcnt lgkmcnt(0)
	s_barrier
	s_and_saveexec_b64 s[18:19], s[10:11]
	s_cbranch_execz .LBB159_198
; %bb.195:                              ;   in Loop: Header=BB159_2 Depth=1
	s_mov_b64 s[20:21], 0
	v_mov_b32_e32 v24, v111
	v_mov_b32_e32 v20, v112
.LBB159_196:                            ;   Parent Loop BB159_2 Depth=1
                                        ; =>  This Inner Loop Header: Depth=2
	v_sub_u32_e32 v21, v20, v24
	v_lshrrev_b32_e32 v22, 31, v21
	v_add_u32_e32 v21, v21, v22
	v_ashrrev_i32_e32 v21, 1, v21
	v_add_u32_e32 v21, v21, v24
	v_lshl_add_u32 v22, v21, 3, v109
	v_xad_u32 v23, v21, -1, v106
	v_lshl_add_u32 v25, v23, 3, v110
	ds_read_b64 v[22:23], v22
	ds_read_b64 v[26:27], v25
	v_add_u32_e32 v25, 1, v21
	s_waitcnt lgkmcnt(0)
	v_cmp_lt_i64_e64 s[16:17], v[26:27], v[22:23]
	s_nop 1
	v_cndmask_b32_e64 v20, v20, v21, s[16:17]
	v_cndmask_b32_e64 v24, v25, v24, s[16:17]
	v_cmp_ge_i32_e64 s[16:17], v24, v20
	s_or_b64 s[20:21], s[16:17], s[20:21]
	s_andn2_b64 exec, exec, s[20:21]
	s_cbranch_execnz .LBB159_196
; %bb.197:                              ;   in Loop: Header=BB159_2 Depth=1
	s_or_b64 exec, exec, s[20:21]
.LBB159_198:                            ;   in Loop: Header=BB159_2 Depth=1
	s_or_b64 exec, exec, s[18:19]
	v_sub_u32_e32 v128, v113, v24
	v_lshl_add_u32 v26, v24, 3, v109
	v_lshlrev_b32_e32 v28, 3, v128
	ds_read_b64 v[20:21], v26
	ds_read_b64 v[22:23], v28
	v_add_u32_e32 v129, v24, v105
	v_cmp_le_i32_e64 s[18:19], v107, v129
	v_cmp_gt_i32_e64 s[16:17], v108, v128
                                        ; implicit-def: $vgpr24_vgpr25
	s_waitcnt lgkmcnt(0)
	v_cmp_lt_i64_e64 s[20:21], v[22:23], v[20:21]
	s_or_b64 s[18:19], s[18:19], s[20:21]
	s_and_b64 s[16:17], s[16:17], s[18:19]
	s_xor_b64 s[18:19], s[16:17], -1
	s_and_saveexec_b64 s[20:21], s[18:19]
	s_xor_b64 s[18:19], exec, s[20:21]
	s_cbranch_execz .LBB159_200
; %bb.199:                              ;   in Loop: Header=BB159_2 Depth=1
	ds_read_b64 v[24:25], v26 offset:8
                                        ; implicit-def: $vgpr28
.LBB159_200:                            ;   in Loop: Header=BB159_2 Depth=1
	s_or_saveexec_b64 s[18:19], s[18:19]
	v_mov_b64_e32 v[26:27], v[22:23]
	s_xor_b64 exec, exec, s[18:19]
	s_cbranch_execz .LBB159_202
; %bb.201:                              ;   in Loop: Header=BB159_2 Depth=1
	ds_read_b64 v[26:27], v28 offset:8
	s_waitcnt lgkmcnt(1)
	v_mov_b64_e32 v[24:25], v[20:21]
.LBB159_202:                            ;   in Loop: Header=BB159_2 Depth=1
	s_or_b64 exec, exec, s[18:19]
	v_add_u32_e32 v29, 1, v129
	v_add_u32_e32 v28, 1, v128
	v_cndmask_b32_e64 v131, v29, v129, s[16:17]
	v_cndmask_b32_e64 v130, v128, v28, s[16:17]
	v_cmp_ge_i32_e64 s[20:21], v131, v107
	s_waitcnt lgkmcnt(0)
	v_cmp_lt_i64_e64 s[22:23], v[26:27], v[24:25]
	v_cmp_lt_i32_e64 s[18:19], v130, v108
	s_or_b64 s[20:21], s[20:21], s[22:23]
	s_and_b64 s[18:19], s[18:19], s[20:21]
	s_xor_b64 s[20:21], s[18:19], -1
                                        ; implicit-def: $vgpr28_vgpr29
	s_and_saveexec_b64 s[22:23], s[20:21]
	s_xor_b64 s[20:21], exec, s[22:23]
	s_cbranch_execz .LBB159_204
; %bb.203:                              ;   in Loop: Header=BB159_2 Depth=1
	v_lshlrev_b32_e32 v28, 3, v131
	ds_read_b64 v[28:29], v28 offset:8
.LBB159_204:                            ;   in Loop: Header=BB159_2 Depth=1
	s_or_saveexec_b64 s[20:21], s[20:21]
	v_mov_b64_e32 v[30:31], v[26:27]
	s_xor_b64 exec, exec, s[20:21]
	s_cbranch_execz .LBB159_206
; %bb.205:                              ;   in Loop: Header=BB159_2 Depth=1
	s_waitcnt lgkmcnt(0)
	v_lshlrev_b32_e32 v28, 3, v130
	ds_read_b64 v[30:31], v28 offset:8
	v_mov_b64_e32 v[28:29], v[24:25]
.LBB159_206:                            ;   in Loop: Header=BB159_2 Depth=1
	s_or_b64 exec, exec, s[20:21]
	v_add_u32_e32 v33, 1, v131
	v_add_u32_e32 v32, 1, v130
	v_cndmask_b32_e64 v133, v33, v131, s[18:19]
	v_cndmask_b32_e64 v132, v130, v32, s[18:19]
	v_cmp_ge_i32_e64 s[22:23], v133, v107
	s_waitcnt lgkmcnt(0)
	v_cmp_lt_i64_e64 s[24:25], v[30:31], v[28:29]
	v_cmp_lt_i32_e64 s[20:21], v132, v108
	s_or_b64 s[22:23], s[22:23], s[24:25]
	s_and_b64 s[20:21], s[20:21], s[22:23]
	s_xor_b64 s[22:23], s[20:21], -1
                                        ; implicit-def: $vgpr32_vgpr33
	s_and_saveexec_b64 s[24:25], s[22:23]
	s_xor_b64 s[22:23], exec, s[24:25]
	s_cbranch_execz .LBB159_208
; %bb.207:                              ;   in Loop: Header=BB159_2 Depth=1
	v_lshlrev_b32_e32 v32, 3, v133
	ds_read_b64 v[32:33], v32 offset:8
.LBB159_208:                            ;   in Loop: Header=BB159_2 Depth=1
	s_or_saveexec_b64 s[22:23], s[22:23]
	v_mov_b64_e32 v[34:35], v[30:31]
	s_xor_b64 exec, exec, s[22:23]
	s_cbranch_execz .LBB159_210
; %bb.209:                              ;   in Loop: Header=BB159_2 Depth=1
	s_waitcnt lgkmcnt(0)
	v_lshlrev_b32_e32 v32, 3, v132
	ds_read_b64 v[34:35], v32 offset:8
	v_mov_b64_e32 v[32:33], v[28:29]
.LBB159_210:                            ;   in Loop: Header=BB159_2 Depth=1
	s_or_b64 exec, exec, s[22:23]
	v_add_u32_e32 v37, 1, v133
	v_add_u32_e32 v36, 1, v132
	v_cndmask_b32_e64 v135, v37, v133, s[20:21]
	v_cndmask_b32_e64 v134, v132, v36, s[20:21]
	v_cmp_ge_i32_e64 s[24:25], v135, v107
	s_waitcnt lgkmcnt(0)
	v_cmp_lt_i64_e64 s[26:27], v[34:35], v[32:33]
	v_cmp_lt_i32_e64 s[22:23], v134, v108
	s_or_b64 s[24:25], s[24:25], s[26:27]
	s_and_b64 s[22:23], s[22:23], s[24:25]
	s_xor_b64 s[24:25], s[22:23], -1
                                        ; implicit-def: $vgpr36_vgpr37
	s_and_saveexec_b64 s[26:27], s[24:25]
	s_xor_b64 s[24:25], exec, s[26:27]
	s_cbranch_execz .LBB159_212
; %bb.211:                              ;   in Loop: Header=BB159_2 Depth=1
	v_lshlrev_b32_e32 v36, 3, v135
	ds_read_b64 v[36:37], v36 offset:8
.LBB159_212:                            ;   in Loop: Header=BB159_2 Depth=1
	s_or_saveexec_b64 s[24:25], s[24:25]
	v_mov_b64_e32 v[38:39], v[34:35]
	s_xor_b64 exec, exec, s[24:25]
	s_cbranch_execz .LBB159_214
; %bb.213:                              ;   in Loop: Header=BB159_2 Depth=1
	s_waitcnt lgkmcnt(0)
	v_lshlrev_b32_e32 v36, 3, v134
	ds_read_b64 v[38:39], v36 offset:8
	v_mov_b64_e32 v[36:37], v[32:33]
.LBB159_214:                            ;   in Loop: Header=BB159_2 Depth=1
	s_or_b64 exec, exec, s[24:25]
	v_add_u32_e32 v41, 1, v135
	v_add_u32_e32 v40, 1, v134
	v_cndmask_b32_e64 v137, v41, v135, s[22:23]
	v_cndmask_b32_e64 v136, v134, v40, s[22:23]
	v_cmp_ge_i32_e64 s[26:27], v137, v107
	s_waitcnt lgkmcnt(0)
	v_cmp_lt_i64_e64 s[28:29], v[38:39], v[36:37]
	v_cmp_lt_i32_e64 s[24:25], v136, v108
	s_or_b64 s[26:27], s[26:27], s[28:29]
	s_and_b64 s[24:25], s[24:25], s[26:27]
	s_xor_b64 s[26:27], s[24:25], -1
                                        ; implicit-def: $vgpr40_vgpr41
	s_and_saveexec_b64 s[28:29], s[26:27]
	s_xor_b64 s[26:27], exec, s[28:29]
	s_cbranch_execz .LBB159_216
; %bb.215:                              ;   in Loop: Header=BB159_2 Depth=1
	v_lshlrev_b32_e32 v40, 3, v137
	ds_read_b64 v[40:41], v40 offset:8
.LBB159_216:                            ;   in Loop: Header=BB159_2 Depth=1
	s_or_saveexec_b64 s[26:27], s[26:27]
	v_mov_b64_e32 v[42:43], v[38:39]
	s_xor_b64 exec, exec, s[26:27]
	s_cbranch_execz .LBB159_218
; %bb.217:                              ;   in Loop: Header=BB159_2 Depth=1
	s_waitcnt lgkmcnt(0)
	v_lshlrev_b32_e32 v40, 3, v136
	ds_read_b64 v[42:43], v40 offset:8
	v_mov_b64_e32 v[40:41], v[36:37]
.LBB159_218:                            ;   in Loop: Header=BB159_2 Depth=1
	s_or_b64 exec, exec, s[26:27]
	v_add_u32_e32 v45, 1, v137
	v_add_u32_e32 v44, 1, v136
	v_cndmask_b32_e64 v139, v45, v137, s[24:25]
	v_cndmask_b32_e64 v138, v136, v44, s[24:25]
	v_cmp_ge_i32_e64 s[28:29], v139, v107
	s_waitcnt lgkmcnt(0)
	v_cmp_lt_i64_e64 s[30:31], v[42:43], v[40:41]
	v_cmp_lt_i32_e64 s[26:27], v138, v108
	s_or_b64 s[28:29], s[28:29], s[30:31]
	s_and_b64 s[26:27], s[26:27], s[28:29]
	s_xor_b64 s[28:29], s[26:27], -1
                                        ; implicit-def: $vgpr44_vgpr45
	s_and_saveexec_b64 s[30:31], s[28:29]
	s_xor_b64 s[28:29], exec, s[30:31]
	s_cbranch_execz .LBB159_220
; %bb.219:                              ;   in Loop: Header=BB159_2 Depth=1
	v_lshlrev_b32_e32 v44, 3, v139
	ds_read_b64 v[44:45], v44 offset:8
.LBB159_220:                            ;   in Loop: Header=BB159_2 Depth=1
	s_or_saveexec_b64 s[28:29], s[28:29]
	v_mov_b64_e32 v[48:49], v[42:43]
	s_xor_b64 exec, exec, s[28:29]
	s_cbranch_execz .LBB159_222
; %bb.221:                              ;   in Loop: Header=BB159_2 Depth=1
	s_waitcnt lgkmcnt(0)
	v_lshlrev_b32_e32 v44, 3, v138
	ds_read_b64 v[48:49], v44 offset:8
	v_mov_b64_e32 v[44:45], v[40:41]
.LBB159_222:                            ;   in Loop: Header=BB159_2 Depth=1
	s_or_b64 exec, exec, s[28:29]
	v_add_u32_e32 v47, 1, v139
	v_add_u32_e32 v46, 1, v138
	v_cndmask_b32_e64 v141, v47, v139, s[26:27]
	v_cndmask_b32_e64 v140, v138, v46, s[26:27]
	v_cmp_ge_i32_e64 s[30:31], v141, v107
	s_waitcnt lgkmcnt(0)
	v_cmp_lt_i64_e64 s[34:35], v[48:49], v[44:45]
	v_cmp_lt_i32_e64 s[28:29], v140, v108
	s_or_b64 s[30:31], s[30:31], s[34:35]
	s_and_b64 s[28:29], s[28:29], s[30:31]
	s_xor_b64 s[30:31], s[28:29], -1
                                        ; implicit-def: $vgpr46_vgpr47
	s_and_saveexec_b64 s[34:35], s[30:31]
	s_xor_b64 s[30:31], exec, s[34:35]
	s_cbranch_execz .LBB159_224
; %bb.223:                              ;   in Loop: Header=BB159_2 Depth=1
	v_lshlrev_b32_e32 v46, 3, v141
	ds_read_b64 v[46:47], v46 offset:8
.LBB159_224:                            ;   in Loop: Header=BB159_2 Depth=1
	s_or_saveexec_b64 s[30:31], s[30:31]
	v_mov_b64_e32 v[50:51], v[48:49]
	s_xor_b64 exec, exec, s[30:31]
	s_cbranch_execz .LBB159_226
; %bb.225:                              ;   in Loop: Header=BB159_2 Depth=1
	s_waitcnt lgkmcnt(0)
	v_lshlrev_b32_e32 v46, 3, v140
	ds_read_b64 v[50:51], v46 offset:8
	v_mov_b64_e32 v[46:47], v[44:45]
.LBB159_226:                            ;   in Loop: Header=BB159_2 Depth=1
	s_or_b64 exec, exec, s[30:31]
	v_cndmask_b32_e64 v45, v45, v49, s[28:29]
	v_add_u32_e32 v49, 1, v141
	v_cndmask_b32_e64 v44, v44, v48, s[28:29]
	v_add_u32_e32 v48, 1, v140
	v_cndmask_b32_e64 v49, v49, v141, s[28:29]
	v_cndmask_b32_e64 v48, v140, v48, s[28:29]
	;; [unrolled: 1-line block ×8, first 2 shown]
	v_cmp_ge_i32_e64 s[18:19], v49, v107
	s_waitcnt lgkmcnt(0)
	v_cmp_lt_i64_e64 s[20:21], v[50:51], v[46:47]
	v_cndmask_b32_e64 v21, v21, v23, s[16:17]
	v_cndmask_b32_e64 v20, v20, v22, s[16:17]
	;; [unrolled: 1-line block ×3, first 2 shown]
	v_cmp_lt_i32_e64 s[16:17], v48, v108
	s_or_b64 s[18:19], s[18:19], s[20:21]
	v_cndmask_b32_e64 v32, v32, v34, s[22:23]
	v_cndmask_b32_e64 v34, v135, v134, s[22:23]
	s_and_b64 s[16:17], s[16:17], s[18:19]
	v_cndmask_b32_e64 v140, v141, v140, s[28:29]
	v_cndmask_b32_e64 v40, v40, v42, s[26:27]
	;; [unrolled: 1-line block ×6, first 2 shown]
	s_barrier
	ds_write2_b64 v1, v[16:17], v[18:19] offset1:1
	ds_write2_b64 v1, v[10:11], v[14:15] offset0:2 offset1:3
	ds_write2_b64 v1, v[8:9], v[12:13] offset0:4 offset1:5
	;; [unrolled: 1-line block ×3, first 2 shown]
	v_lshlrev_b32_e32 v4, 3, v27
	v_lshlrev_b32_e32 v5, 3, v26
	;; [unrolled: 1-line block ×4, first 2 shown]
	s_waitcnt lgkmcnt(0)
	s_barrier
	ds_read_b64 v[16:17], v4
	ds_read_b64 v[18:19], v5
	;; [unrolled: 1-line block ×4, first 2 shown]
	v_lshlrev_b32_e32 v4, 3, v38
	v_lshlrev_b32_e32 v5, 3, v42
	v_lshlrev_b32_e32 v6, 3, v140
	v_lshlrev_b32_e32 v7, 3, v31
	ds_read_b64 v[8:9], v4
	ds_read_b64 v[12:13], v5
	;; [unrolled: 1-line block ×4, first 2 shown]
	v_cndmask_b32_e64 v41, v41, v43, s[26:27]
	v_cndmask_b32_e64 v37, v37, v39, s[24:25]
	;; [unrolled: 1-line block ×5, first 2 shown]
	s_waitcnt lgkmcnt(0)
	s_barrier
	ds_write2_b64 v1, v[20:21], v[24:25] offset1:1
	ds_write2_b64 v1, v[28:29], v[32:33] offset0:2 offset1:3
	ds_write2_b64 v1, v[36:37], v[40:41] offset0:4 offset1:5
	;; [unrolled: 1-line block ×3, first 2 shown]
	v_mov_b32_e32 v24, v121
	s_waitcnt lgkmcnt(0)
	s_barrier
	s_and_saveexec_b64 s[18:19], s[12:13]
	s_cbranch_execz .LBB159_230
; %bb.227:                              ;   in Loop: Header=BB159_2 Depth=1
	s_mov_b64 s[20:21], 0
	v_mov_b32_e32 v24, v121
	v_mov_b32_e32 v20, v122
.LBB159_228:                            ;   Parent Loop BB159_2 Depth=1
                                        ; =>  This Inner Loop Header: Depth=2
	v_sub_u32_e32 v21, v20, v24
	v_lshrrev_b32_e32 v22, 31, v21
	v_add_u32_e32 v21, v21, v22
	v_ashrrev_i32_e32 v21, 1, v21
	v_add_u32_e32 v21, v21, v24
	v_lshl_add_u32 v22, v21, 3, v119
	v_xad_u32 v23, v21, -1, v116
	v_lshl_add_u32 v25, v23, 3, v120
	ds_read_b64 v[22:23], v22
	ds_read_b64 v[26:27], v25
	v_add_u32_e32 v25, 1, v21
	s_waitcnt lgkmcnt(0)
	v_cmp_lt_i64_e64 s[16:17], v[26:27], v[22:23]
	s_nop 1
	v_cndmask_b32_e64 v20, v20, v21, s[16:17]
	v_cndmask_b32_e64 v24, v25, v24, s[16:17]
	v_cmp_ge_i32_e64 s[16:17], v24, v20
	s_or_b64 s[20:21], s[16:17], s[20:21]
	s_andn2_b64 exec, exec, s[20:21]
	s_cbranch_execnz .LBB159_228
; %bb.229:                              ;   in Loop: Header=BB159_2 Depth=1
	s_or_b64 exec, exec, s[20:21]
.LBB159_230:                            ;   in Loop: Header=BB159_2 Depth=1
	s_or_b64 exec, exec, s[18:19]
	v_sub_u32_e32 v128, v123, v24
	v_lshl_add_u32 v26, v24, 3, v119
	v_lshlrev_b32_e32 v28, 3, v128
	ds_read_b64 v[20:21], v26
	ds_read_b64 v[22:23], v28
	v_add_u32_e32 v129, v24, v115
	v_cmp_le_i32_e64 s[18:19], v117, v129
	v_cmp_gt_i32_e64 s[16:17], v118, v128
                                        ; implicit-def: $vgpr24_vgpr25
	s_waitcnt lgkmcnt(0)
	v_cmp_lt_i64_e64 s[20:21], v[22:23], v[20:21]
	s_or_b64 s[18:19], s[18:19], s[20:21]
	s_and_b64 s[16:17], s[16:17], s[18:19]
	s_xor_b64 s[18:19], s[16:17], -1
	s_and_saveexec_b64 s[20:21], s[18:19]
	s_xor_b64 s[18:19], exec, s[20:21]
	s_cbranch_execz .LBB159_232
; %bb.231:                              ;   in Loop: Header=BB159_2 Depth=1
	ds_read_b64 v[24:25], v26 offset:8
                                        ; implicit-def: $vgpr28
.LBB159_232:                            ;   in Loop: Header=BB159_2 Depth=1
	s_or_saveexec_b64 s[18:19], s[18:19]
	v_mov_b64_e32 v[26:27], v[22:23]
	s_xor_b64 exec, exec, s[18:19]
	s_cbranch_execz .LBB159_234
; %bb.233:                              ;   in Loop: Header=BB159_2 Depth=1
	ds_read_b64 v[26:27], v28 offset:8
	s_waitcnt lgkmcnt(1)
	v_mov_b64_e32 v[24:25], v[20:21]
.LBB159_234:                            ;   in Loop: Header=BB159_2 Depth=1
	s_or_b64 exec, exec, s[18:19]
	v_add_u32_e32 v29, 1, v129
	v_add_u32_e32 v28, 1, v128
	v_cndmask_b32_e64 v131, v29, v129, s[16:17]
	v_cndmask_b32_e64 v130, v128, v28, s[16:17]
	v_cmp_ge_i32_e64 s[20:21], v131, v117
	s_waitcnt lgkmcnt(0)
	v_cmp_lt_i64_e64 s[22:23], v[26:27], v[24:25]
	v_cmp_lt_i32_e64 s[18:19], v130, v118
	s_or_b64 s[20:21], s[20:21], s[22:23]
	s_and_b64 s[18:19], s[18:19], s[20:21]
	s_xor_b64 s[20:21], s[18:19], -1
                                        ; implicit-def: $vgpr28_vgpr29
	s_and_saveexec_b64 s[22:23], s[20:21]
	s_xor_b64 s[20:21], exec, s[22:23]
	s_cbranch_execz .LBB159_236
; %bb.235:                              ;   in Loop: Header=BB159_2 Depth=1
	v_lshlrev_b32_e32 v28, 3, v131
	ds_read_b64 v[28:29], v28 offset:8
.LBB159_236:                            ;   in Loop: Header=BB159_2 Depth=1
	s_or_saveexec_b64 s[20:21], s[20:21]
	v_mov_b64_e32 v[30:31], v[26:27]
	s_xor_b64 exec, exec, s[20:21]
	s_cbranch_execz .LBB159_238
; %bb.237:                              ;   in Loop: Header=BB159_2 Depth=1
	s_waitcnt lgkmcnt(0)
	v_lshlrev_b32_e32 v28, 3, v130
	ds_read_b64 v[30:31], v28 offset:8
	v_mov_b64_e32 v[28:29], v[24:25]
.LBB159_238:                            ;   in Loop: Header=BB159_2 Depth=1
	s_or_b64 exec, exec, s[20:21]
	v_add_u32_e32 v33, 1, v131
	v_add_u32_e32 v32, 1, v130
	v_cndmask_b32_e64 v133, v33, v131, s[18:19]
	v_cndmask_b32_e64 v132, v130, v32, s[18:19]
	v_cmp_ge_i32_e64 s[22:23], v133, v117
	s_waitcnt lgkmcnt(0)
	v_cmp_lt_i64_e64 s[24:25], v[30:31], v[28:29]
	v_cmp_lt_i32_e64 s[20:21], v132, v118
	s_or_b64 s[22:23], s[22:23], s[24:25]
	s_and_b64 s[20:21], s[20:21], s[22:23]
	s_xor_b64 s[22:23], s[20:21], -1
                                        ; implicit-def: $vgpr32_vgpr33
	s_and_saveexec_b64 s[24:25], s[22:23]
	s_xor_b64 s[22:23], exec, s[24:25]
	s_cbranch_execz .LBB159_240
; %bb.239:                              ;   in Loop: Header=BB159_2 Depth=1
	v_lshlrev_b32_e32 v32, 3, v133
	ds_read_b64 v[32:33], v32 offset:8
.LBB159_240:                            ;   in Loop: Header=BB159_2 Depth=1
	s_or_saveexec_b64 s[22:23], s[22:23]
	v_mov_b64_e32 v[34:35], v[30:31]
	s_xor_b64 exec, exec, s[22:23]
	s_cbranch_execz .LBB159_242
; %bb.241:                              ;   in Loop: Header=BB159_2 Depth=1
	s_waitcnt lgkmcnt(0)
	v_lshlrev_b32_e32 v32, 3, v132
	ds_read_b64 v[34:35], v32 offset:8
	v_mov_b64_e32 v[32:33], v[28:29]
.LBB159_242:                            ;   in Loop: Header=BB159_2 Depth=1
	s_or_b64 exec, exec, s[22:23]
	v_add_u32_e32 v37, 1, v133
	v_add_u32_e32 v36, 1, v132
	v_cndmask_b32_e64 v135, v37, v133, s[20:21]
	v_cndmask_b32_e64 v134, v132, v36, s[20:21]
	v_cmp_ge_i32_e64 s[24:25], v135, v117
	s_waitcnt lgkmcnt(0)
	v_cmp_lt_i64_e64 s[26:27], v[34:35], v[32:33]
	v_cmp_lt_i32_e64 s[22:23], v134, v118
	s_or_b64 s[24:25], s[24:25], s[26:27]
	s_and_b64 s[22:23], s[22:23], s[24:25]
	s_xor_b64 s[24:25], s[22:23], -1
                                        ; implicit-def: $vgpr36_vgpr37
	s_and_saveexec_b64 s[26:27], s[24:25]
	s_xor_b64 s[24:25], exec, s[26:27]
	s_cbranch_execz .LBB159_244
; %bb.243:                              ;   in Loop: Header=BB159_2 Depth=1
	v_lshlrev_b32_e32 v36, 3, v135
	ds_read_b64 v[36:37], v36 offset:8
.LBB159_244:                            ;   in Loop: Header=BB159_2 Depth=1
	s_or_saveexec_b64 s[24:25], s[24:25]
	v_mov_b64_e32 v[38:39], v[34:35]
	s_xor_b64 exec, exec, s[24:25]
	s_cbranch_execz .LBB159_246
; %bb.245:                              ;   in Loop: Header=BB159_2 Depth=1
	s_waitcnt lgkmcnt(0)
	v_lshlrev_b32_e32 v36, 3, v134
	ds_read_b64 v[38:39], v36 offset:8
	v_mov_b64_e32 v[36:37], v[32:33]
.LBB159_246:                            ;   in Loop: Header=BB159_2 Depth=1
	s_or_b64 exec, exec, s[24:25]
	v_add_u32_e32 v41, 1, v135
	v_add_u32_e32 v40, 1, v134
	v_cndmask_b32_e64 v137, v41, v135, s[22:23]
	v_cndmask_b32_e64 v136, v134, v40, s[22:23]
	v_cmp_ge_i32_e64 s[26:27], v137, v117
	s_waitcnt lgkmcnt(0)
	v_cmp_lt_i64_e64 s[28:29], v[38:39], v[36:37]
	v_cmp_lt_i32_e64 s[24:25], v136, v118
	s_or_b64 s[26:27], s[26:27], s[28:29]
	s_and_b64 s[24:25], s[24:25], s[26:27]
	s_xor_b64 s[26:27], s[24:25], -1
                                        ; implicit-def: $vgpr40_vgpr41
	s_and_saveexec_b64 s[28:29], s[26:27]
	s_xor_b64 s[26:27], exec, s[28:29]
	s_cbranch_execz .LBB159_248
; %bb.247:                              ;   in Loop: Header=BB159_2 Depth=1
	v_lshlrev_b32_e32 v40, 3, v137
	ds_read_b64 v[40:41], v40 offset:8
.LBB159_248:                            ;   in Loop: Header=BB159_2 Depth=1
	s_or_saveexec_b64 s[26:27], s[26:27]
	v_mov_b64_e32 v[42:43], v[38:39]
	s_xor_b64 exec, exec, s[26:27]
	s_cbranch_execz .LBB159_250
; %bb.249:                              ;   in Loop: Header=BB159_2 Depth=1
	s_waitcnt lgkmcnt(0)
	v_lshlrev_b32_e32 v40, 3, v136
	ds_read_b64 v[42:43], v40 offset:8
	v_mov_b64_e32 v[40:41], v[36:37]
.LBB159_250:                            ;   in Loop: Header=BB159_2 Depth=1
	s_or_b64 exec, exec, s[26:27]
	v_add_u32_e32 v45, 1, v137
	v_add_u32_e32 v44, 1, v136
	v_cndmask_b32_e64 v139, v45, v137, s[24:25]
	v_cndmask_b32_e64 v138, v136, v44, s[24:25]
	v_cmp_ge_i32_e64 s[28:29], v139, v117
	s_waitcnt lgkmcnt(0)
	v_cmp_lt_i64_e64 s[30:31], v[42:43], v[40:41]
	v_cmp_lt_i32_e64 s[26:27], v138, v118
	s_or_b64 s[28:29], s[28:29], s[30:31]
	s_and_b64 s[26:27], s[26:27], s[28:29]
	s_xor_b64 s[28:29], s[26:27], -1
                                        ; implicit-def: $vgpr44_vgpr45
	s_and_saveexec_b64 s[30:31], s[28:29]
	s_xor_b64 s[28:29], exec, s[30:31]
	s_cbranch_execz .LBB159_252
; %bb.251:                              ;   in Loop: Header=BB159_2 Depth=1
	v_lshlrev_b32_e32 v44, 3, v139
	ds_read_b64 v[44:45], v44 offset:8
.LBB159_252:                            ;   in Loop: Header=BB159_2 Depth=1
	s_or_saveexec_b64 s[28:29], s[28:29]
	v_mov_b64_e32 v[48:49], v[42:43]
	s_xor_b64 exec, exec, s[28:29]
	s_cbranch_execz .LBB159_254
; %bb.253:                              ;   in Loop: Header=BB159_2 Depth=1
	s_waitcnt lgkmcnt(0)
	v_lshlrev_b32_e32 v44, 3, v138
	ds_read_b64 v[48:49], v44 offset:8
	v_mov_b64_e32 v[44:45], v[40:41]
.LBB159_254:                            ;   in Loop: Header=BB159_2 Depth=1
	s_or_b64 exec, exec, s[28:29]
	v_add_u32_e32 v47, 1, v139
	v_add_u32_e32 v46, 1, v138
	v_cndmask_b32_e64 v141, v47, v139, s[26:27]
	v_cndmask_b32_e64 v140, v138, v46, s[26:27]
	v_cmp_ge_i32_e64 s[30:31], v141, v117
	s_waitcnt lgkmcnt(0)
	v_cmp_lt_i64_e64 s[34:35], v[48:49], v[44:45]
	v_cmp_lt_i32_e64 s[28:29], v140, v118
	s_or_b64 s[30:31], s[30:31], s[34:35]
	s_and_b64 s[28:29], s[28:29], s[30:31]
	s_xor_b64 s[30:31], s[28:29], -1
                                        ; implicit-def: $vgpr46_vgpr47
	s_and_saveexec_b64 s[34:35], s[30:31]
	s_xor_b64 s[30:31], exec, s[34:35]
	s_cbranch_execz .LBB159_256
; %bb.255:                              ;   in Loop: Header=BB159_2 Depth=1
	v_lshlrev_b32_e32 v46, 3, v141
	ds_read_b64 v[46:47], v46 offset:8
.LBB159_256:                            ;   in Loop: Header=BB159_2 Depth=1
	s_or_saveexec_b64 s[30:31], s[30:31]
	v_mov_b64_e32 v[50:51], v[48:49]
	s_xor_b64 exec, exec, s[30:31]
	s_cbranch_execz .LBB159_258
; %bb.257:                              ;   in Loop: Header=BB159_2 Depth=1
	s_waitcnt lgkmcnt(0)
	v_lshlrev_b32_e32 v46, 3, v140
	ds_read_b64 v[50:51], v46 offset:8
	v_mov_b64_e32 v[46:47], v[44:45]
.LBB159_258:                            ;   in Loop: Header=BB159_2 Depth=1
	s_or_b64 exec, exec, s[30:31]
	v_cndmask_b32_e64 v45, v45, v49, s[28:29]
	v_add_u32_e32 v49, 1, v141
	v_cndmask_b32_e64 v44, v44, v48, s[28:29]
	v_add_u32_e32 v48, 1, v140
	v_cndmask_b32_e64 v49, v49, v141, s[28:29]
	v_cndmask_b32_e64 v48, v140, v48, s[28:29]
	v_cndmask_b32_e64 v29, v29, v31, s[20:21]
	v_cndmask_b32_e64 v28, v28, v30, s[20:21]
	v_cndmask_b32_e64 v30, v133, v132, s[20:21]
	v_cndmask_b32_e64 v25, v25, v27, s[18:19]
	v_cndmask_b32_e64 v24, v24, v26, s[18:19]
	v_cndmask_b32_e64 v26, v131, v130, s[18:19]
	v_cmp_ge_i32_e64 s[18:19], v49, v117
	s_waitcnt lgkmcnt(0)
	v_cmp_lt_i64_e64 s[20:21], v[50:51], v[46:47]
	v_cndmask_b32_e64 v21, v21, v23, s[16:17]
	v_cndmask_b32_e64 v20, v20, v22, s[16:17]
	;; [unrolled: 1-line block ×3, first 2 shown]
	v_cmp_lt_i32_e64 s[16:17], v48, v118
	s_or_b64 s[18:19], s[18:19], s[20:21]
	v_cndmask_b32_e64 v32, v32, v34, s[22:23]
	v_cndmask_b32_e64 v34, v135, v134, s[22:23]
	s_and_b64 s[16:17], s[16:17], s[18:19]
	v_cndmask_b32_e64 v140, v141, v140, s[28:29]
	v_cndmask_b32_e64 v40, v40, v42, s[26:27]
	;; [unrolled: 1-line block ×6, first 2 shown]
	s_barrier
	ds_write2_b64 v1, v[16:17], v[18:19] offset1:1
	ds_write2_b64 v1, v[10:11], v[14:15] offset0:2 offset1:3
	ds_write2_b64 v1, v[8:9], v[12:13] offset0:4 offset1:5
	;; [unrolled: 1-line block ×3, first 2 shown]
	v_lshlrev_b32_e32 v4, 3, v27
	v_lshlrev_b32_e32 v5, 3, v26
	;; [unrolled: 1-line block ×4, first 2 shown]
	s_waitcnt lgkmcnt(0)
	s_barrier
	ds_read_b64 v[16:17], v4
	ds_read_b64 v[18:19], v5
	;; [unrolled: 1-line block ×4, first 2 shown]
	v_lshlrev_b32_e32 v4, 3, v38
	v_lshlrev_b32_e32 v5, 3, v42
	;; [unrolled: 1-line block ×4, first 2 shown]
	ds_read_b64 v[8:9], v4
	ds_read_b64 v[12:13], v5
	;; [unrolled: 1-line block ×4, first 2 shown]
	v_mov_b32_e32 v128, v125
	v_cndmask_b32_e64 v41, v41, v43, s[26:27]
	v_cndmask_b32_e64 v37, v37, v39, s[24:25]
	;; [unrolled: 1-line block ×5, first 2 shown]
	s_waitcnt lgkmcnt(0)
	s_barrier
	ds_write2_b64 v1, v[20:21], v[24:25] offset1:1
	ds_write2_b64 v1, v[28:29], v[32:33] offset0:2 offset1:3
	ds_write2_b64 v1, v[36:37], v[40:41] offset0:4 offset1:5
	;; [unrolled: 1-line block ×3, first 2 shown]
	s_waitcnt lgkmcnt(0)
	s_barrier
	s_and_saveexec_b64 s[18:19], s[14:15]
	s_cbranch_execz .LBB159_262
; %bb.259:                              ;   in Loop: Header=BB159_2 Depth=1
	s_mov_b64 s[20:21], 0
	v_mov_b32_e32 v128, v125
	v_mov_b32_e32 v20, v126
.LBB159_260:                            ;   Parent Loop BB159_2 Depth=1
                                        ; =>  This Inner Loop Header: Depth=2
	v_sub_u32_e32 v21, v20, v128
	v_lshrrev_b32_e32 v22, 31, v21
	v_add_u32_e32 v21, v21, v22
	v_ashrrev_i32_e32 v21, 1, v21
	v_add_u32_e32 v21, v21, v128
	v_xad_u32 v23, v21, -1, v2
	v_lshlrev_b32_e32 v22, 3, v21
	v_lshl_add_u32 v24, v23, 3, v124
	ds_read_b64 v[22:23], v22
	ds_read_b64 v[24:25], v24
	v_add_u32_e32 v26, 1, v21
	s_waitcnt lgkmcnt(0)
	v_cmp_lt_i64_e64 s[16:17], v[24:25], v[22:23]
	s_nop 1
	v_cndmask_b32_e64 v20, v20, v21, s[16:17]
	v_cndmask_b32_e64 v128, v26, v128, s[16:17]
	v_cmp_ge_i32_e64 s[16:17], v128, v20
	s_or_b64 s[20:21], s[16:17], s[20:21]
	s_andn2_b64 exec, exec, s[20:21]
	s_cbranch_execnz .LBB159_260
; %bb.261:                              ;   in Loop: Header=BB159_2 Depth=1
	s_or_b64 exec, exec, s[20:21]
.LBB159_262:                            ;   in Loop: Header=BB159_2 Depth=1
	s_or_b64 exec, exec, s[18:19]
	v_sub_u32_e32 v129, v127, v128
	v_lshlrev_b32_e32 v26, 3, v128
	v_lshlrev_b32_e32 v28, 3, v129
	ds_read_b64 v[20:21], v26
	ds_read_b64 v[22:23], v28
	v_cmp_le_i32_e64 s[18:19], v114, v128
	v_cmp_gt_i32_e64 s[16:17], s33, v129
                                        ; implicit-def: $vgpr24_vgpr25
	s_waitcnt lgkmcnt(0)
	v_cmp_lt_i64_e64 s[20:21], v[22:23], v[20:21]
	s_or_b64 s[18:19], s[18:19], s[20:21]
	s_and_b64 s[16:17], s[16:17], s[18:19]
	s_xor_b64 s[18:19], s[16:17], -1
	s_and_saveexec_b64 s[20:21], s[18:19]
	s_xor_b64 s[18:19], exec, s[20:21]
	s_cbranch_execz .LBB159_264
; %bb.263:                              ;   in Loop: Header=BB159_2 Depth=1
	ds_read_b64 v[24:25], v26 offset:8
                                        ; implicit-def: $vgpr28
.LBB159_264:                            ;   in Loop: Header=BB159_2 Depth=1
	s_or_saveexec_b64 s[18:19], s[18:19]
	v_mov_b64_e32 v[26:27], v[22:23]
	s_xor_b64 exec, exec, s[18:19]
	s_cbranch_execz .LBB159_266
; %bb.265:                              ;   in Loop: Header=BB159_2 Depth=1
	ds_read_b64 v[26:27], v28 offset:8
	s_waitcnt lgkmcnt(1)
	v_mov_b64_e32 v[24:25], v[20:21]
.LBB159_266:                            ;   in Loop: Header=BB159_2 Depth=1
	s_or_b64 exec, exec, s[18:19]
	v_add_u32_e32 v29, 1, v128
	v_add_u32_e32 v28, 1, v129
	v_cndmask_b32_e64 v131, v29, v128, s[16:17]
	v_cndmask_b32_e64 v130, v129, v28, s[16:17]
	v_cmp_ge_i32_e64 s[20:21], v131, v114
	s_waitcnt lgkmcnt(0)
	v_cmp_lt_i64_e64 s[22:23], v[26:27], v[24:25]
	v_cmp_gt_i32_e64 s[18:19], s33, v130
	s_or_b64 s[20:21], s[20:21], s[22:23]
	s_and_b64 s[18:19], s[18:19], s[20:21]
	s_xor_b64 s[20:21], s[18:19], -1
                                        ; implicit-def: $vgpr28_vgpr29
	s_and_saveexec_b64 s[22:23], s[20:21]
	s_xor_b64 s[20:21], exec, s[22:23]
	s_cbranch_execz .LBB159_268
; %bb.267:                              ;   in Loop: Header=BB159_2 Depth=1
	v_lshlrev_b32_e32 v28, 3, v131
	ds_read_b64 v[28:29], v28 offset:8
.LBB159_268:                            ;   in Loop: Header=BB159_2 Depth=1
	s_or_saveexec_b64 s[20:21], s[20:21]
	v_mov_b64_e32 v[30:31], v[26:27]
	s_xor_b64 exec, exec, s[20:21]
	s_cbranch_execz .LBB159_270
; %bb.269:                              ;   in Loop: Header=BB159_2 Depth=1
	s_waitcnt lgkmcnt(0)
	v_lshlrev_b32_e32 v28, 3, v130
	ds_read_b64 v[30:31], v28 offset:8
	v_mov_b64_e32 v[28:29], v[24:25]
.LBB159_270:                            ;   in Loop: Header=BB159_2 Depth=1
	s_or_b64 exec, exec, s[20:21]
	v_add_u32_e32 v33, 1, v131
	v_add_u32_e32 v32, 1, v130
	v_cndmask_b32_e64 v133, v33, v131, s[18:19]
	v_cndmask_b32_e64 v132, v130, v32, s[18:19]
	v_cmp_ge_i32_e64 s[22:23], v133, v114
	s_waitcnt lgkmcnt(0)
	v_cmp_lt_i64_e64 s[24:25], v[30:31], v[28:29]
	v_cmp_gt_i32_e64 s[20:21], s33, v132
	s_or_b64 s[22:23], s[22:23], s[24:25]
	s_and_b64 s[20:21], s[20:21], s[22:23]
	s_xor_b64 s[22:23], s[20:21], -1
                                        ; implicit-def: $vgpr32_vgpr33
	s_and_saveexec_b64 s[24:25], s[22:23]
	s_xor_b64 s[22:23], exec, s[24:25]
	s_cbranch_execz .LBB159_272
; %bb.271:                              ;   in Loop: Header=BB159_2 Depth=1
	v_lshlrev_b32_e32 v32, 3, v133
	ds_read_b64 v[32:33], v32 offset:8
.LBB159_272:                            ;   in Loop: Header=BB159_2 Depth=1
	s_or_saveexec_b64 s[22:23], s[22:23]
	v_mov_b64_e32 v[34:35], v[30:31]
	s_xor_b64 exec, exec, s[22:23]
	s_cbranch_execz .LBB159_274
; %bb.273:                              ;   in Loop: Header=BB159_2 Depth=1
	s_waitcnt lgkmcnt(0)
	v_lshlrev_b32_e32 v32, 3, v132
	ds_read_b64 v[34:35], v32 offset:8
	v_mov_b64_e32 v[32:33], v[28:29]
.LBB159_274:                            ;   in Loop: Header=BB159_2 Depth=1
	s_or_b64 exec, exec, s[22:23]
	v_add_u32_e32 v37, 1, v133
	v_add_u32_e32 v36, 1, v132
	v_cndmask_b32_e64 v135, v37, v133, s[20:21]
	v_cndmask_b32_e64 v134, v132, v36, s[20:21]
	v_cmp_ge_i32_e64 s[24:25], v135, v114
	s_waitcnt lgkmcnt(0)
	v_cmp_lt_i64_e64 s[26:27], v[34:35], v[32:33]
	v_cmp_gt_i32_e64 s[22:23], s33, v134
	s_or_b64 s[24:25], s[24:25], s[26:27]
	s_and_b64 s[22:23], s[22:23], s[24:25]
	s_xor_b64 s[24:25], s[22:23], -1
                                        ; implicit-def: $vgpr38_vgpr39
	s_and_saveexec_b64 s[26:27], s[24:25]
	s_xor_b64 s[24:25], exec, s[26:27]
	s_cbranch_execz .LBB159_276
; %bb.275:                              ;   in Loop: Header=BB159_2 Depth=1
	v_lshlrev_b32_e32 v36, 3, v135
	ds_read_b64 v[38:39], v36 offset:8
.LBB159_276:                            ;   in Loop: Header=BB159_2 Depth=1
	s_or_saveexec_b64 s[24:25], s[24:25]
	v_mov_b64_e32 v[42:43], v[34:35]
	s_xor_b64 exec, exec, s[24:25]
	s_cbranch_execz .LBB159_278
; %bb.277:                              ;   in Loop: Header=BB159_2 Depth=1
	v_lshlrev_b32_e32 v36, 3, v134
	ds_read_b64 v[42:43], v36 offset:8
	s_waitcnt lgkmcnt(1)
	v_mov_b64_e32 v[38:39], v[32:33]
.LBB159_278:                            ;   in Loop: Header=BB159_2 Depth=1
	s_or_b64 exec, exec, s[24:25]
	v_add_u32_e32 v37, 1, v135
	v_add_u32_e32 v36, 1, v134
	v_cndmask_b32_e64 v137, v37, v135, s[22:23]
	v_cndmask_b32_e64 v136, v134, v36, s[22:23]
	v_cmp_ge_i32_e64 s[26:27], v137, v114
	s_waitcnt lgkmcnt(0)
	v_cmp_lt_i64_e64 s[28:29], v[42:43], v[38:39]
	v_cmp_gt_i32_e64 s[24:25], s33, v136
	s_or_b64 s[26:27], s[26:27], s[28:29]
	s_and_b64 s[24:25], s[24:25], s[26:27]
	s_xor_b64 s[26:27], s[24:25], -1
                                        ; implicit-def: $vgpr46_vgpr47
	s_and_saveexec_b64 s[28:29], s[26:27]
	s_xor_b64 s[26:27], exec, s[28:29]
	s_cbranch_execz .LBB159_280
; %bb.279:                              ;   in Loop: Header=BB159_2 Depth=1
	v_lshlrev_b32_e32 v36, 3, v137
	ds_read_b64 v[46:47], v36 offset:8
.LBB159_280:                            ;   in Loop: Header=BB159_2 Depth=1
	s_or_saveexec_b64 s[26:27], s[26:27]
	v_mov_b64_e32 v[48:49], v[42:43]
	s_xor_b64 exec, exec, s[26:27]
	s_cbranch_execz .LBB159_282
; %bb.281:                              ;   in Loop: Header=BB159_2 Depth=1
	v_lshlrev_b32_e32 v36, 3, v136
	ds_read_b64 v[48:49], v36 offset:8
	s_waitcnt lgkmcnt(1)
	v_mov_b64_e32 v[46:47], v[38:39]
.LBB159_282:                            ;   in Loop: Header=BB159_2 Depth=1
	s_or_b64 exec, exec, s[26:27]
	v_add_u32_e32 v37, 1, v137
	v_add_u32_e32 v36, 1, v136
	v_cndmask_b32_e64 v139, v37, v137, s[24:25]
	v_cndmask_b32_e64 v138, v136, v36, s[24:25]
	v_cmp_ge_i32_e64 s[28:29], v139, v114
	s_waitcnt lgkmcnt(0)
	v_cmp_lt_i64_e64 s[30:31], v[48:49], v[46:47]
	v_cmp_gt_i32_e64 s[26:27], s33, v138
	s_or_b64 s[28:29], s[28:29], s[30:31]
	s_and_b64 s[28:29], s[26:27], s[28:29]
	s_xor_b64 s[26:27], s[28:29], -1
                                        ; implicit-def: $vgpr36_vgpr37
	s_and_saveexec_b64 s[30:31], s[26:27]
	s_xor_b64 s[26:27], exec, s[30:31]
	s_cbranch_execz .LBB159_284
; %bb.283:                              ;   in Loop: Header=BB159_2 Depth=1
	v_lshlrev_b32_e32 v36, 3, v139
	ds_read_b64 v[36:37], v36 offset:8
.LBB159_284:                            ;   in Loop: Header=BB159_2 Depth=1
	s_or_saveexec_b64 s[26:27], s[26:27]
	v_mov_b64_e32 v[40:41], v[48:49]
	s_xor_b64 exec, exec, s[26:27]
	s_cbranch_execz .LBB159_286
; %bb.285:                              ;   in Loop: Header=BB159_2 Depth=1
	s_waitcnt lgkmcnt(0)
	v_lshlrev_b32_e32 v36, 3, v138
	ds_read_b64 v[40:41], v36 offset:8
	v_mov_b64_e32 v[36:37], v[46:47]
.LBB159_286:                            ;   in Loop: Header=BB159_2 Depth=1
	s_or_b64 exec, exec, s[26:27]
	v_add_u32_e32 v45, 1, v139
	v_add_u32_e32 v44, 1, v138
	v_cndmask_b32_e64 v143, v45, v139, s[28:29]
	v_cndmask_b32_e64 v141, v138, v44, s[28:29]
	v_cmp_ge_i32_e64 s[30:31], v143, v114
	s_waitcnt lgkmcnt(0)
	v_cmp_lt_i64_e64 s[34:35], v[40:41], v[36:37]
	v_cmp_gt_i32_e64 s[26:27], s33, v141
	s_or_b64 s[30:31], s[30:31], s[34:35]
	s_and_b64 s[26:27], s[26:27], s[30:31]
	s_xor_b64 s[30:31], s[26:27], -1
                                        ; implicit-def: $vgpr44_vgpr45
                                        ; implicit-def: $vgpr142
	s_and_saveexec_b64 s[34:35], s[30:31]
	s_xor_b64 s[30:31], exec, s[34:35]
	s_cbranch_execz .LBB159_288
; %bb.287:                              ;   in Loop: Header=BB159_2 Depth=1
	v_lshlrev_b32_e32 v44, 3, v143
	ds_read_b64 v[44:45], v44 offset:8
	v_add_u32_e32 v142, 1, v143
.LBB159_288:                            ;   in Loop: Header=BB159_2 Depth=1
	s_or_saveexec_b64 s[30:31], s[30:31]
	v_mov_b32_e32 v140, v143
	v_mov_b64_e32 v[50:51], v[40:41]
	s_xor_b64 exec, exec, s[30:31]
	s_cbranch_execz .LBB159_1
; %bb.289:                              ;   in Loop: Header=BB159_2 Depth=1
	s_waitcnt lgkmcnt(0)
	v_lshlrev_b32_e32 v45, 3, v141
	ds_read_b64 v[50:51], v45 offset:8
	v_add_u32_e32 v44, 1, v141
	v_mov_b32_e32 v140, v141
	v_mov_b32_e32 v142, v143
	v_mov_b32_e32 v141, v44
	v_mov_b64_e32 v[44:45], v[36:37]
	s_branch .LBB159_1
.LBB159_290:
	s_add_u32 s0, s94, s96
	s_waitcnt lgkmcnt(7)
	v_lshl_add_u64 v[2:3], v[20:21], 0, v[8:9]
	s_addc_u32 s1, s95, s97
	v_lshlrev_b32_e32 v0, 3, v0
	v_mov_b32_e32 v1, 0
	s_waitcnt lgkmcnt(6)
	v_lshl_add_u64 v[8:9], v[24:25], 0, v[10:11]
	s_waitcnt lgkmcnt(3)
	v_lshl_add_u64 v[10:11], v[26:27], 0, v[16:17]
	;; [unrolled: 2-line block ×3, first 2 shown]
	v_lshl_add_u64 v[18:19], s[0:1], 0, v[0:1]
	global_store_dwordx2 v0, v[2:3], s[0:1]
	s_movk_i32 s0, 0x2000
	v_add_co_u32_e32 v0, vcc, s0, v18
	s_movk_i32 s0, 0x4000
	s_nop 0
	v_addc_co_u32_e32 v1, vcc, 0, v19, vcc
	v_lshl_add_u64 v[4:5], v[22:23], 0, v[4:5]
	global_store_dwordx2 v[0:1], v[8:9], off offset:-4096
	global_store_dwordx2 v[0:1], v[4:5], off
	v_add_co_u32_e32 v0, vcc, s0, v18
	v_lshl_add_u64 v[6:7], v[30:31], 0, v[6:7]
	s_nop 0
	v_addc_co_u32_e32 v1, vcc, 0, v19, vcc
	global_store_dwordx2 v[0:1], v[6:7], off offset:-4096
	global_store_dwordx2 v[0:1], v[10:11], off
	v_add_co_u32_e32 v0, vcc, 0x5000, v18
	s_waitcnt lgkmcnt(1)
	v_lshl_add_u64 v[12:13], v[28:29], 0, v[12:13]
	v_addc_co_u32_e32 v1, vcc, 0, v19, vcc
	global_store_dwordx2 v[0:1], v[16:17], off
	v_add_co_u32_e32 v0, vcc, 0x6000, v18
	s_waitcnt lgkmcnt(0)
	v_lshl_add_u64 v[14:15], v[34:35], 0, v[14:15]
	v_addc_co_u32_e32 v1, vcc, 0, v19, vcc
	global_store_dwordx2 v[0:1], v[12:13], off
	v_add_co_u32_e32 v0, vcc, 0x7000, v18
	s_nop 1
	v_addc_co_u32_e32 v1, vcc, 0, v19, vcc
	global_store_dwordx2 v[0:1], v[14:15], off
	s_endpgm
	.section	.rodata,"a",@progbits
	.p2align	6, 0x0
	.amdhsa_kernel _Z17sort_pairs_kernelIxLj512ELj8EN10test_utils4lessELj10EEvPKT_PS2_T2_
		.amdhsa_group_segment_fixed_size 32776
		.amdhsa_private_segment_fixed_size 0
		.amdhsa_kernarg_size 20
		.amdhsa_user_sgpr_count 2
		.amdhsa_user_sgpr_dispatch_ptr 0
		.amdhsa_user_sgpr_queue_ptr 0
		.amdhsa_user_sgpr_kernarg_segment_ptr 1
		.amdhsa_user_sgpr_dispatch_id 0
		.amdhsa_user_sgpr_kernarg_preload_length 0
		.amdhsa_user_sgpr_kernarg_preload_offset 0
		.amdhsa_user_sgpr_private_segment_size 0
		.amdhsa_uses_dynamic_stack 0
		.amdhsa_enable_private_segment 0
		.amdhsa_system_sgpr_workgroup_id_x 1
		.amdhsa_system_sgpr_workgroup_id_y 0
		.amdhsa_system_sgpr_workgroup_id_z 0
		.amdhsa_system_sgpr_workgroup_info 0
		.amdhsa_system_vgpr_workitem_id 0
		.amdhsa_next_free_vgpr 144
		.amdhsa_next_free_sgpr 100
		.amdhsa_accum_offset 144
		.amdhsa_reserve_vcc 1
		.amdhsa_float_round_mode_32 0
		.amdhsa_float_round_mode_16_64 0
		.amdhsa_float_denorm_mode_32 3
		.amdhsa_float_denorm_mode_16_64 3
		.amdhsa_dx10_clamp 1
		.amdhsa_ieee_mode 1
		.amdhsa_fp16_overflow 0
		.amdhsa_tg_split 0
		.amdhsa_exception_fp_ieee_invalid_op 0
		.amdhsa_exception_fp_denorm_src 0
		.amdhsa_exception_fp_ieee_div_zero 0
		.amdhsa_exception_fp_ieee_overflow 0
		.amdhsa_exception_fp_ieee_underflow 0
		.amdhsa_exception_fp_ieee_inexact 0
		.amdhsa_exception_int_div_zero 0
	.end_amdhsa_kernel
	.section	.text._Z17sort_pairs_kernelIxLj512ELj8EN10test_utils4lessELj10EEvPKT_PS2_T2_,"axG",@progbits,_Z17sort_pairs_kernelIxLj512ELj8EN10test_utils4lessELj10EEvPKT_PS2_T2_,comdat
.Lfunc_end159:
	.size	_Z17sort_pairs_kernelIxLj512ELj8EN10test_utils4lessELj10EEvPKT_PS2_T2_, .Lfunc_end159-_Z17sort_pairs_kernelIxLj512ELj8EN10test_utils4lessELj10EEvPKT_PS2_T2_
                                        ; -- End function
	.section	.AMDGPU.csdata,"",@progbits
; Kernel info:
; codeLenInByte = 16588
; NumSgprs: 106
; NumVgprs: 144
; NumAgprs: 0
; TotalNumVgprs: 144
; ScratchSize: 0
; MemoryBound: 0
; FloatMode: 240
; IeeeMode: 1
; LDSByteSize: 32776 bytes/workgroup (compile time only)
; SGPRBlocks: 13
; VGPRBlocks: 17
; NumSGPRsForWavesPerEU: 106
; NumVGPRsForWavesPerEU: 144
; AccumOffset: 144
; Occupancy: 2
; WaveLimiterHint : 1
; COMPUTE_PGM_RSRC2:SCRATCH_EN: 0
; COMPUTE_PGM_RSRC2:USER_SGPR: 2
; COMPUTE_PGM_RSRC2:TRAP_HANDLER: 0
; COMPUTE_PGM_RSRC2:TGID_X_EN: 1
; COMPUTE_PGM_RSRC2:TGID_Y_EN: 0
; COMPUTE_PGM_RSRC2:TGID_Z_EN: 0
; COMPUTE_PGM_RSRC2:TIDIG_COMP_CNT: 0
; COMPUTE_PGM_RSRC3_GFX90A:ACCUM_OFFSET: 35
; COMPUTE_PGM_RSRC3_GFX90A:TG_SPLIT: 0
	.text
	.p2alignl 6, 3212836864
	.fill 256, 4, 3212836864
	.type	__hip_cuid_cb5d1b6fd4617975,@object ; @__hip_cuid_cb5d1b6fd4617975
	.section	.bss,"aw",@nobits
	.globl	__hip_cuid_cb5d1b6fd4617975
__hip_cuid_cb5d1b6fd4617975:
	.byte	0                               ; 0x0
	.size	__hip_cuid_cb5d1b6fd4617975, 1

	.ident	"AMD clang version 19.0.0git (https://github.com/RadeonOpenCompute/llvm-project roc-6.4.0 25133 c7fe45cf4b819c5991fe208aaa96edf142730f1d)"
	.section	".note.GNU-stack","",@progbits
	.addrsig
	.addrsig_sym __hip_cuid_cb5d1b6fd4617975
	.amdgpu_metadata
---
amdhsa.kernels:
  - .agpr_count:     0
    .args:
      - .address_space:  global
        .offset:         0
        .size:           8
        .value_kind:     global_buffer
      - .address_space:  global
        .offset:         8
        .size:           8
        .value_kind:     global_buffer
      - .offset:         16
        .size:           1
        .value_kind:     by_value
    .group_segment_fixed_size: 260
    .kernarg_segment_align: 8
    .kernarg_segment_size: 20
    .language:       OpenCL C
    .language_version:
      - 2
      - 0
    .max_flat_workgroup_size: 64
    .name:           _Z16sort_keys_kernelIiLj64ELj1EN10test_utils4lessELj10EEvPKT_PS2_T2_
    .private_segment_fixed_size: 0
    .sgpr_count:     30
    .sgpr_spill_count: 0
    .symbol:         _Z16sort_keys_kernelIiLj64ELj1EN10test_utils4lessELj10EEvPKT_PS2_T2_.kd
    .uniform_work_group_size: 1
    .uses_dynamic_stack: false
    .vgpr_count:     52
    .vgpr_spill_count: 0
    .wavefront_size: 64
  - .agpr_count:     0
    .args:
      - .address_space:  global
        .offset:         0
        .size:           8
        .value_kind:     global_buffer
      - .address_space:  global
        .offset:         8
        .size:           8
        .value_kind:     global_buffer
      - .offset:         16
        .size:           1
        .value_kind:     by_value
    .group_segment_fixed_size: 260
    .kernarg_segment_align: 8
    .kernarg_segment_size: 20
    .language:       OpenCL C
    .language_version:
      - 2
      - 0
    .max_flat_workgroup_size: 64
    .name:           _Z17sort_pairs_kernelIiLj64ELj1EN10test_utils4lessELj10EEvPKT_PS2_T2_
    .private_segment_fixed_size: 0
    .sgpr_count:     30
    .sgpr_spill_count: 0
    .symbol:         _Z17sort_pairs_kernelIiLj64ELj1EN10test_utils4lessELj10EEvPKT_PS2_T2_.kd
    .uniform_work_group_size: 1
    .uses_dynamic_stack: false
    .vgpr_count:     57
    .vgpr_spill_count: 0
    .wavefront_size: 64
  - .agpr_count:     0
    .args:
      - .address_space:  global
        .offset:         0
        .size:           8
        .value_kind:     global_buffer
      - .address_space:  global
        .offset:         8
        .size:           8
        .value_kind:     global_buffer
      - .offset:         16
        .size:           1
        .value_kind:     by_value
    .group_segment_fixed_size: 516
    .kernarg_segment_align: 8
    .kernarg_segment_size: 20
    .language:       OpenCL C
    .language_version:
      - 2
      - 0
    .max_flat_workgroup_size: 64
    .name:           _Z16sort_keys_kernelIiLj64ELj2EN10test_utils4lessELj10EEvPKT_PS2_T2_
    .private_segment_fixed_size: 0
    .sgpr_count:     30
    .sgpr_spill_count: 0
    .symbol:         _Z16sort_keys_kernelIiLj64ELj2EN10test_utils4lessELj10EEvPKT_PS2_T2_.kd
    .uniform_work_group_size: 1
    .uses_dynamic_stack: false
    .vgpr_count:     60
    .vgpr_spill_count: 0
    .wavefront_size: 64
  - .agpr_count:     0
    .args:
      - .address_space:  global
        .offset:         0
        .size:           8
        .value_kind:     global_buffer
      - .address_space:  global
        .offset:         8
        .size:           8
        .value_kind:     global_buffer
      - .offset:         16
        .size:           1
        .value_kind:     by_value
    .group_segment_fixed_size: 516
    .kernarg_segment_align: 8
    .kernarg_segment_size: 20
    .language:       OpenCL C
    .language_version:
      - 2
      - 0
    .max_flat_workgroup_size: 64
    .name:           _Z17sort_pairs_kernelIiLj64ELj2EN10test_utils4lessELj10EEvPKT_PS2_T2_
    .private_segment_fixed_size: 0
    .sgpr_count:     30
    .sgpr_spill_count: 0
    .symbol:         _Z17sort_pairs_kernelIiLj64ELj2EN10test_utils4lessELj10EEvPKT_PS2_T2_.kd
    .uniform_work_group_size: 1
    .uses_dynamic_stack: false
    .vgpr_count:     63
    .vgpr_spill_count: 0
    .wavefront_size: 64
  - .agpr_count:     0
    .args:
      - .address_space:  global
        .offset:         0
        .size:           8
        .value_kind:     global_buffer
      - .address_space:  global
        .offset:         8
        .size:           8
        .value_kind:     global_buffer
      - .offset:         16
        .size:           1
        .value_kind:     by_value
    .group_segment_fixed_size: 772
    .kernarg_segment_align: 8
    .kernarg_segment_size: 20
    .language:       OpenCL C
    .language_version:
      - 2
      - 0
    .max_flat_workgroup_size: 64
    .name:           _Z16sort_keys_kernelIiLj64ELj3EN10test_utils4lessELj10EEvPKT_PS2_T2_
    .private_segment_fixed_size: 0
    .sgpr_count:     31
    .sgpr_spill_count: 0
    .symbol:         _Z16sort_keys_kernelIiLj64ELj3EN10test_utils4lessELj10EEvPKT_PS2_T2_.kd
    .uniform_work_group_size: 1
    .uses_dynamic_stack: false
    .vgpr_count:     62
    .vgpr_spill_count: 0
    .wavefront_size: 64
  - .agpr_count:     0
    .args:
      - .address_space:  global
        .offset:         0
        .size:           8
        .value_kind:     global_buffer
      - .address_space:  global
        .offset:         8
        .size:           8
        .value_kind:     global_buffer
      - .offset:         16
        .size:           1
        .value_kind:     by_value
    .group_segment_fixed_size: 772
    .kernarg_segment_align: 8
    .kernarg_segment_size: 20
    .language:       OpenCL C
    .language_version:
      - 2
      - 0
    .max_flat_workgroup_size: 64
    .name:           _Z17sort_pairs_kernelIiLj64ELj3EN10test_utils4lessELj10EEvPKT_PS2_T2_
    .private_segment_fixed_size: 0
    .sgpr_count:     38
    .sgpr_spill_count: 0
    .symbol:         _Z17sort_pairs_kernelIiLj64ELj3EN10test_utils4lessELj10EEvPKT_PS2_T2_.kd
    .uniform_work_group_size: 1
    .uses_dynamic_stack: false
    .vgpr_count:     67
    .vgpr_spill_count: 0
    .wavefront_size: 64
  - .agpr_count:     0
    .args:
      - .address_space:  global
        .offset:         0
        .size:           8
        .value_kind:     global_buffer
      - .address_space:  global
        .offset:         8
        .size:           8
        .value_kind:     global_buffer
      - .offset:         16
        .size:           1
        .value_kind:     by_value
    .group_segment_fixed_size: 1028
    .kernarg_segment_align: 8
    .kernarg_segment_size: 20
    .language:       OpenCL C
    .language_version:
      - 2
      - 0
    .max_flat_workgroup_size: 64
    .name:           _Z16sort_keys_kernelIiLj64ELj4EN10test_utils4lessELj10EEvPKT_PS2_T2_
    .private_segment_fixed_size: 0
    .sgpr_count:     34
    .sgpr_spill_count: 0
    .symbol:         _Z16sort_keys_kernelIiLj64ELj4EN10test_utils4lessELj10EEvPKT_PS2_T2_.kd
    .uniform_work_group_size: 1
    .uses_dynamic_stack: false
    .vgpr_count:     63
    .vgpr_spill_count: 0
    .wavefront_size: 64
  - .agpr_count:     0
    .args:
      - .address_space:  global
        .offset:         0
        .size:           8
        .value_kind:     global_buffer
      - .address_space:  global
        .offset:         8
        .size:           8
        .value_kind:     global_buffer
      - .offset:         16
        .size:           1
        .value_kind:     by_value
    .group_segment_fixed_size: 1028
    .kernarg_segment_align: 8
    .kernarg_segment_size: 20
    .language:       OpenCL C
    .language_version:
      - 2
      - 0
    .max_flat_workgroup_size: 64
    .name:           _Z17sort_pairs_kernelIiLj64ELj4EN10test_utils4lessELj10EEvPKT_PS2_T2_
    .private_segment_fixed_size: 0
    .sgpr_count:     48
    .sgpr_spill_count: 0
    .symbol:         _Z17sort_pairs_kernelIiLj64ELj4EN10test_utils4lessELj10EEvPKT_PS2_T2_.kd
    .uniform_work_group_size: 1
    .uses_dynamic_stack: false
    .vgpr_count:     72
    .vgpr_spill_count: 0
    .wavefront_size: 64
  - .agpr_count:     0
    .args:
      - .address_space:  global
        .offset:         0
        .size:           8
        .value_kind:     global_buffer
      - .address_space:  global
        .offset:         8
        .size:           8
        .value_kind:     global_buffer
      - .offset:         16
        .size:           1
        .value_kind:     by_value
    .group_segment_fixed_size: 2052
    .kernarg_segment_align: 8
    .kernarg_segment_size: 20
    .language:       OpenCL C
    .language_version:
      - 2
      - 0
    .max_flat_workgroup_size: 64
    .name:           _Z16sort_keys_kernelIiLj64ELj8EN10test_utils4lessELj10EEvPKT_PS2_T2_
    .private_segment_fixed_size: 0
    .sgpr_count:     44
    .sgpr_spill_count: 0
    .symbol:         _Z16sort_keys_kernelIiLj64ELj8EN10test_utils4lessELj10EEvPKT_PS2_T2_.kd
    .uniform_work_group_size: 1
    .uses_dynamic_stack: false
    .vgpr_count:     72
    .vgpr_spill_count: 0
    .wavefront_size: 64
  - .agpr_count:     0
    .args:
      - .address_space:  global
        .offset:         0
        .size:           8
        .value_kind:     global_buffer
      - .address_space:  global
        .offset:         8
        .size:           8
        .value_kind:     global_buffer
      - .offset:         16
        .size:           1
        .value_kind:     by_value
    .group_segment_fixed_size: 2052
    .kernarg_segment_align: 8
    .kernarg_segment_size: 20
    .language:       OpenCL C
    .language_version:
      - 2
      - 0
    .max_flat_workgroup_size: 64
    .name:           _Z17sort_pairs_kernelIiLj64ELj8EN10test_utils4lessELj10EEvPKT_PS2_T2_
    .private_segment_fixed_size: 0
    .sgpr_count:     98
    .sgpr_spill_count: 0
    .symbol:         _Z17sort_pairs_kernelIiLj64ELj8EN10test_utils4lessELj10EEvPKT_PS2_T2_.kd
    .uniform_work_group_size: 1
    .uses_dynamic_stack: false
    .vgpr_count:     93
    .vgpr_spill_count: 0
    .wavefront_size: 64
  - .agpr_count:     0
    .args:
      - .address_space:  global
        .offset:         0
        .size:           8
        .value_kind:     global_buffer
      - .address_space:  global
        .offset:         8
        .size:           8
        .value_kind:     global_buffer
      - .offset:         16
        .size:           1
        .value_kind:     by_value
    .group_segment_fixed_size: 516
    .kernarg_segment_align: 8
    .kernarg_segment_size: 20
    .language:       OpenCL C
    .language_version:
      - 2
      - 0
    .max_flat_workgroup_size: 128
    .name:           _Z16sort_keys_kernelIiLj128ELj1EN10test_utils4lessELj10EEvPKT_PS2_T2_
    .private_segment_fixed_size: 0
    .sgpr_count:     30
    .sgpr_spill_count: 0
    .symbol:         _Z16sort_keys_kernelIiLj128ELj1EN10test_utils4lessELj10EEvPKT_PS2_T2_.kd
    .uniform_work_group_size: 1
    .uses_dynamic_stack: false
    .vgpr_count:     60
    .vgpr_spill_count: 0
    .wavefront_size: 64
  - .agpr_count:     0
    .args:
      - .address_space:  global
        .offset:         0
        .size:           8
        .value_kind:     global_buffer
      - .address_space:  global
        .offset:         8
        .size:           8
        .value_kind:     global_buffer
      - .offset:         16
        .size:           1
        .value_kind:     by_value
    .group_segment_fixed_size: 516
    .kernarg_segment_align: 8
    .kernarg_segment_size: 20
    .language:       OpenCL C
    .language_version:
      - 2
      - 0
    .max_flat_workgroup_size: 128
    .name:           _Z17sort_pairs_kernelIiLj128ELj1EN10test_utils4lessELj10EEvPKT_PS2_T2_
    .private_segment_fixed_size: 0
    .sgpr_count:     30
    .sgpr_spill_count: 0
    .symbol:         _Z17sort_pairs_kernelIiLj128ELj1EN10test_utils4lessELj10EEvPKT_PS2_T2_.kd
    .uniform_work_group_size: 1
    .uses_dynamic_stack: false
    .vgpr_count:     66
    .vgpr_spill_count: 0
    .wavefront_size: 64
  - .agpr_count:     0
    .args:
      - .address_space:  global
        .offset:         0
        .size:           8
        .value_kind:     global_buffer
      - .address_space:  global
        .offset:         8
        .size:           8
        .value_kind:     global_buffer
      - .offset:         16
        .size:           1
        .value_kind:     by_value
    .group_segment_fixed_size: 1028
    .kernarg_segment_align: 8
    .kernarg_segment_size: 20
    .language:       OpenCL C
    .language_version:
      - 2
      - 0
    .max_flat_workgroup_size: 128
    .name:           _Z16sort_keys_kernelIiLj128ELj2EN10test_utils4lessELj10EEvPKT_PS2_T2_
    .private_segment_fixed_size: 0
    .sgpr_count:     30
    .sgpr_spill_count: 0
    .symbol:         _Z16sort_keys_kernelIiLj128ELj2EN10test_utils4lessELj10EEvPKT_PS2_T2_.kd
    .uniform_work_group_size: 1
    .uses_dynamic_stack: false
    .vgpr_count:     70
    .vgpr_spill_count: 0
    .wavefront_size: 64
  - .agpr_count:     0
    .args:
      - .address_space:  global
        .offset:         0
        .size:           8
        .value_kind:     global_buffer
      - .address_space:  global
        .offset:         8
        .size:           8
        .value_kind:     global_buffer
      - .offset:         16
        .size:           1
        .value_kind:     by_value
    .group_segment_fixed_size: 1028
    .kernarg_segment_align: 8
    .kernarg_segment_size: 20
    .language:       OpenCL C
    .language_version:
      - 2
      - 0
    .max_flat_workgroup_size: 128
    .name:           _Z17sort_pairs_kernelIiLj128ELj2EN10test_utils4lessELj10EEvPKT_PS2_T2_
    .private_segment_fixed_size: 0
    .sgpr_count:     34
    .sgpr_spill_count: 0
    .symbol:         _Z17sort_pairs_kernelIiLj128ELj2EN10test_utils4lessELj10EEvPKT_PS2_T2_.kd
    .uniform_work_group_size: 1
    .uses_dynamic_stack: false
    .vgpr_count:     72
    .vgpr_spill_count: 0
    .wavefront_size: 64
  - .agpr_count:     0
    .args:
      - .address_space:  global
        .offset:         0
        .size:           8
        .value_kind:     global_buffer
      - .address_space:  global
        .offset:         8
        .size:           8
        .value_kind:     global_buffer
      - .offset:         16
        .size:           1
        .value_kind:     by_value
    .group_segment_fixed_size: 1540
    .kernarg_segment_align: 8
    .kernarg_segment_size: 20
    .language:       OpenCL C
    .language_version:
      - 2
      - 0
    .max_flat_workgroup_size: 128
    .name:           _Z16sort_keys_kernelIiLj128ELj3EN10test_utils4lessELj10EEvPKT_PS2_T2_
    .private_segment_fixed_size: 0
    .sgpr_count:     35
    .sgpr_spill_count: 0
    .symbol:         _Z16sort_keys_kernelIiLj128ELj3EN10test_utils4lessELj10EEvPKT_PS2_T2_.kd
    .uniform_work_group_size: 1
    .uses_dynamic_stack: false
    .vgpr_count:     71
    .vgpr_spill_count: 0
    .wavefront_size: 64
  - .agpr_count:     0
    .args:
      - .address_space:  global
        .offset:         0
        .size:           8
        .value_kind:     global_buffer
      - .address_space:  global
        .offset:         8
        .size:           8
        .value_kind:     global_buffer
      - .offset:         16
        .size:           1
        .value_kind:     by_value
    .group_segment_fixed_size: 1540
    .kernarg_segment_align: 8
    .kernarg_segment_size: 20
    .language:       OpenCL C
    .language_version:
      - 2
      - 0
    .max_flat_workgroup_size: 128
    .name:           _Z17sort_pairs_kernelIiLj128ELj3EN10test_utils4lessELj10EEvPKT_PS2_T2_
    .private_segment_fixed_size: 0
    .sgpr_count:     38
    .sgpr_spill_count: 0
    .symbol:         _Z17sort_pairs_kernelIiLj128ELj3EN10test_utils4lessELj10EEvPKT_PS2_T2_.kd
    .uniform_work_group_size: 1
    .uses_dynamic_stack: false
    .vgpr_count:     76
    .vgpr_spill_count: 0
    .wavefront_size: 64
  - .agpr_count:     0
    .args:
      - .address_space:  global
        .offset:         0
        .size:           8
        .value_kind:     global_buffer
      - .address_space:  global
        .offset:         8
        .size:           8
        .value_kind:     global_buffer
      - .offset:         16
        .size:           1
        .value_kind:     by_value
    .group_segment_fixed_size: 2052
    .kernarg_segment_align: 8
    .kernarg_segment_size: 20
    .language:       OpenCL C
    .language_version:
      - 2
      - 0
    .max_flat_workgroup_size: 128
    .name:           _Z16sort_keys_kernelIiLj128ELj4EN10test_utils4lessELj10EEvPKT_PS2_T2_
    .private_segment_fixed_size: 0
    .sgpr_count:     34
    .sgpr_spill_count: 0
    .symbol:         _Z16sort_keys_kernelIiLj128ELj4EN10test_utils4lessELj10EEvPKT_PS2_T2_.kd
    .uniform_work_group_size: 1
    .uses_dynamic_stack: false
    .vgpr_count:     72
    .vgpr_spill_count: 0
    .wavefront_size: 64
  - .agpr_count:     0
    .args:
      - .address_space:  global
        .offset:         0
        .size:           8
        .value_kind:     global_buffer
      - .address_space:  global
        .offset:         8
        .size:           8
        .value_kind:     global_buffer
      - .offset:         16
        .size:           1
        .value_kind:     by_value
    .group_segment_fixed_size: 2052
    .kernarg_segment_align: 8
    .kernarg_segment_size: 20
    .language:       OpenCL C
    .language_version:
      - 2
      - 0
    .max_flat_workgroup_size: 128
    .name:           _Z17sort_pairs_kernelIiLj128ELj4EN10test_utils4lessELj10EEvPKT_PS2_T2_
    .private_segment_fixed_size: 0
    .sgpr_count:     50
    .sgpr_spill_count: 0
    .symbol:         _Z17sort_pairs_kernelIiLj128ELj4EN10test_utils4lessELj10EEvPKT_PS2_T2_.kd
    .uniform_work_group_size: 1
    .uses_dynamic_stack: false
    .vgpr_count:     82
    .vgpr_spill_count: 0
    .wavefront_size: 64
  - .agpr_count:     0
    .args:
      - .address_space:  global
        .offset:         0
        .size:           8
        .value_kind:     global_buffer
      - .address_space:  global
        .offset:         8
        .size:           8
        .value_kind:     global_buffer
      - .offset:         16
        .size:           1
        .value_kind:     by_value
    .group_segment_fixed_size: 4100
    .kernarg_segment_align: 8
    .kernarg_segment_size: 20
    .language:       OpenCL C
    .language_version:
      - 2
      - 0
    .max_flat_workgroup_size: 128
    .name:           _Z16sort_keys_kernelIiLj128ELj8EN10test_utils4lessELj10EEvPKT_PS2_T2_
    .private_segment_fixed_size: 0
    .sgpr_count:     44
    .sgpr_spill_count: 0
    .symbol:         _Z16sort_keys_kernelIiLj128ELj8EN10test_utils4lessELj10EEvPKT_PS2_T2_.kd
    .uniform_work_group_size: 1
    .uses_dynamic_stack: false
    .vgpr_count:     81
    .vgpr_spill_count: 0
    .wavefront_size: 64
  - .agpr_count:     0
    .args:
      - .address_space:  global
        .offset:         0
        .size:           8
        .value_kind:     global_buffer
      - .address_space:  global
        .offset:         8
        .size:           8
        .value_kind:     global_buffer
      - .offset:         16
        .size:           1
        .value_kind:     by_value
    .group_segment_fixed_size: 4100
    .kernarg_segment_align: 8
    .kernarg_segment_size: 20
    .language:       OpenCL C
    .language_version:
      - 2
      - 0
    .max_flat_workgroup_size: 128
    .name:           _Z17sort_pairs_kernelIiLj128ELj8EN10test_utils4lessELj10EEvPKT_PS2_T2_
    .private_segment_fixed_size: 0
    .sgpr_count:     102
    .sgpr_spill_count: 0
    .symbol:         _Z17sort_pairs_kernelIiLj128ELj8EN10test_utils4lessELj10EEvPKT_PS2_T2_.kd
    .uniform_work_group_size: 1
    .uses_dynamic_stack: false
    .vgpr_count:     102
    .vgpr_spill_count: 0
    .wavefront_size: 64
  - .agpr_count:     0
    .args:
      - .address_space:  global
        .offset:         0
        .size:           8
        .value_kind:     global_buffer
      - .address_space:  global
        .offset:         8
        .size:           8
        .value_kind:     global_buffer
      - .offset:         16
        .size:           1
        .value_kind:     by_value
    .group_segment_fixed_size: 1028
    .kernarg_segment_align: 8
    .kernarg_segment_size: 20
    .language:       OpenCL C
    .language_version:
      - 2
      - 0
    .max_flat_workgroup_size: 256
    .name:           _Z16sort_keys_kernelIiLj256ELj1EN10test_utils4lessELj10EEvPKT_PS2_T2_
    .private_segment_fixed_size: 0
    .sgpr_count:     34
    .sgpr_spill_count: 0
    .symbol:         _Z16sort_keys_kernelIiLj256ELj1EN10test_utils4lessELj10EEvPKT_PS2_T2_.kd
    .uniform_work_group_size: 1
    .uses_dynamic_stack: false
    .vgpr_count:     68
    .vgpr_spill_count: 0
    .wavefront_size: 64
  - .agpr_count:     0
    .args:
      - .address_space:  global
        .offset:         0
        .size:           8
        .value_kind:     global_buffer
      - .address_space:  global
        .offset:         8
        .size:           8
        .value_kind:     global_buffer
      - .offset:         16
        .size:           1
        .value_kind:     by_value
    .group_segment_fixed_size: 1028
    .kernarg_segment_align: 8
    .kernarg_segment_size: 20
    .language:       OpenCL C
    .language_version:
      - 2
      - 0
    .max_flat_workgroup_size: 256
    .name:           _Z17sort_pairs_kernelIiLj256ELj1EN10test_utils4lessELj10EEvPKT_PS2_T2_
    .private_segment_fixed_size: 0
    .sgpr_count:     34
    .sgpr_spill_count: 0
    .symbol:         _Z17sort_pairs_kernelIiLj256ELj1EN10test_utils4lessELj10EEvPKT_PS2_T2_.kd
    .uniform_work_group_size: 1
    .uses_dynamic_stack: false
    .vgpr_count:     76
    .vgpr_spill_count: 0
    .wavefront_size: 64
  - .agpr_count:     0
    .args:
      - .address_space:  global
        .offset:         0
        .size:           8
        .value_kind:     global_buffer
      - .address_space:  global
        .offset:         8
        .size:           8
        .value_kind:     global_buffer
      - .offset:         16
        .size:           1
        .value_kind:     by_value
    .group_segment_fixed_size: 2052
    .kernarg_segment_align: 8
    .kernarg_segment_size: 20
    .language:       OpenCL C
    .language_version:
      - 2
      - 0
    .max_flat_workgroup_size: 256
    .name:           _Z16sort_keys_kernelIiLj256ELj2EN10test_utils4lessELj10EEvPKT_PS2_T2_
    .private_segment_fixed_size: 0
    .sgpr_count:     34
    .sgpr_spill_count: 0
    .symbol:         _Z16sort_keys_kernelIiLj256ELj2EN10test_utils4lessELj10EEvPKT_PS2_T2_.kd
    .uniform_work_group_size: 1
    .uses_dynamic_stack: false
    .vgpr_count:     79
    .vgpr_spill_count: 0
    .wavefront_size: 64
  - .agpr_count:     0
    .args:
      - .address_space:  global
        .offset:         0
        .size:           8
        .value_kind:     global_buffer
      - .address_space:  global
        .offset:         8
        .size:           8
        .value_kind:     global_buffer
      - .offset:         16
        .size:           1
        .value_kind:     by_value
    .group_segment_fixed_size: 2052
    .kernarg_segment_align: 8
    .kernarg_segment_size: 20
    .language:       OpenCL C
    .language_version:
      - 2
      - 0
    .max_flat_workgroup_size: 256
    .name:           _Z17sort_pairs_kernelIiLj256ELj2EN10test_utils4lessELj10EEvPKT_PS2_T2_
    .private_segment_fixed_size: 0
    .sgpr_count:     34
    .sgpr_spill_count: 0
    .symbol:         _Z17sort_pairs_kernelIiLj256ELj2EN10test_utils4lessELj10EEvPKT_PS2_T2_.kd
    .uniform_work_group_size: 1
    .uses_dynamic_stack: false
    .vgpr_count:     81
    .vgpr_spill_count: 0
    .wavefront_size: 64
  - .agpr_count:     0
    .args:
      - .address_space:  global
        .offset:         0
        .size:           8
        .value_kind:     global_buffer
      - .address_space:  global
        .offset:         8
        .size:           8
        .value_kind:     global_buffer
      - .offset:         16
        .size:           1
        .value_kind:     by_value
    .group_segment_fixed_size: 3076
    .kernarg_segment_align: 8
    .kernarg_segment_size: 20
    .language:       OpenCL C
    .language_version:
      - 2
      - 0
    .max_flat_workgroup_size: 256
    .name:           _Z16sort_keys_kernelIiLj256ELj3EN10test_utils4lessELj10EEvPKT_PS2_T2_
    .private_segment_fixed_size: 0
    .sgpr_count:     35
    .sgpr_spill_count: 0
    .symbol:         _Z16sort_keys_kernelIiLj256ELj3EN10test_utils4lessELj10EEvPKT_PS2_T2_.kd
    .uniform_work_group_size: 1
    .uses_dynamic_stack: false
    .vgpr_count:     79
    .vgpr_spill_count: 0
    .wavefront_size: 64
  - .agpr_count:     0
    .args:
      - .address_space:  global
        .offset:         0
        .size:           8
        .value_kind:     global_buffer
      - .address_space:  global
        .offset:         8
        .size:           8
        .value_kind:     global_buffer
      - .offset:         16
        .size:           1
        .value_kind:     by_value
    .group_segment_fixed_size: 3076
    .kernarg_segment_align: 8
    .kernarg_segment_size: 20
    .language:       OpenCL C
    .language_version:
      - 2
      - 0
    .max_flat_workgroup_size: 256
    .name:           _Z17sort_pairs_kernelIiLj256ELj3EN10test_utils4lessELj10EEvPKT_PS2_T2_
    .private_segment_fixed_size: 0
    .sgpr_count:     44
    .sgpr_spill_count: 0
    .symbol:         _Z17sort_pairs_kernelIiLj256ELj3EN10test_utils4lessELj10EEvPKT_PS2_T2_.kd
    .uniform_work_group_size: 1
    .uses_dynamic_stack: false
    .vgpr_count:     86
    .vgpr_spill_count: 0
    .wavefront_size: 64
  - .agpr_count:     0
    .args:
      - .address_space:  global
        .offset:         0
        .size:           8
        .value_kind:     global_buffer
      - .address_space:  global
        .offset:         8
        .size:           8
        .value_kind:     global_buffer
      - .offset:         16
        .size:           1
        .value_kind:     by_value
    .group_segment_fixed_size: 4100
    .kernarg_segment_align: 8
    .kernarg_segment_size: 20
    .language:       OpenCL C
    .language_version:
      - 2
      - 0
    .max_flat_workgroup_size: 256
    .name:           _Z16sort_keys_kernelIiLj256ELj4EN10test_utils4lessELj10EEvPKT_PS2_T2_
    .private_segment_fixed_size: 0
    .sgpr_count:     38
    .sgpr_spill_count: 0
    .symbol:         _Z16sort_keys_kernelIiLj256ELj4EN10test_utils4lessELj10EEvPKT_PS2_T2_.kd
    .uniform_work_group_size: 1
    .uses_dynamic_stack: false
    .vgpr_count:     81
    .vgpr_spill_count: 0
    .wavefront_size: 64
  - .agpr_count:     0
    .args:
      - .address_space:  global
        .offset:         0
        .size:           8
        .value_kind:     global_buffer
      - .address_space:  global
        .offset:         8
        .size:           8
        .value_kind:     global_buffer
      - .offset:         16
        .size:           1
        .value_kind:     by_value
    .group_segment_fixed_size: 4100
    .kernarg_segment_align: 8
    .kernarg_segment_size: 20
    .language:       OpenCL C
    .language_version:
      - 2
      - 0
    .max_flat_workgroup_size: 256
    .name:           _Z17sort_pairs_kernelIiLj256ELj4EN10test_utils4lessELj10EEvPKT_PS2_T2_
    .private_segment_fixed_size: 0
    .sgpr_count:     50
    .sgpr_spill_count: 0
    .symbol:         _Z17sort_pairs_kernelIiLj256ELj4EN10test_utils4lessELj10EEvPKT_PS2_T2_.kd
    .uniform_work_group_size: 1
    .uses_dynamic_stack: false
    .vgpr_count:     91
    .vgpr_spill_count: 0
    .wavefront_size: 64
  - .agpr_count:     0
    .args:
      - .address_space:  global
        .offset:         0
        .size:           8
        .value_kind:     global_buffer
      - .address_space:  global
        .offset:         8
        .size:           8
        .value_kind:     global_buffer
      - .offset:         16
        .size:           1
        .value_kind:     by_value
    .group_segment_fixed_size: 8196
    .kernarg_segment_align: 8
    .kernarg_segment_size: 20
    .language:       OpenCL C
    .language_version:
      - 2
      - 0
    .max_flat_workgroup_size: 256
    .name:           _Z16sort_keys_kernelIiLj256ELj8EN10test_utils4lessELj10EEvPKT_PS2_T2_
    .private_segment_fixed_size: 0
    .sgpr_count:     48
    .sgpr_spill_count: 0
    .symbol:         _Z16sort_keys_kernelIiLj256ELj8EN10test_utils4lessELj10EEvPKT_PS2_T2_.kd
    .uniform_work_group_size: 1
    .uses_dynamic_stack: false
    .vgpr_count:     91
    .vgpr_spill_count: 0
    .wavefront_size: 64
  - .agpr_count:     0
    .args:
      - .address_space:  global
        .offset:         0
        .size:           8
        .value_kind:     global_buffer
      - .address_space:  global
        .offset:         8
        .size:           8
        .value_kind:     global_buffer
      - .offset:         16
        .size:           1
        .value_kind:     by_value
    .group_segment_fixed_size: 8196
    .kernarg_segment_align: 8
    .kernarg_segment_size: 20
    .language:       OpenCL C
    .language_version:
      - 2
      - 0
    .max_flat_workgroup_size: 256
    .name:           _Z17sort_pairs_kernelIiLj256ELj8EN10test_utils4lessELj10EEvPKT_PS2_T2_
    .private_segment_fixed_size: 0
    .sgpr_count:     102
    .sgpr_spill_count: 0
    .symbol:         _Z17sort_pairs_kernelIiLj256ELj8EN10test_utils4lessELj10EEvPKT_PS2_T2_.kd
    .uniform_work_group_size: 1
    .uses_dynamic_stack: false
    .vgpr_count:     110
    .vgpr_spill_count: 0
    .wavefront_size: 64
  - .agpr_count:     0
    .args:
      - .address_space:  global
        .offset:         0
        .size:           8
        .value_kind:     global_buffer
      - .address_space:  global
        .offset:         8
        .size:           8
        .value_kind:     global_buffer
      - .offset:         16
        .size:           1
        .value_kind:     by_value
    .group_segment_fixed_size: 2052
    .kernarg_segment_align: 8
    .kernarg_segment_size: 20
    .language:       OpenCL C
    .language_version:
      - 2
      - 0
    .max_flat_workgroup_size: 512
    .name:           _Z16sort_keys_kernelIiLj512ELj1EN10test_utils4lessELj10EEvPKT_PS2_T2_
    .private_segment_fixed_size: 0
    .sgpr_count:     34
    .sgpr_spill_count: 0
    .symbol:         _Z16sort_keys_kernelIiLj512ELj1EN10test_utils4lessELj10EEvPKT_PS2_T2_.kd
    .uniform_work_group_size: 1
    .uses_dynamic_stack: false
    .vgpr_count:     76
    .vgpr_spill_count: 0
    .wavefront_size: 64
  - .agpr_count:     0
    .args:
      - .address_space:  global
        .offset:         0
        .size:           8
        .value_kind:     global_buffer
      - .address_space:  global
        .offset:         8
        .size:           8
        .value_kind:     global_buffer
      - .offset:         16
        .size:           1
        .value_kind:     by_value
    .group_segment_fixed_size: 2052
    .kernarg_segment_align: 8
    .kernarg_segment_size: 20
    .language:       OpenCL C
    .language_version:
      - 2
      - 0
    .max_flat_workgroup_size: 512
    .name:           _Z17sort_pairs_kernelIiLj512ELj1EN10test_utils4lessELj10EEvPKT_PS2_T2_
    .private_segment_fixed_size: 0
    .sgpr_count:     34
    .sgpr_spill_count: 0
    .symbol:         _Z17sort_pairs_kernelIiLj512ELj1EN10test_utils4lessELj10EEvPKT_PS2_T2_.kd
    .uniform_work_group_size: 1
    .uses_dynamic_stack: false
    .vgpr_count:     84
    .vgpr_spill_count: 0
    .wavefront_size: 64
  - .agpr_count:     0
    .args:
      - .address_space:  global
        .offset:         0
        .size:           8
        .value_kind:     global_buffer
      - .address_space:  global
        .offset:         8
        .size:           8
        .value_kind:     global_buffer
      - .offset:         16
        .size:           1
        .value_kind:     by_value
    .group_segment_fixed_size: 4100
    .kernarg_segment_align: 8
    .kernarg_segment_size: 20
    .language:       OpenCL C
    .language_version:
      - 2
      - 0
    .max_flat_workgroup_size: 512
    .name:           _Z16sort_keys_kernelIiLj512ELj2EN10test_utils4lessELj10EEvPKT_PS2_T2_
    .private_segment_fixed_size: 0
    .sgpr_count:     34
    .sgpr_spill_count: 0
    .symbol:         _Z16sort_keys_kernelIiLj512ELj2EN10test_utils4lessELj10EEvPKT_PS2_T2_.kd
    .uniform_work_group_size: 1
    .uses_dynamic_stack: false
    .vgpr_count:     88
    .vgpr_spill_count: 0
    .wavefront_size: 64
  - .agpr_count:     0
    .args:
      - .address_space:  global
        .offset:         0
        .size:           8
        .value_kind:     global_buffer
      - .address_space:  global
        .offset:         8
        .size:           8
        .value_kind:     global_buffer
      - .offset:         16
        .size:           1
        .value_kind:     by_value
    .group_segment_fixed_size: 4100
    .kernarg_segment_align: 8
    .kernarg_segment_size: 20
    .language:       OpenCL C
    .language_version:
      - 2
      - 0
    .max_flat_workgroup_size: 512
    .name:           _Z17sort_pairs_kernelIiLj512ELj2EN10test_utils4lessELj10EEvPKT_PS2_T2_
    .private_segment_fixed_size: 0
    .sgpr_count:     38
    .sgpr_spill_count: 0
    .symbol:         _Z17sort_pairs_kernelIiLj512ELj2EN10test_utils4lessELj10EEvPKT_PS2_T2_.kd
    .uniform_work_group_size: 1
    .uses_dynamic_stack: false
    .vgpr_count:     91
    .vgpr_spill_count: 0
    .wavefront_size: 64
  - .agpr_count:     0
    .args:
      - .address_space:  global
        .offset:         0
        .size:           8
        .value_kind:     global_buffer
      - .address_space:  global
        .offset:         8
        .size:           8
        .value_kind:     global_buffer
      - .offset:         16
        .size:           1
        .value_kind:     by_value
    .group_segment_fixed_size: 6148
    .kernarg_segment_align: 8
    .kernarg_segment_size: 20
    .language:       OpenCL C
    .language_version:
      - 2
      - 0
    .max_flat_workgroup_size: 512
    .name:           _Z16sort_keys_kernelIiLj512ELj3EN10test_utils4lessELj10EEvPKT_PS2_T2_
    .private_segment_fixed_size: 0
    .sgpr_count:     38
    .sgpr_spill_count: 0
    .symbol:         _Z16sort_keys_kernelIiLj512ELj3EN10test_utils4lessELj10EEvPKT_PS2_T2_.kd
    .uniform_work_group_size: 1
    .uses_dynamic_stack: false
    .vgpr_count:     89
    .vgpr_spill_count: 0
    .wavefront_size: 64
  - .agpr_count:     0
    .args:
      - .address_space:  global
        .offset:         0
        .size:           8
        .value_kind:     global_buffer
      - .address_space:  global
        .offset:         8
        .size:           8
        .value_kind:     global_buffer
      - .offset:         16
        .size:           1
        .value_kind:     by_value
    .group_segment_fixed_size: 6148
    .kernarg_segment_align: 8
    .kernarg_segment_size: 20
    .language:       OpenCL C
    .language_version:
      - 2
      - 0
    .max_flat_workgroup_size: 512
    .name:           _Z17sort_pairs_kernelIiLj512ELj3EN10test_utils4lessELj10EEvPKT_PS2_T2_
    .private_segment_fixed_size: 0
    .sgpr_count:     44
    .sgpr_spill_count: 0
    .symbol:         _Z17sort_pairs_kernelIiLj512ELj3EN10test_utils4lessELj10EEvPKT_PS2_T2_.kd
    .uniform_work_group_size: 1
    .uses_dynamic_stack: false
    .vgpr_count:     95
    .vgpr_spill_count: 0
    .wavefront_size: 64
  - .agpr_count:     0
    .args:
      - .address_space:  global
        .offset:         0
        .size:           8
        .value_kind:     global_buffer
      - .address_space:  global
        .offset:         8
        .size:           8
        .value_kind:     global_buffer
      - .offset:         16
        .size:           1
        .value_kind:     by_value
    .group_segment_fixed_size: 8196
    .kernarg_segment_align: 8
    .kernarg_segment_size: 20
    .language:       OpenCL C
    .language_version:
      - 2
      - 0
    .max_flat_workgroup_size: 512
    .name:           _Z16sort_keys_kernelIiLj512ELj4EN10test_utils4lessELj10EEvPKT_PS2_T2_
    .private_segment_fixed_size: 0
    .sgpr_count:     38
    .sgpr_spill_count: 0
    .symbol:         _Z16sort_keys_kernelIiLj512ELj4EN10test_utils4lessELj10EEvPKT_PS2_T2_.kd
    .uniform_work_group_size: 1
    .uses_dynamic_stack: false
    .vgpr_count:     91
    .vgpr_spill_count: 0
    .wavefront_size: 64
  - .agpr_count:     0
    .args:
      - .address_space:  global
        .offset:         0
        .size:           8
        .value_kind:     global_buffer
      - .address_space:  global
        .offset:         8
        .size:           8
        .value_kind:     global_buffer
      - .offset:         16
        .size:           1
        .value_kind:     by_value
    .group_segment_fixed_size: 8196
    .kernarg_segment_align: 8
    .kernarg_segment_size: 20
    .language:       OpenCL C
    .language_version:
      - 2
      - 0
    .max_flat_workgroup_size: 512
    .name:           _Z17sort_pairs_kernelIiLj512ELj4EN10test_utils4lessELj10EEvPKT_PS2_T2_
    .private_segment_fixed_size: 0
    .sgpr_count:     54
    .sgpr_spill_count: 0
    .symbol:         _Z17sort_pairs_kernelIiLj512ELj4EN10test_utils4lessELj10EEvPKT_PS2_T2_.kd
    .uniform_work_group_size: 1
    .uses_dynamic_stack: false
    .vgpr_count:     99
    .vgpr_spill_count: 0
    .wavefront_size: 64
  - .agpr_count:     0
    .args:
      - .address_space:  global
        .offset:         0
        .size:           8
        .value_kind:     global_buffer
      - .address_space:  global
        .offset:         8
        .size:           8
        .value_kind:     global_buffer
      - .offset:         16
        .size:           1
        .value_kind:     by_value
    .group_segment_fixed_size: 16388
    .kernarg_segment_align: 8
    .kernarg_segment_size: 20
    .language:       OpenCL C
    .language_version:
      - 2
      - 0
    .max_flat_workgroup_size: 512
    .name:           _Z16sort_keys_kernelIiLj512ELj8EN10test_utils4lessELj10EEvPKT_PS2_T2_
    .private_segment_fixed_size: 0
    .sgpr_count:     50
    .sgpr_spill_count: 0
    .symbol:         _Z16sort_keys_kernelIiLj512ELj8EN10test_utils4lessELj10EEvPKT_PS2_T2_.kd
    .uniform_work_group_size: 1
    .uses_dynamic_stack: false
    .vgpr_count:     100
    .vgpr_spill_count: 0
    .wavefront_size: 64
  - .agpr_count:     0
    .args:
      - .address_space:  global
        .offset:         0
        .size:           8
        .value_kind:     global_buffer
      - .address_space:  global
        .offset:         8
        .size:           8
        .value_kind:     global_buffer
      - .offset:         16
        .size:           1
        .value_kind:     by_value
    .group_segment_fixed_size: 16388
    .kernarg_segment_align: 8
    .kernarg_segment_size: 20
    .language:       OpenCL C
    .language_version:
      - 2
      - 0
    .max_flat_workgroup_size: 512
    .name:           _Z17sort_pairs_kernelIiLj512ELj8EN10test_utils4lessELj10EEvPKT_PS2_T2_
    .private_segment_fixed_size: 0
    .sgpr_count:     106
    .sgpr_spill_count: 0
    .symbol:         _Z17sort_pairs_kernelIiLj512ELj8EN10test_utils4lessELj10EEvPKT_PS2_T2_.kd
    .uniform_work_group_size: 1
    .uses_dynamic_stack: false
    .vgpr_count:     120
    .vgpr_spill_count: 0
    .wavefront_size: 64
  - .agpr_count:     0
    .args:
      - .address_space:  global
        .offset:         0
        .size:           8
        .value_kind:     global_buffer
      - .address_space:  global
        .offset:         8
        .size:           8
        .value_kind:     global_buffer
      - .offset:         16
        .size:           1
        .value_kind:     by_value
    .group_segment_fixed_size: 65
    .kernarg_segment_align: 8
    .kernarg_segment_size: 20
    .language:       OpenCL C
    .language_version:
      - 2
      - 0
    .max_flat_workgroup_size: 64
    .name:           _Z16sort_keys_kernelIaLj64ELj1EN10test_utils4lessELj10EEvPKT_PS2_T2_
    .private_segment_fixed_size: 0
    .sgpr_count:     26
    .sgpr_spill_count: 0
    .symbol:         _Z16sort_keys_kernelIaLj64ELj1EN10test_utils4lessELj10EEvPKT_PS2_T2_.kd
    .uniform_work_group_size: 1
    .uses_dynamic_stack: false
    .vgpr_count:     50
    .vgpr_spill_count: 0
    .wavefront_size: 64
  - .agpr_count:     0
    .args:
      - .address_space:  global
        .offset:         0
        .size:           8
        .value_kind:     global_buffer
      - .address_space:  global
        .offset:         8
        .size:           8
        .value_kind:     global_buffer
      - .offset:         16
        .size:           1
        .value_kind:     by_value
    .group_segment_fixed_size: 65
    .kernarg_segment_align: 8
    .kernarg_segment_size: 20
    .language:       OpenCL C
    .language_version:
      - 2
      - 0
    .max_flat_workgroup_size: 64
    .name:           _Z17sort_pairs_kernelIaLj64ELj1EN10test_utils4lessELj10EEvPKT_PS2_T2_
    .private_segment_fixed_size: 0
    .sgpr_count:     26
    .sgpr_spill_count: 0
    .symbol:         _Z17sort_pairs_kernelIaLj64ELj1EN10test_utils4lessELj10EEvPKT_PS2_T2_.kd
    .uniform_work_group_size: 1
    .uses_dynamic_stack: false
    .vgpr_count:     46
    .vgpr_spill_count: 0
    .wavefront_size: 64
  - .agpr_count:     0
    .args:
      - .address_space:  global
        .offset:         0
        .size:           8
        .value_kind:     global_buffer
      - .address_space:  global
        .offset:         8
        .size:           8
        .value_kind:     global_buffer
      - .offset:         16
        .size:           1
        .value_kind:     by_value
    .group_segment_fixed_size: 129
    .kernarg_segment_align: 8
    .kernarg_segment_size: 20
    .language:       OpenCL C
    .language_version:
      - 2
      - 0
    .max_flat_workgroup_size: 64
    .name:           _Z16sort_keys_kernelIaLj64ELj2EN10test_utils4lessELj10EEvPKT_PS2_T2_
    .private_segment_fixed_size: 0
    .sgpr_count:     28
    .sgpr_spill_count: 0
    .symbol:         _Z16sort_keys_kernelIaLj64ELj2EN10test_utils4lessELj10EEvPKT_PS2_T2_.kd
    .uniform_work_group_size: 1
    .uses_dynamic_stack: false
    .vgpr_count:     48
    .vgpr_spill_count: 0
    .wavefront_size: 64
  - .agpr_count:     0
    .args:
      - .address_space:  global
        .offset:         0
        .size:           8
        .value_kind:     global_buffer
      - .address_space:  global
        .offset:         8
        .size:           8
        .value_kind:     global_buffer
      - .offset:         16
        .size:           1
        .value_kind:     by_value
    .group_segment_fixed_size: 129
    .kernarg_segment_align: 8
    .kernarg_segment_size: 20
    .language:       OpenCL C
    .language_version:
      - 2
      - 0
    .max_flat_workgroup_size: 64
    .name:           _Z17sort_pairs_kernelIaLj64ELj2EN10test_utils4lessELj10EEvPKT_PS2_T2_
    .private_segment_fixed_size: 0
    .sgpr_count:     30
    .sgpr_spill_count: 0
    .symbol:         _Z17sort_pairs_kernelIaLj64ELj2EN10test_utils4lessELj10EEvPKT_PS2_T2_.kd
    .uniform_work_group_size: 1
    .uses_dynamic_stack: false
    .vgpr_count:     51
    .vgpr_spill_count: 0
    .wavefront_size: 64
  - .agpr_count:     0
    .args:
      - .address_space:  global
        .offset:         0
        .size:           8
        .value_kind:     global_buffer
      - .address_space:  global
        .offset:         8
        .size:           8
        .value_kind:     global_buffer
      - .offset:         16
        .size:           1
        .value_kind:     by_value
    .group_segment_fixed_size: 193
    .kernarg_segment_align: 8
    .kernarg_segment_size: 20
    .language:       OpenCL C
    .language_version:
      - 2
      - 0
    .max_flat_workgroup_size: 64
    .name:           _Z16sort_keys_kernelIaLj64ELj3EN10test_utils4lessELj10EEvPKT_PS2_T2_
    .private_segment_fixed_size: 0
    .sgpr_count:     32
    .sgpr_spill_count: 0
    .symbol:         _Z16sort_keys_kernelIaLj64ELj3EN10test_utils4lessELj10EEvPKT_PS2_T2_.kd
    .uniform_work_group_size: 1
    .uses_dynamic_stack: false
    .vgpr_count:     51
    .vgpr_spill_count: 0
    .wavefront_size: 64
  - .agpr_count:     0
    .args:
      - .address_space:  global
        .offset:         0
        .size:           8
        .value_kind:     global_buffer
      - .address_space:  global
        .offset:         8
        .size:           8
        .value_kind:     global_buffer
      - .offset:         16
        .size:           1
        .value_kind:     by_value
    .group_segment_fixed_size: 193
    .kernarg_segment_align: 8
    .kernarg_segment_size: 20
    .language:       OpenCL C
    .language_version:
      - 2
      - 0
    .max_flat_workgroup_size: 64
    .name:           _Z17sort_pairs_kernelIaLj64ELj3EN10test_utils4lessELj10EEvPKT_PS2_T2_
    .private_segment_fixed_size: 0
    .sgpr_count:     42
    .sgpr_spill_count: 0
    .symbol:         _Z17sort_pairs_kernelIaLj64ELj3EN10test_utils4lessELj10EEvPKT_PS2_T2_.kd
    .uniform_work_group_size: 1
    .uses_dynamic_stack: false
    .vgpr_count:     57
    .vgpr_spill_count: 0
    .wavefront_size: 64
  - .agpr_count:     0
    .args:
      - .address_space:  global
        .offset:         0
        .size:           8
        .value_kind:     global_buffer
      - .address_space:  global
        .offset:         8
        .size:           8
        .value_kind:     global_buffer
      - .offset:         16
        .size:           1
        .value_kind:     by_value
    .group_segment_fixed_size: 257
    .kernarg_segment_align: 8
    .kernarg_segment_size: 20
    .language:       OpenCL C
    .language_version:
      - 2
      - 0
    .max_flat_workgroup_size: 64
    .name:           _Z16sort_keys_kernelIaLj64ELj4EN10test_utils4lessELj10EEvPKT_PS2_T2_
    .private_segment_fixed_size: 0
    .sgpr_count:     36
    .sgpr_spill_count: 0
    .symbol:         _Z16sort_keys_kernelIaLj64ELj4EN10test_utils4lessELj10EEvPKT_PS2_T2_.kd
    .uniform_work_group_size: 1
    .uses_dynamic_stack: false
    .vgpr_count:     53
    .vgpr_spill_count: 0
    .wavefront_size: 64
  - .agpr_count:     0
    .args:
      - .address_space:  global
        .offset:         0
        .size:           8
        .value_kind:     global_buffer
      - .address_space:  global
        .offset:         8
        .size:           8
        .value_kind:     global_buffer
      - .offset:         16
        .size:           1
        .value_kind:     by_value
    .group_segment_fixed_size: 257
    .kernarg_segment_align: 8
    .kernarg_segment_size: 20
    .language:       OpenCL C
    .language_version:
      - 2
      - 0
    .max_flat_workgroup_size: 64
    .name:           _Z17sort_pairs_kernelIaLj64ELj4EN10test_utils4lessELj10EEvPKT_PS2_T2_
    .private_segment_fixed_size: 0
    .sgpr_count:     50
    .sgpr_spill_count: 0
    .symbol:         _Z17sort_pairs_kernelIaLj64ELj4EN10test_utils4lessELj10EEvPKT_PS2_T2_.kd
    .uniform_work_group_size: 1
    .uses_dynamic_stack: false
    .vgpr_count:     62
    .vgpr_spill_count: 0
    .wavefront_size: 64
  - .agpr_count:     0
    .args:
      - .address_space:  global
        .offset:         0
        .size:           8
        .value_kind:     global_buffer
      - .address_space:  global
        .offset:         8
        .size:           8
        .value_kind:     global_buffer
      - .offset:         16
        .size:           1
        .value_kind:     by_value
    .group_segment_fixed_size: 513
    .kernarg_segment_align: 8
    .kernarg_segment_size: 20
    .language:       OpenCL C
    .language_version:
      - 2
      - 0
    .max_flat_workgroup_size: 64
    .name:           _Z16sort_keys_kernelIaLj64ELj8EN10test_utils4lessELj10EEvPKT_PS2_T2_
    .private_segment_fixed_size: 0
    .sgpr_count:     48
    .sgpr_spill_count: 0
    .symbol:         _Z16sort_keys_kernelIaLj64ELj8EN10test_utils4lessELj10EEvPKT_PS2_T2_.kd
    .uniform_work_group_size: 1
    .uses_dynamic_stack: false
    .vgpr_count:     61
    .vgpr_spill_count: 0
    .wavefront_size: 64
  - .agpr_count:     0
    .args:
      - .address_space:  global
        .offset:         0
        .size:           8
        .value_kind:     global_buffer
      - .address_space:  global
        .offset:         8
        .size:           8
        .value_kind:     global_buffer
      - .offset:         16
        .size:           1
        .value_kind:     by_value
    .group_segment_fixed_size: 513
    .kernarg_segment_align: 8
    .kernarg_segment_size: 20
    .language:       OpenCL C
    .language_version:
      - 2
      - 0
    .max_flat_workgroup_size: 64
    .name:           _Z17sort_pairs_kernelIaLj64ELj8EN10test_utils4lessELj10EEvPKT_PS2_T2_
    .private_segment_fixed_size: 0
    .sgpr_count:     104
    .sgpr_spill_count: 0
    .symbol:         _Z17sort_pairs_kernelIaLj64ELj8EN10test_utils4lessELj10EEvPKT_PS2_T2_.kd
    .uniform_work_group_size: 1
    .uses_dynamic_stack: false
    .vgpr_count:     82
    .vgpr_spill_count: 0
    .wavefront_size: 64
  - .agpr_count:     0
    .args:
      - .address_space:  global
        .offset:         0
        .size:           8
        .value_kind:     global_buffer
      - .address_space:  global
        .offset:         8
        .size:           8
        .value_kind:     global_buffer
      - .offset:         16
        .size:           1
        .value_kind:     by_value
    .group_segment_fixed_size: 129
    .kernarg_segment_align: 8
    .kernarg_segment_size: 20
    .language:       OpenCL C
    .language_version:
      - 2
      - 0
    .max_flat_workgroup_size: 128
    .name:           _Z16sort_keys_kernelIaLj128ELj1EN10test_utils4lessELj10EEvPKT_PS2_T2_
    .private_segment_fixed_size: 0
    .sgpr_count:     29
    .sgpr_spill_count: 0
    .symbol:         _Z16sort_keys_kernelIaLj128ELj1EN10test_utils4lessELj10EEvPKT_PS2_T2_.kd
    .uniform_work_group_size: 1
    .uses_dynamic_stack: false
    .vgpr_count:     58
    .vgpr_spill_count: 0
    .wavefront_size: 64
  - .agpr_count:     0
    .args:
      - .address_space:  global
        .offset:         0
        .size:           8
        .value_kind:     global_buffer
      - .address_space:  global
        .offset:         8
        .size:           8
        .value_kind:     global_buffer
      - .offset:         16
        .size:           1
        .value_kind:     by_value
    .group_segment_fixed_size: 129
    .kernarg_segment_align: 8
    .kernarg_segment_size: 20
    .language:       OpenCL C
    .language_version:
      - 2
      - 0
    .max_flat_workgroup_size: 128
    .name:           _Z17sort_pairs_kernelIaLj128ELj1EN10test_utils4lessELj10EEvPKT_PS2_T2_
    .private_segment_fixed_size: 0
    .sgpr_count:     29
    .sgpr_spill_count: 0
    .symbol:         _Z17sort_pairs_kernelIaLj128ELj1EN10test_utils4lessELj10EEvPKT_PS2_T2_.kd
    .uniform_work_group_size: 1
    .uses_dynamic_stack: false
    .vgpr_count:     53
    .vgpr_spill_count: 0
    .wavefront_size: 64
  - .agpr_count:     0
    .args:
      - .address_space:  global
        .offset:         0
        .size:           8
        .value_kind:     global_buffer
      - .address_space:  global
        .offset:         8
        .size:           8
        .value_kind:     global_buffer
      - .offset:         16
        .size:           1
        .value_kind:     by_value
    .group_segment_fixed_size: 257
    .kernarg_segment_align: 8
    .kernarg_segment_size: 20
    .language:       OpenCL C
    .language_version:
      - 2
      - 0
    .max_flat_workgroup_size: 128
    .name:           _Z16sort_keys_kernelIaLj128ELj2EN10test_utils4lessELj10EEvPKT_PS2_T2_
    .private_segment_fixed_size: 0
    .sgpr_count:     30
    .sgpr_spill_count: 0
    .symbol:         _Z16sort_keys_kernelIaLj128ELj2EN10test_utils4lessELj10EEvPKT_PS2_T2_.kd
    .uniform_work_group_size: 1
    .uses_dynamic_stack: false
    .vgpr_count:     56
    .vgpr_spill_count: 0
    .wavefront_size: 64
  - .agpr_count:     0
    .args:
      - .address_space:  global
        .offset:         0
        .size:           8
        .value_kind:     global_buffer
      - .address_space:  global
        .offset:         8
        .size:           8
        .value_kind:     global_buffer
      - .offset:         16
        .size:           1
        .value_kind:     by_value
    .group_segment_fixed_size: 257
    .kernarg_segment_align: 8
    .kernarg_segment_size: 20
    .language:       OpenCL C
    .language_version:
      - 2
      - 0
    .max_flat_workgroup_size: 128
    .name:           _Z17sort_pairs_kernelIaLj128ELj2EN10test_utils4lessELj10EEvPKT_PS2_T2_
    .private_segment_fixed_size: 0
    .sgpr_count:     32
    .sgpr_spill_count: 0
    .symbol:         _Z17sort_pairs_kernelIaLj128ELj2EN10test_utils4lessELj10EEvPKT_PS2_T2_.kd
    .uniform_work_group_size: 1
    .uses_dynamic_stack: false
    .vgpr_count:     59
    .vgpr_spill_count: 0
    .wavefront_size: 64
  - .agpr_count:     0
    .args:
      - .address_space:  global
        .offset:         0
        .size:           8
        .value_kind:     global_buffer
      - .address_space:  global
        .offset:         8
        .size:           8
        .value_kind:     global_buffer
      - .offset:         16
        .size:           1
        .value_kind:     by_value
    .group_segment_fixed_size: 385
    .kernarg_segment_align: 8
    .kernarg_segment_size: 20
    .language:       OpenCL C
    .language_version:
      - 2
      - 0
    .max_flat_workgroup_size: 128
    .name:           _Z16sort_keys_kernelIaLj128ELj3EN10test_utils4lessELj10EEvPKT_PS2_T2_
    .private_segment_fixed_size: 0
    .sgpr_count:     34
    .sgpr_spill_count: 0
    .symbol:         _Z16sort_keys_kernelIaLj128ELj3EN10test_utils4lessELj10EEvPKT_PS2_T2_.kd
    .uniform_work_group_size: 1
    .uses_dynamic_stack: false
    .vgpr_count:     58
    .vgpr_spill_count: 0
    .wavefront_size: 64
  - .agpr_count:     0
    .args:
      - .address_space:  global
        .offset:         0
        .size:           8
        .value_kind:     global_buffer
      - .address_space:  global
        .offset:         8
        .size:           8
        .value_kind:     global_buffer
      - .offset:         16
        .size:           1
        .value_kind:     by_value
    .group_segment_fixed_size: 385
    .kernarg_segment_align: 8
    .kernarg_segment_size: 20
    .language:       OpenCL C
    .language_version:
      - 2
      - 0
    .max_flat_workgroup_size: 128
    .name:           _Z17sort_pairs_kernelIaLj128ELj3EN10test_utils4lessELj10EEvPKT_PS2_T2_
    .private_segment_fixed_size: 0
    .sgpr_count:     42
    .sgpr_spill_count: 0
    .symbol:         _Z17sort_pairs_kernelIaLj128ELj3EN10test_utils4lessELj10EEvPKT_PS2_T2_.kd
    .uniform_work_group_size: 1
    .uses_dynamic_stack: false
    .vgpr_count:     64
    .vgpr_spill_count: 0
    .wavefront_size: 64
  - .agpr_count:     0
    .args:
      - .address_space:  global
        .offset:         0
        .size:           8
        .value_kind:     global_buffer
      - .address_space:  global
        .offset:         8
        .size:           8
        .value_kind:     global_buffer
      - .offset:         16
        .size:           1
        .value_kind:     by_value
    .group_segment_fixed_size: 513
    .kernarg_segment_align: 8
    .kernarg_segment_size: 20
    .language:       OpenCL C
    .language_version:
      - 2
      - 0
    .max_flat_workgroup_size: 128
    .name:           _Z16sort_keys_kernelIaLj128ELj4EN10test_utils4lessELj10EEvPKT_PS2_T2_
    .private_segment_fixed_size: 0
    .sgpr_count:     38
    .sgpr_spill_count: 0
    .symbol:         _Z16sort_keys_kernelIaLj128ELj4EN10test_utils4lessELj10EEvPKT_PS2_T2_.kd
    .uniform_work_group_size: 1
    .uses_dynamic_stack: false
    .vgpr_count:     60
    .vgpr_spill_count: 0
    .wavefront_size: 64
  - .agpr_count:     0
    .args:
      - .address_space:  global
        .offset:         0
        .size:           8
        .value_kind:     global_buffer
      - .address_space:  global
        .offset:         8
        .size:           8
        .value_kind:     global_buffer
      - .offset:         16
        .size:           1
        .value_kind:     by_value
    .group_segment_fixed_size: 513
    .kernarg_segment_align: 8
    .kernarg_segment_size: 20
    .language:       OpenCL C
    .language_version:
      - 2
      - 0
    .max_flat_workgroup_size: 128
    .name:           _Z17sort_pairs_kernelIaLj128ELj4EN10test_utils4lessELj10EEvPKT_PS2_T2_
    .private_segment_fixed_size: 0
    .sgpr_count:     52
    .sgpr_spill_count: 0
    .symbol:         _Z17sort_pairs_kernelIaLj128ELj4EN10test_utils4lessELj10EEvPKT_PS2_T2_.kd
    .uniform_work_group_size: 1
    .uses_dynamic_stack: false
    .vgpr_count:     69
    .vgpr_spill_count: 0
    .wavefront_size: 64
  - .agpr_count:     0
    .args:
      - .address_space:  global
        .offset:         0
        .size:           8
        .value_kind:     global_buffer
      - .address_space:  global
        .offset:         8
        .size:           8
        .value_kind:     global_buffer
      - .offset:         16
        .size:           1
        .value_kind:     by_value
    .group_segment_fixed_size: 1025
    .kernarg_segment_align: 8
    .kernarg_segment_size: 20
    .language:       OpenCL C
    .language_version:
      - 2
      - 0
    .max_flat_workgroup_size: 128
    .name:           _Z16sort_keys_kernelIaLj128ELj8EN10test_utils4lessELj10EEvPKT_PS2_T2_
    .private_segment_fixed_size: 0
    .sgpr_count:     50
    .sgpr_spill_count: 0
    .symbol:         _Z16sort_keys_kernelIaLj128ELj8EN10test_utils4lessELj10EEvPKT_PS2_T2_.kd
    .uniform_work_group_size: 1
    .uses_dynamic_stack: false
    .vgpr_count:     68
    .vgpr_spill_count: 0
    .wavefront_size: 64
  - .agpr_count:     0
    .args:
      - .address_space:  global
        .offset:         0
        .size:           8
        .value_kind:     global_buffer
      - .address_space:  global
        .offset:         8
        .size:           8
        .value_kind:     global_buffer
      - .offset:         16
        .size:           1
        .value_kind:     by_value
    .group_segment_fixed_size: 1025
    .kernarg_segment_align: 8
    .kernarg_segment_size: 20
    .language:       OpenCL C
    .language_version:
      - 2
      - 0
    .max_flat_workgroup_size: 128
    .name:           _Z17sort_pairs_kernelIaLj128ELj8EN10test_utils4lessELj10EEvPKT_PS2_T2_
    .private_segment_fixed_size: 0
    .sgpr_count:     106
    .sgpr_spill_count: 4
    .symbol:         _Z17sort_pairs_kernelIaLj128ELj8EN10test_utils4lessELj10EEvPKT_PS2_T2_.kd
    .uniform_work_group_size: 1
    .uses_dynamic_stack: false
    .vgpr_count:     90
    .vgpr_spill_count: 0
    .wavefront_size: 64
  - .agpr_count:     0
    .args:
      - .address_space:  global
        .offset:         0
        .size:           8
        .value_kind:     global_buffer
      - .address_space:  global
        .offset:         8
        .size:           8
        .value_kind:     global_buffer
      - .offset:         16
        .size:           1
        .value_kind:     by_value
    .group_segment_fixed_size: 257
    .kernarg_segment_align: 8
    .kernarg_segment_size: 20
    .language:       OpenCL C
    .language_version:
      - 2
      - 0
    .max_flat_workgroup_size: 256
    .name:           _Z16sort_keys_kernelIaLj256ELj1EN10test_utils4lessELj10EEvPKT_PS2_T2_
    .private_segment_fixed_size: 0
    .sgpr_count:     31
    .sgpr_spill_count: 0
    .symbol:         _Z16sort_keys_kernelIaLj256ELj1EN10test_utils4lessELj10EEvPKT_PS2_T2_.kd
    .uniform_work_group_size: 1
    .uses_dynamic_stack: false
    .vgpr_count:     67
    .vgpr_spill_count: 0
    .wavefront_size: 64
  - .agpr_count:     0
    .args:
      - .address_space:  global
        .offset:         0
        .size:           8
        .value_kind:     global_buffer
      - .address_space:  global
        .offset:         8
        .size:           8
        .value_kind:     global_buffer
      - .offset:         16
        .size:           1
        .value_kind:     by_value
    .group_segment_fixed_size: 257
    .kernarg_segment_align: 8
    .kernarg_segment_size: 20
    .language:       OpenCL C
    .language_version:
      - 2
      - 0
    .max_flat_workgroup_size: 256
    .name:           _Z17sort_pairs_kernelIaLj256ELj1EN10test_utils4lessELj10EEvPKT_PS2_T2_
    .private_segment_fixed_size: 0
    .sgpr_count:     31
    .sgpr_spill_count: 0
    .symbol:         _Z17sort_pairs_kernelIaLj256ELj1EN10test_utils4lessELj10EEvPKT_PS2_T2_.kd
    .uniform_work_group_size: 1
    .uses_dynamic_stack: false
    .vgpr_count:     61
    .vgpr_spill_count: 0
    .wavefront_size: 64
  - .agpr_count:     0
    .args:
      - .address_space:  global
        .offset:         0
        .size:           8
        .value_kind:     global_buffer
      - .address_space:  global
        .offset:         8
        .size:           8
        .value_kind:     global_buffer
      - .offset:         16
        .size:           1
        .value_kind:     by_value
    .group_segment_fixed_size: 513
    .kernarg_segment_align: 8
    .kernarg_segment_size: 20
    .language:       OpenCL C
    .language_version:
      - 2
      - 0
    .max_flat_workgroup_size: 256
    .name:           _Z16sort_keys_kernelIaLj256ELj2EN10test_utils4lessELj10EEvPKT_PS2_T2_
    .private_segment_fixed_size: 0
    .sgpr_count:     32
    .sgpr_spill_count: 0
    .symbol:         _Z16sort_keys_kernelIaLj256ELj2EN10test_utils4lessELj10EEvPKT_PS2_T2_.kd
    .uniform_work_group_size: 1
    .uses_dynamic_stack: false
    .vgpr_count:     63
    .vgpr_spill_count: 0
    .wavefront_size: 64
  - .agpr_count:     0
    .args:
      - .address_space:  global
        .offset:         0
        .size:           8
        .value_kind:     global_buffer
      - .address_space:  global
        .offset:         8
        .size:           8
        .value_kind:     global_buffer
      - .offset:         16
        .size:           1
        .value_kind:     by_value
    .group_segment_fixed_size: 513
    .kernarg_segment_align: 8
    .kernarg_segment_size: 20
    .language:       OpenCL C
    .language_version:
      - 2
      - 0
    .max_flat_workgroup_size: 256
    .name:           _Z17sort_pairs_kernelIaLj256ELj2EN10test_utils4lessELj10EEvPKT_PS2_T2_
    .private_segment_fixed_size: 0
    .sgpr_count:     34
    .sgpr_spill_count: 0
    .symbol:         _Z17sort_pairs_kernelIaLj256ELj2EN10test_utils4lessELj10EEvPKT_PS2_T2_.kd
    .uniform_work_group_size: 1
    .uses_dynamic_stack: false
    .vgpr_count:     66
    .vgpr_spill_count: 0
    .wavefront_size: 64
  - .agpr_count:     0
    .args:
      - .address_space:  global
        .offset:         0
        .size:           8
        .value_kind:     global_buffer
      - .address_space:  global
        .offset:         8
        .size:           8
        .value_kind:     global_buffer
      - .offset:         16
        .size:           1
        .value_kind:     by_value
    .group_segment_fixed_size: 769
    .kernarg_segment_align: 8
    .kernarg_segment_size: 20
    .language:       OpenCL C
    .language_version:
      - 2
      - 0
    .max_flat_workgroup_size: 256
    .name:           _Z16sort_keys_kernelIaLj256ELj3EN10test_utils4lessELj10EEvPKT_PS2_T2_
    .private_segment_fixed_size: 0
    .sgpr_count:     36
    .sgpr_spill_count: 0
    .symbol:         _Z16sort_keys_kernelIaLj256ELj3EN10test_utils4lessELj10EEvPKT_PS2_T2_.kd
    .uniform_work_group_size: 1
    .uses_dynamic_stack: false
    .vgpr_count:     65
    .vgpr_spill_count: 0
    .wavefront_size: 64
  - .agpr_count:     0
    .args:
      - .address_space:  global
        .offset:         0
        .size:           8
        .value_kind:     global_buffer
      - .address_space:  global
        .offset:         8
        .size:           8
        .value_kind:     global_buffer
      - .offset:         16
        .size:           1
        .value_kind:     by_value
    .group_segment_fixed_size: 769
    .kernarg_segment_align: 8
    .kernarg_segment_size: 20
    .language:       OpenCL C
    .language_version:
      - 2
      - 0
    .max_flat_workgroup_size: 256
    .name:           _Z17sort_pairs_kernelIaLj256ELj3EN10test_utils4lessELj10EEvPKT_PS2_T2_
    .private_segment_fixed_size: 0
    .sgpr_count:     44
    .sgpr_spill_count: 0
    .symbol:         _Z17sort_pairs_kernelIaLj256ELj3EN10test_utils4lessELj10EEvPKT_PS2_T2_.kd
    .uniform_work_group_size: 1
    .uses_dynamic_stack: false
    .vgpr_count:     71
    .vgpr_spill_count: 0
    .wavefront_size: 64
  - .agpr_count:     0
    .args:
      - .address_space:  global
        .offset:         0
        .size:           8
        .value_kind:     global_buffer
      - .address_space:  global
        .offset:         8
        .size:           8
        .value_kind:     global_buffer
      - .offset:         16
        .size:           1
        .value_kind:     by_value
    .group_segment_fixed_size: 1025
    .kernarg_segment_align: 8
    .kernarg_segment_size: 20
    .language:       OpenCL C
    .language_version:
      - 2
      - 0
    .max_flat_workgroup_size: 256
    .name:           _Z16sort_keys_kernelIaLj256ELj4EN10test_utils4lessELj10EEvPKT_PS2_T2_
    .private_segment_fixed_size: 0
    .sgpr_count:     42
    .sgpr_spill_count: 0
    .symbol:         _Z16sort_keys_kernelIaLj256ELj4EN10test_utils4lessELj10EEvPKT_PS2_T2_.kd
    .uniform_work_group_size: 1
    .uses_dynamic_stack: false
    .vgpr_count:     67
    .vgpr_spill_count: 0
    .wavefront_size: 64
  - .agpr_count:     0
    .args:
      - .address_space:  global
        .offset:         0
        .size:           8
        .value_kind:     global_buffer
      - .address_space:  global
        .offset:         8
        .size:           8
        .value_kind:     global_buffer
      - .offset:         16
        .size:           1
        .value_kind:     by_value
    .group_segment_fixed_size: 1025
    .kernarg_segment_align: 8
    .kernarg_segment_size: 20
    .language:       OpenCL C
    .language_version:
      - 2
      - 0
    .max_flat_workgroup_size: 256
    .name:           _Z17sort_pairs_kernelIaLj256ELj4EN10test_utils4lessELj10EEvPKT_PS2_T2_
    .private_segment_fixed_size: 0
    .sgpr_count:     54
    .sgpr_spill_count: 0
    .symbol:         _Z17sort_pairs_kernelIaLj256ELj4EN10test_utils4lessELj10EEvPKT_PS2_T2_.kd
    .uniform_work_group_size: 1
    .uses_dynamic_stack: false
    .vgpr_count:     76
    .vgpr_spill_count: 0
    .wavefront_size: 64
  - .agpr_count:     0
    .args:
      - .address_space:  global
        .offset:         0
        .size:           8
        .value_kind:     global_buffer
      - .address_space:  global
        .offset:         8
        .size:           8
        .value_kind:     global_buffer
      - .offset:         16
        .size:           1
        .value_kind:     by_value
    .group_segment_fixed_size: 2049
    .kernarg_segment_align: 8
    .kernarg_segment_size: 20
    .language:       OpenCL C
    .language_version:
      - 2
      - 0
    .max_flat_workgroup_size: 256
    .name:           _Z16sort_keys_kernelIaLj256ELj8EN10test_utils4lessELj10EEvPKT_PS2_T2_
    .private_segment_fixed_size: 0
    .sgpr_count:     52
    .sgpr_spill_count: 0
    .symbol:         _Z16sort_keys_kernelIaLj256ELj8EN10test_utils4lessELj10EEvPKT_PS2_T2_.kd
    .uniform_work_group_size: 1
    .uses_dynamic_stack: false
    .vgpr_count:     75
    .vgpr_spill_count: 0
    .wavefront_size: 64
  - .agpr_count:     0
    .args:
      - .address_space:  global
        .offset:         0
        .size:           8
        .value_kind:     global_buffer
      - .address_space:  global
        .offset:         8
        .size:           8
        .value_kind:     global_buffer
      - .offset:         16
        .size:           1
        .value_kind:     by_value
    .group_segment_fixed_size: 2049
    .kernarg_segment_align: 8
    .kernarg_segment_size: 20
    .language:       OpenCL C
    .language_version:
      - 2
      - 0
    .max_flat_workgroup_size: 256
    .name:           _Z17sort_pairs_kernelIaLj256ELj8EN10test_utils4lessELj10EEvPKT_PS2_T2_
    .private_segment_fixed_size: 0
    .sgpr_count:     106
    .sgpr_spill_count: 6
    .symbol:         _Z17sort_pairs_kernelIaLj256ELj8EN10test_utils4lessELj10EEvPKT_PS2_T2_.kd
    .uniform_work_group_size: 1
    .uses_dynamic_stack: false
    .vgpr_count:     97
    .vgpr_spill_count: 0
    .wavefront_size: 64
  - .agpr_count:     0
    .args:
      - .address_space:  global
        .offset:         0
        .size:           8
        .value_kind:     global_buffer
      - .address_space:  global
        .offset:         8
        .size:           8
        .value_kind:     global_buffer
      - .offset:         16
        .size:           1
        .value_kind:     by_value
    .group_segment_fixed_size: 513
    .kernarg_segment_align: 8
    .kernarg_segment_size: 20
    .language:       OpenCL C
    .language_version:
      - 2
      - 0
    .max_flat_workgroup_size: 512
    .name:           _Z16sort_keys_kernelIaLj512ELj1EN10test_utils4lessELj10EEvPKT_PS2_T2_
    .private_segment_fixed_size: 0
    .sgpr_count:     33
    .sgpr_spill_count: 0
    .symbol:         _Z16sort_keys_kernelIaLj512ELj1EN10test_utils4lessELj10EEvPKT_PS2_T2_.kd
    .uniform_work_group_size: 1
    .uses_dynamic_stack: false
    .vgpr_count:     75
    .vgpr_spill_count: 0
    .wavefront_size: 64
  - .agpr_count:     0
    .args:
      - .address_space:  global
        .offset:         0
        .size:           8
        .value_kind:     global_buffer
      - .address_space:  global
        .offset:         8
        .size:           8
        .value_kind:     global_buffer
      - .offset:         16
        .size:           1
        .value_kind:     by_value
    .group_segment_fixed_size: 513
    .kernarg_segment_align: 8
    .kernarg_segment_size: 20
    .language:       OpenCL C
    .language_version:
      - 2
      - 0
    .max_flat_workgroup_size: 512
    .name:           _Z17sort_pairs_kernelIaLj512ELj1EN10test_utils4lessELj10EEvPKT_PS2_T2_
    .private_segment_fixed_size: 0
    .sgpr_count:     33
    .sgpr_spill_count: 0
    .symbol:         _Z17sort_pairs_kernelIaLj512ELj1EN10test_utils4lessELj10EEvPKT_PS2_T2_.kd
    .uniform_work_group_size: 1
    .uses_dynamic_stack: false
    .vgpr_count:     68
    .vgpr_spill_count: 0
    .wavefront_size: 64
  - .agpr_count:     0
    .args:
      - .address_space:  global
        .offset:         0
        .size:           8
        .value_kind:     global_buffer
      - .address_space:  global
        .offset:         8
        .size:           8
        .value_kind:     global_buffer
      - .offset:         16
        .size:           1
        .value_kind:     by_value
    .group_segment_fixed_size: 1025
    .kernarg_segment_align: 8
    .kernarg_segment_size: 20
    .language:       OpenCL C
    .language_version:
      - 2
      - 0
    .max_flat_workgroup_size: 512
    .name:           _Z16sort_keys_kernelIaLj512ELj2EN10test_utils4lessELj10EEvPKT_PS2_T2_
    .private_segment_fixed_size: 0
    .sgpr_count:     34
    .sgpr_spill_count: 0
    .symbol:         _Z16sort_keys_kernelIaLj512ELj2EN10test_utils4lessELj10EEvPKT_PS2_T2_.kd
    .uniform_work_group_size: 1
    .uses_dynamic_stack: false
    .vgpr_count:     70
    .vgpr_spill_count: 0
    .wavefront_size: 64
  - .agpr_count:     0
    .args:
      - .address_space:  global
        .offset:         0
        .size:           8
        .value_kind:     global_buffer
      - .address_space:  global
        .offset:         8
        .size:           8
        .value_kind:     global_buffer
      - .offset:         16
        .size:           1
        .value_kind:     by_value
    .group_segment_fixed_size: 1025
    .kernarg_segment_align: 8
    .kernarg_segment_size: 20
    .language:       OpenCL C
    .language_version:
      - 2
      - 0
    .max_flat_workgroup_size: 512
    .name:           _Z17sort_pairs_kernelIaLj512ELj2EN10test_utils4lessELj10EEvPKT_PS2_T2_
    .private_segment_fixed_size: 0
    .sgpr_count:     36
    .sgpr_spill_count: 0
    .symbol:         _Z17sort_pairs_kernelIaLj512ELj2EN10test_utils4lessELj10EEvPKT_PS2_T2_.kd
    .uniform_work_group_size: 1
    .uses_dynamic_stack: false
    .vgpr_count:     73
    .vgpr_spill_count: 0
    .wavefront_size: 64
  - .agpr_count:     0
    .args:
      - .address_space:  global
        .offset:         0
        .size:           8
        .value_kind:     global_buffer
      - .address_space:  global
        .offset:         8
        .size:           8
        .value_kind:     global_buffer
      - .offset:         16
        .size:           1
        .value_kind:     by_value
    .group_segment_fixed_size: 1537
    .kernarg_segment_align: 8
    .kernarg_segment_size: 20
    .language:       OpenCL C
    .language_version:
      - 2
      - 0
    .max_flat_workgroup_size: 512
    .name:           _Z16sort_keys_kernelIaLj512ELj3EN10test_utils4lessELj10EEvPKT_PS2_T2_
    .private_segment_fixed_size: 0
    .sgpr_count:     38
    .sgpr_spill_count: 0
    .symbol:         _Z16sort_keys_kernelIaLj512ELj3EN10test_utils4lessELj10EEvPKT_PS2_T2_.kd
    .uniform_work_group_size: 1
    .uses_dynamic_stack: false
    .vgpr_count:     72
    .vgpr_spill_count: 0
    .wavefront_size: 64
  - .agpr_count:     0
    .args:
      - .address_space:  global
        .offset:         0
        .size:           8
        .value_kind:     global_buffer
      - .address_space:  global
        .offset:         8
        .size:           8
        .value_kind:     global_buffer
      - .offset:         16
        .size:           1
        .value_kind:     by_value
    .group_segment_fixed_size: 1537
    .kernarg_segment_align: 8
    .kernarg_segment_size: 20
    .language:       OpenCL C
    .language_version:
      - 2
      - 0
    .max_flat_workgroup_size: 512
    .name:           _Z17sort_pairs_kernelIaLj512ELj3EN10test_utils4lessELj10EEvPKT_PS2_T2_
    .private_segment_fixed_size: 0
    .sgpr_count:     46
    .sgpr_spill_count: 0
    .symbol:         _Z17sort_pairs_kernelIaLj512ELj3EN10test_utils4lessELj10EEvPKT_PS2_T2_.kd
    .uniform_work_group_size: 1
    .uses_dynamic_stack: false
    .vgpr_count:     78
    .vgpr_spill_count: 0
    .wavefront_size: 64
  - .agpr_count:     0
    .args:
      - .address_space:  global
        .offset:         0
        .size:           8
        .value_kind:     global_buffer
      - .address_space:  global
        .offset:         8
        .size:           8
        .value_kind:     global_buffer
      - .offset:         16
        .size:           1
        .value_kind:     by_value
    .group_segment_fixed_size: 2049
    .kernarg_segment_align: 8
    .kernarg_segment_size: 20
    .language:       OpenCL C
    .language_version:
      - 2
      - 0
    .max_flat_workgroup_size: 512
    .name:           _Z16sort_keys_kernelIaLj512ELj4EN10test_utils4lessELj10EEvPKT_PS2_T2_
    .private_segment_fixed_size: 0
    .sgpr_count:     44
    .sgpr_spill_count: 0
    .symbol:         _Z16sort_keys_kernelIaLj512ELj4EN10test_utils4lessELj10EEvPKT_PS2_T2_.kd
    .uniform_work_group_size: 1
    .uses_dynamic_stack: false
    .vgpr_count:     74
    .vgpr_spill_count: 0
    .wavefront_size: 64
  - .agpr_count:     0
    .args:
      - .address_space:  global
        .offset:         0
        .size:           8
        .value_kind:     global_buffer
      - .address_space:  global
        .offset:         8
        .size:           8
        .value_kind:     global_buffer
      - .offset:         16
        .size:           1
        .value_kind:     by_value
    .group_segment_fixed_size: 2049
    .kernarg_segment_align: 8
    .kernarg_segment_size: 20
    .language:       OpenCL C
    .language_version:
      - 2
      - 0
    .max_flat_workgroup_size: 512
    .name:           _Z17sort_pairs_kernelIaLj512ELj4EN10test_utils4lessELj10EEvPKT_PS2_T2_
    .private_segment_fixed_size: 0
    .sgpr_count:     56
    .sgpr_spill_count: 0
    .symbol:         _Z17sort_pairs_kernelIaLj512ELj4EN10test_utils4lessELj10EEvPKT_PS2_T2_.kd
    .uniform_work_group_size: 1
    .uses_dynamic_stack: false
    .vgpr_count:     83
    .vgpr_spill_count: 0
    .wavefront_size: 64
  - .agpr_count:     0
    .args:
      - .address_space:  global
        .offset:         0
        .size:           8
        .value_kind:     global_buffer
      - .address_space:  global
        .offset:         8
        .size:           8
        .value_kind:     global_buffer
      - .offset:         16
        .size:           1
        .value_kind:     by_value
    .group_segment_fixed_size: 4097
    .kernarg_segment_align: 8
    .kernarg_segment_size: 20
    .language:       OpenCL C
    .language_version:
      - 2
      - 0
    .max_flat_workgroup_size: 512
    .name:           _Z16sort_keys_kernelIaLj512ELj8EN10test_utils4lessELj10EEvPKT_PS2_T2_
    .private_segment_fixed_size: 0
    .sgpr_count:     54
    .sgpr_spill_count: 0
    .symbol:         _Z16sort_keys_kernelIaLj512ELj8EN10test_utils4lessELj10EEvPKT_PS2_T2_.kd
    .uniform_work_group_size: 1
    .uses_dynamic_stack: false
    .vgpr_count:     82
    .vgpr_spill_count: 0
    .wavefront_size: 64
  - .agpr_count:     0
    .args:
      - .address_space:  global
        .offset:         0
        .size:           8
        .value_kind:     global_buffer
      - .address_space:  global
        .offset:         8
        .size:           8
        .value_kind:     global_buffer
      - .offset:         16
        .size:           1
        .value_kind:     by_value
    .group_segment_fixed_size: 4097
    .kernarg_segment_align: 8
    .kernarg_segment_size: 20
    .language:       OpenCL C
    .language_version:
      - 2
      - 0
    .max_flat_workgroup_size: 512
    .name:           _Z17sort_pairs_kernelIaLj512ELj8EN10test_utils4lessELj10EEvPKT_PS2_T2_
    .private_segment_fixed_size: 0
    .sgpr_count:     106
    .sgpr_spill_count: 6
    .symbol:         _Z17sort_pairs_kernelIaLj512ELj8EN10test_utils4lessELj10EEvPKT_PS2_T2_.kd
    .uniform_work_group_size: 1
    .uses_dynamic_stack: false
    .vgpr_count:     104
    .vgpr_spill_count: 0
    .wavefront_size: 64
  - .agpr_count:     0
    .args:
      - .address_space:  global
        .offset:         0
        .size:           8
        .value_kind:     global_buffer
      - .address_space:  global
        .offset:         8
        .size:           8
        .value_kind:     global_buffer
      - .offset:         16
        .size:           1
        .value_kind:     by_value
    .group_segment_fixed_size: 65
    .kernarg_segment_align: 8
    .kernarg_segment_size: 20
    .language:       OpenCL C
    .language_version:
      - 2
      - 0
    .max_flat_workgroup_size: 64
    .name:           _Z16sort_keys_kernelIhLj64ELj1EN10test_utils4lessELj10EEvPKT_PS2_T2_
    .private_segment_fixed_size: 0
    .sgpr_count:     26
    .sgpr_spill_count: 0
    .symbol:         _Z16sort_keys_kernelIhLj64ELj1EN10test_utils4lessELj10EEvPKT_PS2_T2_.kd
    .uniform_work_group_size: 1
    .uses_dynamic_stack: false
    .vgpr_count:     50
    .vgpr_spill_count: 0
    .wavefront_size: 64
  - .agpr_count:     0
    .args:
      - .address_space:  global
        .offset:         0
        .size:           8
        .value_kind:     global_buffer
      - .address_space:  global
        .offset:         8
        .size:           8
        .value_kind:     global_buffer
      - .offset:         16
        .size:           1
        .value_kind:     by_value
    .group_segment_fixed_size: 65
    .kernarg_segment_align: 8
    .kernarg_segment_size: 20
    .language:       OpenCL C
    .language_version:
      - 2
      - 0
    .max_flat_workgroup_size: 64
    .name:           _Z17sort_pairs_kernelIhLj64ELj1EN10test_utils4lessELj10EEvPKT_PS2_T2_
    .private_segment_fixed_size: 0
    .sgpr_count:     26
    .sgpr_spill_count: 0
    .symbol:         _Z17sort_pairs_kernelIhLj64ELj1EN10test_utils4lessELj10EEvPKT_PS2_T2_.kd
    .uniform_work_group_size: 1
    .uses_dynamic_stack: false
    .vgpr_count:     46
    .vgpr_spill_count: 0
    .wavefront_size: 64
  - .agpr_count:     0
    .args:
      - .address_space:  global
        .offset:         0
        .size:           8
        .value_kind:     global_buffer
      - .address_space:  global
        .offset:         8
        .size:           8
        .value_kind:     global_buffer
      - .offset:         16
        .size:           1
        .value_kind:     by_value
    .group_segment_fixed_size: 129
    .kernarg_segment_align: 8
    .kernarg_segment_size: 20
    .language:       OpenCL C
    .language_version:
      - 2
      - 0
    .max_flat_workgroup_size: 64
    .name:           _Z16sort_keys_kernelIhLj64ELj2EN10test_utils4lessELj10EEvPKT_PS2_T2_
    .private_segment_fixed_size: 0
    .sgpr_count:     28
    .sgpr_spill_count: 0
    .symbol:         _Z16sort_keys_kernelIhLj64ELj2EN10test_utils4lessELj10EEvPKT_PS2_T2_.kd
    .uniform_work_group_size: 1
    .uses_dynamic_stack: false
    .vgpr_count:     48
    .vgpr_spill_count: 0
    .wavefront_size: 64
  - .agpr_count:     0
    .args:
      - .address_space:  global
        .offset:         0
        .size:           8
        .value_kind:     global_buffer
      - .address_space:  global
        .offset:         8
        .size:           8
        .value_kind:     global_buffer
      - .offset:         16
        .size:           1
        .value_kind:     by_value
    .group_segment_fixed_size: 129
    .kernarg_segment_align: 8
    .kernarg_segment_size: 20
    .language:       OpenCL C
    .language_version:
      - 2
      - 0
    .max_flat_workgroup_size: 64
    .name:           _Z17sort_pairs_kernelIhLj64ELj2EN10test_utils4lessELj10EEvPKT_PS2_T2_
    .private_segment_fixed_size: 0
    .sgpr_count:     30
    .sgpr_spill_count: 0
    .symbol:         _Z17sort_pairs_kernelIhLj64ELj2EN10test_utils4lessELj10EEvPKT_PS2_T2_.kd
    .uniform_work_group_size: 1
    .uses_dynamic_stack: false
    .vgpr_count:     51
    .vgpr_spill_count: 0
    .wavefront_size: 64
  - .agpr_count:     0
    .args:
      - .address_space:  global
        .offset:         0
        .size:           8
        .value_kind:     global_buffer
      - .address_space:  global
        .offset:         8
        .size:           8
        .value_kind:     global_buffer
      - .offset:         16
        .size:           1
        .value_kind:     by_value
    .group_segment_fixed_size: 193
    .kernarg_segment_align: 8
    .kernarg_segment_size: 20
    .language:       OpenCL C
    .language_version:
      - 2
      - 0
    .max_flat_workgroup_size: 64
    .name:           _Z16sort_keys_kernelIhLj64ELj3EN10test_utils4lessELj10EEvPKT_PS2_T2_
    .private_segment_fixed_size: 0
    .sgpr_count:     34
    .sgpr_spill_count: 0
    .symbol:         _Z16sort_keys_kernelIhLj64ELj3EN10test_utils4lessELj10EEvPKT_PS2_T2_.kd
    .uniform_work_group_size: 1
    .uses_dynamic_stack: false
    .vgpr_count:     52
    .vgpr_spill_count: 0
    .wavefront_size: 64
  - .agpr_count:     0
    .args:
      - .address_space:  global
        .offset:         0
        .size:           8
        .value_kind:     global_buffer
      - .address_space:  global
        .offset:         8
        .size:           8
        .value_kind:     global_buffer
      - .offset:         16
        .size:           1
        .value_kind:     by_value
    .group_segment_fixed_size: 193
    .kernarg_segment_align: 8
    .kernarg_segment_size: 20
    .language:       OpenCL C
    .language_version:
      - 2
      - 0
    .max_flat_workgroup_size: 64
    .name:           _Z17sort_pairs_kernelIhLj64ELj3EN10test_utils4lessELj10EEvPKT_PS2_T2_
    .private_segment_fixed_size: 0
    .sgpr_count:     42
    .sgpr_spill_count: 0
    .symbol:         _Z17sort_pairs_kernelIhLj64ELj3EN10test_utils4lessELj10EEvPKT_PS2_T2_.kd
    .uniform_work_group_size: 1
    .uses_dynamic_stack: false
    .vgpr_count:     58
    .vgpr_spill_count: 0
    .wavefront_size: 64
  - .agpr_count:     0
    .args:
      - .address_space:  global
        .offset:         0
        .size:           8
        .value_kind:     global_buffer
      - .address_space:  global
        .offset:         8
        .size:           8
        .value_kind:     global_buffer
      - .offset:         16
        .size:           1
        .value_kind:     by_value
    .group_segment_fixed_size: 257
    .kernarg_segment_align: 8
    .kernarg_segment_size: 20
    .language:       OpenCL C
    .language_version:
      - 2
      - 0
    .max_flat_workgroup_size: 64
    .name:           _Z16sort_keys_kernelIhLj64ELj4EN10test_utils4lessELj10EEvPKT_PS2_T2_
    .private_segment_fixed_size: 0
    .sgpr_count:     36
    .sgpr_spill_count: 0
    .symbol:         _Z16sort_keys_kernelIhLj64ELj4EN10test_utils4lessELj10EEvPKT_PS2_T2_.kd
    .uniform_work_group_size: 1
    .uses_dynamic_stack: false
    .vgpr_count:     53
    .vgpr_spill_count: 0
    .wavefront_size: 64
  - .agpr_count:     0
    .args:
      - .address_space:  global
        .offset:         0
        .size:           8
        .value_kind:     global_buffer
      - .address_space:  global
        .offset:         8
        .size:           8
        .value_kind:     global_buffer
      - .offset:         16
        .size:           1
        .value_kind:     by_value
    .group_segment_fixed_size: 257
    .kernarg_segment_align: 8
    .kernarg_segment_size: 20
    .language:       OpenCL C
    .language_version:
      - 2
      - 0
    .max_flat_workgroup_size: 64
    .name:           _Z17sort_pairs_kernelIhLj64ELj4EN10test_utils4lessELj10EEvPKT_PS2_T2_
    .private_segment_fixed_size: 0
    .sgpr_count:     50
    .sgpr_spill_count: 0
    .symbol:         _Z17sort_pairs_kernelIhLj64ELj4EN10test_utils4lessELj10EEvPKT_PS2_T2_.kd
    .uniform_work_group_size: 1
    .uses_dynamic_stack: false
    .vgpr_count:     62
    .vgpr_spill_count: 0
    .wavefront_size: 64
  - .agpr_count:     0
    .args:
      - .address_space:  global
        .offset:         0
        .size:           8
        .value_kind:     global_buffer
      - .address_space:  global
        .offset:         8
        .size:           8
        .value_kind:     global_buffer
      - .offset:         16
        .size:           1
        .value_kind:     by_value
    .group_segment_fixed_size: 513
    .kernarg_segment_align: 8
    .kernarg_segment_size: 20
    .language:       OpenCL C
    .language_version:
      - 2
      - 0
    .max_flat_workgroup_size: 64
    .name:           _Z16sort_keys_kernelIhLj64ELj8EN10test_utils4lessELj10EEvPKT_PS2_T2_
    .private_segment_fixed_size: 0
    .sgpr_count:     48
    .sgpr_spill_count: 0
    .symbol:         _Z16sort_keys_kernelIhLj64ELj8EN10test_utils4lessELj10EEvPKT_PS2_T2_.kd
    .uniform_work_group_size: 1
    .uses_dynamic_stack: false
    .vgpr_count:     61
    .vgpr_spill_count: 0
    .wavefront_size: 64
  - .agpr_count:     0
    .args:
      - .address_space:  global
        .offset:         0
        .size:           8
        .value_kind:     global_buffer
      - .address_space:  global
        .offset:         8
        .size:           8
        .value_kind:     global_buffer
      - .offset:         16
        .size:           1
        .value_kind:     by_value
    .group_segment_fixed_size: 513
    .kernarg_segment_align: 8
    .kernarg_segment_size: 20
    .language:       OpenCL C
    .language_version:
      - 2
      - 0
    .max_flat_workgroup_size: 64
    .name:           _Z17sort_pairs_kernelIhLj64ELj8EN10test_utils4lessELj10EEvPKT_PS2_T2_
    .private_segment_fixed_size: 0
    .sgpr_count:     104
    .sgpr_spill_count: 0
    .symbol:         _Z17sort_pairs_kernelIhLj64ELj8EN10test_utils4lessELj10EEvPKT_PS2_T2_.kd
    .uniform_work_group_size: 1
    .uses_dynamic_stack: false
    .vgpr_count:     82
    .vgpr_spill_count: 0
    .wavefront_size: 64
  - .agpr_count:     0
    .args:
      - .address_space:  global
        .offset:         0
        .size:           8
        .value_kind:     global_buffer
      - .address_space:  global
        .offset:         8
        .size:           8
        .value_kind:     global_buffer
      - .offset:         16
        .size:           1
        .value_kind:     by_value
    .group_segment_fixed_size: 129
    .kernarg_segment_align: 8
    .kernarg_segment_size: 20
    .language:       OpenCL C
    .language_version:
      - 2
      - 0
    .max_flat_workgroup_size: 128
    .name:           _Z16sort_keys_kernelIhLj128ELj1EN10test_utils4lessELj10EEvPKT_PS2_T2_
    .private_segment_fixed_size: 0
    .sgpr_count:     29
    .sgpr_spill_count: 0
    .symbol:         _Z16sort_keys_kernelIhLj128ELj1EN10test_utils4lessELj10EEvPKT_PS2_T2_.kd
    .uniform_work_group_size: 1
    .uses_dynamic_stack: false
    .vgpr_count:     58
    .vgpr_spill_count: 0
    .wavefront_size: 64
  - .agpr_count:     0
    .args:
      - .address_space:  global
        .offset:         0
        .size:           8
        .value_kind:     global_buffer
      - .address_space:  global
        .offset:         8
        .size:           8
        .value_kind:     global_buffer
      - .offset:         16
        .size:           1
        .value_kind:     by_value
    .group_segment_fixed_size: 129
    .kernarg_segment_align: 8
    .kernarg_segment_size: 20
    .language:       OpenCL C
    .language_version:
      - 2
      - 0
    .max_flat_workgroup_size: 128
    .name:           _Z17sort_pairs_kernelIhLj128ELj1EN10test_utils4lessELj10EEvPKT_PS2_T2_
    .private_segment_fixed_size: 0
    .sgpr_count:     29
    .sgpr_spill_count: 0
    .symbol:         _Z17sort_pairs_kernelIhLj128ELj1EN10test_utils4lessELj10EEvPKT_PS2_T2_.kd
    .uniform_work_group_size: 1
    .uses_dynamic_stack: false
    .vgpr_count:     53
    .vgpr_spill_count: 0
    .wavefront_size: 64
  - .agpr_count:     0
    .args:
      - .address_space:  global
        .offset:         0
        .size:           8
        .value_kind:     global_buffer
      - .address_space:  global
        .offset:         8
        .size:           8
        .value_kind:     global_buffer
      - .offset:         16
        .size:           1
        .value_kind:     by_value
    .group_segment_fixed_size: 257
    .kernarg_segment_align: 8
    .kernarg_segment_size: 20
    .language:       OpenCL C
    .language_version:
      - 2
      - 0
    .max_flat_workgroup_size: 128
    .name:           _Z16sort_keys_kernelIhLj128ELj2EN10test_utils4lessELj10EEvPKT_PS2_T2_
    .private_segment_fixed_size: 0
    .sgpr_count:     30
    .sgpr_spill_count: 0
    .symbol:         _Z16sort_keys_kernelIhLj128ELj2EN10test_utils4lessELj10EEvPKT_PS2_T2_.kd
    .uniform_work_group_size: 1
    .uses_dynamic_stack: false
    .vgpr_count:     56
    .vgpr_spill_count: 0
    .wavefront_size: 64
  - .agpr_count:     0
    .args:
      - .address_space:  global
        .offset:         0
        .size:           8
        .value_kind:     global_buffer
      - .address_space:  global
        .offset:         8
        .size:           8
        .value_kind:     global_buffer
      - .offset:         16
        .size:           1
        .value_kind:     by_value
    .group_segment_fixed_size: 257
    .kernarg_segment_align: 8
    .kernarg_segment_size: 20
    .language:       OpenCL C
    .language_version:
      - 2
      - 0
    .max_flat_workgroup_size: 128
    .name:           _Z17sort_pairs_kernelIhLj128ELj2EN10test_utils4lessELj10EEvPKT_PS2_T2_
    .private_segment_fixed_size: 0
    .sgpr_count:     32
    .sgpr_spill_count: 0
    .symbol:         _Z17sort_pairs_kernelIhLj128ELj2EN10test_utils4lessELj10EEvPKT_PS2_T2_.kd
    .uniform_work_group_size: 1
    .uses_dynamic_stack: false
    .vgpr_count:     59
    .vgpr_spill_count: 0
    .wavefront_size: 64
  - .agpr_count:     0
    .args:
      - .address_space:  global
        .offset:         0
        .size:           8
        .value_kind:     global_buffer
      - .address_space:  global
        .offset:         8
        .size:           8
        .value_kind:     global_buffer
      - .offset:         16
        .size:           1
        .value_kind:     by_value
    .group_segment_fixed_size: 385
    .kernarg_segment_align: 8
    .kernarg_segment_size: 20
    .language:       OpenCL C
    .language_version:
      - 2
      - 0
    .max_flat_workgroup_size: 128
    .name:           _Z16sort_keys_kernelIhLj128ELj3EN10test_utils4lessELj10EEvPKT_PS2_T2_
    .private_segment_fixed_size: 0
    .sgpr_count:     36
    .sgpr_spill_count: 0
    .symbol:         _Z16sort_keys_kernelIhLj128ELj3EN10test_utils4lessELj10EEvPKT_PS2_T2_.kd
    .uniform_work_group_size: 1
    .uses_dynamic_stack: false
    .vgpr_count:     59
    .vgpr_spill_count: 0
    .wavefront_size: 64
  - .agpr_count:     0
    .args:
      - .address_space:  global
        .offset:         0
        .size:           8
        .value_kind:     global_buffer
      - .address_space:  global
        .offset:         8
        .size:           8
        .value_kind:     global_buffer
      - .offset:         16
        .size:           1
        .value_kind:     by_value
    .group_segment_fixed_size: 385
    .kernarg_segment_align: 8
    .kernarg_segment_size: 20
    .language:       OpenCL C
    .language_version:
      - 2
      - 0
    .max_flat_workgroup_size: 128
    .name:           _Z17sort_pairs_kernelIhLj128ELj3EN10test_utils4lessELj10EEvPKT_PS2_T2_
    .private_segment_fixed_size: 0
    .sgpr_count:     44
    .sgpr_spill_count: 0
    .symbol:         _Z17sort_pairs_kernelIhLj128ELj3EN10test_utils4lessELj10EEvPKT_PS2_T2_.kd
    .uniform_work_group_size: 1
    .uses_dynamic_stack: false
    .vgpr_count:     64
    .vgpr_spill_count: 0
    .wavefront_size: 64
  - .agpr_count:     0
    .args:
      - .address_space:  global
        .offset:         0
        .size:           8
        .value_kind:     global_buffer
      - .address_space:  global
        .offset:         8
        .size:           8
        .value_kind:     global_buffer
      - .offset:         16
        .size:           1
        .value_kind:     by_value
    .group_segment_fixed_size: 513
    .kernarg_segment_align: 8
    .kernarg_segment_size: 20
    .language:       OpenCL C
    .language_version:
      - 2
      - 0
    .max_flat_workgroup_size: 128
    .name:           _Z16sort_keys_kernelIhLj128ELj4EN10test_utils4lessELj10EEvPKT_PS2_T2_
    .private_segment_fixed_size: 0
    .sgpr_count:     38
    .sgpr_spill_count: 0
    .symbol:         _Z16sort_keys_kernelIhLj128ELj4EN10test_utils4lessELj10EEvPKT_PS2_T2_.kd
    .uniform_work_group_size: 1
    .uses_dynamic_stack: false
    .vgpr_count:     60
    .vgpr_spill_count: 0
    .wavefront_size: 64
  - .agpr_count:     0
    .args:
      - .address_space:  global
        .offset:         0
        .size:           8
        .value_kind:     global_buffer
      - .address_space:  global
        .offset:         8
        .size:           8
        .value_kind:     global_buffer
      - .offset:         16
        .size:           1
        .value_kind:     by_value
    .group_segment_fixed_size: 513
    .kernarg_segment_align: 8
    .kernarg_segment_size: 20
    .language:       OpenCL C
    .language_version:
      - 2
      - 0
    .max_flat_workgroup_size: 128
    .name:           _Z17sort_pairs_kernelIhLj128ELj4EN10test_utils4lessELj10EEvPKT_PS2_T2_
    .private_segment_fixed_size: 0
    .sgpr_count:     52
    .sgpr_spill_count: 0
    .symbol:         _Z17sort_pairs_kernelIhLj128ELj4EN10test_utils4lessELj10EEvPKT_PS2_T2_.kd
    .uniform_work_group_size: 1
    .uses_dynamic_stack: false
    .vgpr_count:     69
    .vgpr_spill_count: 0
    .wavefront_size: 64
  - .agpr_count:     0
    .args:
      - .address_space:  global
        .offset:         0
        .size:           8
        .value_kind:     global_buffer
      - .address_space:  global
        .offset:         8
        .size:           8
        .value_kind:     global_buffer
      - .offset:         16
        .size:           1
        .value_kind:     by_value
    .group_segment_fixed_size: 1025
    .kernarg_segment_align: 8
    .kernarg_segment_size: 20
    .language:       OpenCL C
    .language_version:
      - 2
      - 0
    .max_flat_workgroup_size: 128
    .name:           _Z16sort_keys_kernelIhLj128ELj8EN10test_utils4lessELj10EEvPKT_PS2_T2_
    .private_segment_fixed_size: 0
    .sgpr_count:     50
    .sgpr_spill_count: 0
    .symbol:         _Z16sort_keys_kernelIhLj128ELj8EN10test_utils4lessELj10EEvPKT_PS2_T2_.kd
    .uniform_work_group_size: 1
    .uses_dynamic_stack: false
    .vgpr_count:     68
    .vgpr_spill_count: 0
    .wavefront_size: 64
  - .agpr_count:     0
    .args:
      - .address_space:  global
        .offset:         0
        .size:           8
        .value_kind:     global_buffer
      - .address_space:  global
        .offset:         8
        .size:           8
        .value_kind:     global_buffer
      - .offset:         16
        .size:           1
        .value_kind:     by_value
    .group_segment_fixed_size: 1025
    .kernarg_segment_align: 8
    .kernarg_segment_size: 20
    .language:       OpenCL C
    .language_version:
      - 2
      - 0
    .max_flat_workgroup_size: 128
    .name:           _Z17sort_pairs_kernelIhLj128ELj8EN10test_utils4lessELj10EEvPKT_PS2_T2_
    .private_segment_fixed_size: 0
    .sgpr_count:     106
    .sgpr_spill_count: 4
    .symbol:         _Z17sort_pairs_kernelIhLj128ELj8EN10test_utils4lessELj10EEvPKT_PS2_T2_.kd
    .uniform_work_group_size: 1
    .uses_dynamic_stack: false
    .vgpr_count:     90
    .vgpr_spill_count: 0
    .wavefront_size: 64
  - .agpr_count:     0
    .args:
      - .address_space:  global
        .offset:         0
        .size:           8
        .value_kind:     global_buffer
      - .address_space:  global
        .offset:         8
        .size:           8
        .value_kind:     global_buffer
      - .offset:         16
        .size:           1
        .value_kind:     by_value
    .group_segment_fixed_size: 257
    .kernarg_segment_align: 8
    .kernarg_segment_size: 20
    .language:       OpenCL C
    .language_version:
      - 2
      - 0
    .max_flat_workgroup_size: 256
    .name:           _Z16sort_keys_kernelIhLj256ELj1EN10test_utils4lessELj10EEvPKT_PS2_T2_
    .private_segment_fixed_size: 0
    .sgpr_count:     31
    .sgpr_spill_count: 0
    .symbol:         _Z16sort_keys_kernelIhLj256ELj1EN10test_utils4lessELj10EEvPKT_PS2_T2_.kd
    .uniform_work_group_size: 1
    .uses_dynamic_stack: false
    .vgpr_count:     67
    .vgpr_spill_count: 0
    .wavefront_size: 64
  - .agpr_count:     0
    .args:
      - .address_space:  global
        .offset:         0
        .size:           8
        .value_kind:     global_buffer
      - .address_space:  global
        .offset:         8
        .size:           8
        .value_kind:     global_buffer
      - .offset:         16
        .size:           1
        .value_kind:     by_value
    .group_segment_fixed_size: 257
    .kernarg_segment_align: 8
    .kernarg_segment_size: 20
    .language:       OpenCL C
    .language_version:
      - 2
      - 0
    .max_flat_workgroup_size: 256
    .name:           _Z17sort_pairs_kernelIhLj256ELj1EN10test_utils4lessELj10EEvPKT_PS2_T2_
    .private_segment_fixed_size: 0
    .sgpr_count:     31
    .sgpr_spill_count: 0
    .symbol:         _Z17sort_pairs_kernelIhLj256ELj1EN10test_utils4lessELj10EEvPKT_PS2_T2_.kd
    .uniform_work_group_size: 1
    .uses_dynamic_stack: false
    .vgpr_count:     61
    .vgpr_spill_count: 0
    .wavefront_size: 64
  - .agpr_count:     0
    .args:
      - .address_space:  global
        .offset:         0
        .size:           8
        .value_kind:     global_buffer
      - .address_space:  global
        .offset:         8
        .size:           8
        .value_kind:     global_buffer
      - .offset:         16
        .size:           1
        .value_kind:     by_value
    .group_segment_fixed_size: 513
    .kernarg_segment_align: 8
    .kernarg_segment_size: 20
    .language:       OpenCL C
    .language_version:
      - 2
      - 0
    .max_flat_workgroup_size: 256
    .name:           _Z16sort_keys_kernelIhLj256ELj2EN10test_utils4lessELj10EEvPKT_PS2_T2_
    .private_segment_fixed_size: 0
    .sgpr_count:     32
    .sgpr_spill_count: 0
    .symbol:         _Z16sort_keys_kernelIhLj256ELj2EN10test_utils4lessELj10EEvPKT_PS2_T2_.kd
    .uniform_work_group_size: 1
    .uses_dynamic_stack: false
    .vgpr_count:     63
    .vgpr_spill_count: 0
    .wavefront_size: 64
  - .agpr_count:     0
    .args:
      - .address_space:  global
        .offset:         0
        .size:           8
        .value_kind:     global_buffer
      - .address_space:  global
        .offset:         8
        .size:           8
        .value_kind:     global_buffer
      - .offset:         16
        .size:           1
        .value_kind:     by_value
    .group_segment_fixed_size: 513
    .kernarg_segment_align: 8
    .kernarg_segment_size: 20
    .language:       OpenCL C
    .language_version:
      - 2
      - 0
    .max_flat_workgroup_size: 256
    .name:           _Z17sort_pairs_kernelIhLj256ELj2EN10test_utils4lessELj10EEvPKT_PS2_T2_
    .private_segment_fixed_size: 0
    .sgpr_count:     34
    .sgpr_spill_count: 0
    .symbol:         _Z17sort_pairs_kernelIhLj256ELj2EN10test_utils4lessELj10EEvPKT_PS2_T2_.kd
    .uniform_work_group_size: 1
    .uses_dynamic_stack: false
    .vgpr_count:     66
    .vgpr_spill_count: 0
    .wavefront_size: 64
  - .agpr_count:     0
    .args:
      - .address_space:  global
        .offset:         0
        .size:           8
        .value_kind:     global_buffer
      - .address_space:  global
        .offset:         8
        .size:           8
        .value_kind:     global_buffer
      - .offset:         16
        .size:           1
        .value_kind:     by_value
    .group_segment_fixed_size: 769
    .kernarg_segment_align: 8
    .kernarg_segment_size: 20
    .language:       OpenCL C
    .language_version:
      - 2
      - 0
    .max_flat_workgroup_size: 256
    .name:           _Z16sort_keys_kernelIhLj256ELj3EN10test_utils4lessELj10EEvPKT_PS2_T2_
    .private_segment_fixed_size: 0
    .sgpr_count:     38
    .sgpr_spill_count: 0
    .symbol:         _Z16sort_keys_kernelIhLj256ELj3EN10test_utils4lessELj10EEvPKT_PS2_T2_.kd
    .uniform_work_group_size: 1
    .uses_dynamic_stack: false
    .vgpr_count:     66
    .vgpr_spill_count: 0
    .wavefront_size: 64
  - .agpr_count:     0
    .args:
      - .address_space:  global
        .offset:         0
        .size:           8
        .value_kind:     global_buffer
      - .address_space:  global
        .offset:         8
        .size:           8
        .value_kind:     global_buffer
      - .offset:         16
        .size:           1
        .value_kind:     by_value
    .group_segment_fixed_size: 769
    .kernarg_segment_align: 8
    .kernarg_segment_size: 20
    .language:       OpenCL C
    .language_version:
      - 2
      - 0
    .max_flat_workgroup_size: 256
    .name:           _Z17sort_pairs_kernelIhLj256ELj3EN10test_utils4lessELj10EEvPKT_PS2_T2_
    .private_segment_fixed_size: 0
    .sgpr_count:     46
    .sgpr_spill_count: 0
    .symbol:         _Z17sort_pairs_kernelIhLj256ELj3EN10test_utils4lessELj10EEvPKT_PS2_T2_.kd
    .uniform_work_group_size: 1
    .uses_dynamic_stack: false
    .vgpr_count:     72
    .vgpr_spill_count: 0
    .wavefront_size: 64
  - .agpr_count:     0
    .args:
      - .address_space:  global
        .offset:         0
        .size:           8
        .value_kind:     global_buffer
      - .address_space:  global
        .offset:         8
        .size:           8
        .value_kind:     global_buffer
      - .offset:         16
        .size:           1
        .value_kind:     by_value
    .group_segment_fixed_size: 1025
    .kernarg_segment_align: 8
    .kernarg_segment_size: 20
    .language:       OpenCL C
    .language_version:
      - 2
      - 0
    .max_flat_workgroup_size: 256
    .name:           _Z16sort_keys_kernelIhLj256ELj4EN10test_utils4lessELj10EEvPKT_PS2_T2_
    .private_segment_fixed_size: 0
    .sgpr_count:     42
    .sgpr_spill_count: 0
    .symbol:         _Z16sort_keys_kernelIhLj256ELj4EN10test_utils4lessELj10EEvPKT_PS2_T2_.kd
    .uniform_work_group_size: 1
    .uses_dynamic_stack: false
    .vgpr_count:     67
    .vgpr_spill_count: 0
    .wavefront_size: 64
  - .agpr_count:     0
    .args:
      - .address_space:  global
        .offset:         0
        .size:           8
        .value_kind:     global_buffer
      - .address_space:  global
        .offset:         8
        .size:           8
        .value_kind:     global_buffer
      - .offset:         16
        .size:           1
        .value_kind:     by_value
    .group_segment_fixed_size: 1025
    .kernarg_segment_align: 8
    .kernarg_segment_size: 20
    .language:       OpenCL C
    .language_version:
      - 2
      - 0
    .max_flat_workgroup_size: 256
    .name:           _Z17sort_pairs_kernelIhLj256ELj4EN10test_utils4lessELj10EEvPKT_PS2_T2_
    .private_segment_fixed_size: 0
    .sgpr_count:     54
    .sgpr_spill_count: 0
    .symbol:         _Z17sort_pairs_kernelIhLj256ELj4EN10test_utils4lessELj10EEvPKT_PS2_T2_.kd
    .uniform_work_group_size: 1
    .uses_dynamic_stack: false
    .vgpr_count:     76
    .vgpr_spill_count: 0
    .wavefront_size: 64
  - .agpr_count:     0
    .args:
      - .address_space:  global
        .offset:         0
        .size:           8
        .value_kind:     global_buffer
      - .address_space:  global
        .offset:         8
        .size:           8
        .value_kind:     global_buffer
      - .offset:         16
        .size:           1
        .value_kind:     by_value
    .group_segment_fixed_size: 2049
    .kernarg_segment_align: 8
    .kernarg_segment_size: 20
    .language:       OpenCL C
    .language_version:
      - 2
      - 0
    .max_flat_workgroup_size: 256
    .name:           _Z16sort_keys_kernelIhLj256ELj8EN10test_utils4lessELj10EEvPKT_PS2_T2_
    .private_segment_fixed_size: 0
    .sgpr_count:     52
    .sgpr_spill_count: 0
    .symbol:         _Z16sort_keys_kernelIhLj256ELj8EN10test_utils4lessELj10EEvPKT_PS2_T2_.kd
    .uniform_work_group_size: 1
    .uses_dynamic_stack: false
    .vgpr_count:     75
    .vgpr_spill_count: 0
    .wavefront_size: 64
  - .agpr_count:     0
    .args:
      - .address_space:  global
        .offset:         0
        .size:           8
        .value_kind:     global_buffer
      - .address_space:  global
        .offset:         8
        .size:           8
        .value_kind:     global_buffer
      - .offset:         16
        .size:           1
        .value_kind:     by_value
    .group_segment_fixed_size: 2049
    .kernarg_segment_align: 8
    .kernarg_segment_size: 20
    .language:       OpenCL C
    .language_version:
      - 2
      - 0
    .max_flat_workgroup_size: 256
    .name:           _Z17sort_pairs_kernelIhLj256ELj8EN10test_utils4lessELj10EEvPKT_PS2_T2_
    .private_segment_fixed_size: 0
    .sgpr_count:     106
    .sgpr_spill_count: 6
    .symbol:         _Z17sort_pairs_kernelIhLj256ELj8EN10test_utils4lessELj10EEvPKT_PS2_T2_.kd
    .uniform_work_group_size: 1
    .uses_dynamic_stack: false
    .vgpr_count:     97
    .vgpr_spill_count: 0
    .wavefront_size: 64
  - .agpr_count:     0
    .args:
      - .address_space:  global
        .offset:         0
        .size:           8
        .value_kind:     global_buffer
      - .address_space:  global
        .offset:         8
        .size:           8
        .value_kind:     global_buffer
      - .offset:         16
        .size:           1
        .value_kind:     by_value
    .group_segment_fixed_size: 513
    .kernarg_segment_align: 8
    .kernarg_segment_size: 20
    .language:       OpenCL C
    .language_version:
      - 2
      - 0
    .max_flat_workgroup_size: 512
    .name:           _Z16sort_keys_kernelIhLj512ELj1EN10test_utils4lessELj10EEvPKT_PS2_T2_
    .private_segment_fixed_size: 0
    .sgpr_count:     33
    .sgpr_spill_count: 0
    .symbol:         _Z16sort_keys_kernelIhLj512ELj1EN10test_utils4lessELj10EEvPKT_PS2_T2_.kd
    .uniform_work_group_size: 1
    .uses_dynamic_stack: false
    .vgpr_count:     75
    .vgpr_spill_count: 0
    .wavefront_size: 64
  - .agpr_count:     0
    .args:
      - .address_space:  global
        .offset:         0
        .size:           8
        .value_kind:     global_buffer
      - .address_space:  global
        .offset:         8
        .size:           8
        .value_kind:     global_buffer
      - .offset:         16
        .size:           1
        .value_kind:     by_value
    .group_segment_fixed_size: 513
    .kernarg_segment_align: 8
    .kernarg_segment_size: 20
    .language:       OpenCL C
    .language_version:
      - 2
      - 0
    .max_flat_workgroup_size: 512
    .name:           _Z17sort_pairs_kernelIhLj512ELj1EN10test_utils4lessELj10EEvPKT_PS2_T2_
    .private_segment_fixed_size: 0
    .sgpr_count:     33
    .sgpr_spill_count: 0
    .symbol:         _Z17sort_pairs_kernelIhLj512ELj1EN10test_utils4lessELj10EEvPKT_PS2_T2_.kd
    .uniform_work_group_size: 1
    .uses_dynamic_stack: false
    .vgpr_count:     68
    .vgpr_spill_count: 0
    .wavefront_size: 64
  - .agpr_count:     0
    .args:
      - .address_space:  global
        .offset:         0
        .size:           8
        .value_kind:     global_buffer
      - .address_space:  global
        .offset:         8
        .size:           8
        .value_kind:     global_buffer
      - .offset:         16
        .size:           1
        .value_kind:     by_value
    .group_segment_fixed_size: 1025
    .kernarg_segment_align: 8
    .kernarg_segment_size: 20
    .language:       OpenCL C
    .language_version:
      - 2
      - 0
    .max_flat_workgroup_size: 512
    .name:           _Z16sort_keys_kernelIhLj512ELj2EN10test_utils4lessELj10EEvPKT_PS2_T2_
    .private_segment_fixed_size: 0
    .sgpr_count:     34
    .sgpr_spill_count: 0
    .symbol:         _Z16sort_keys_kernelIhLj512ELj2EN10test_utils4lessELj10EEvPKT_PS2_T2_.kd
    .uniform_work_group_size: 1
    .uses_dynamic_stack: false
    .vgpr_count:     70
    .vgpr_spill_count: 0
    .wavefront_size: 64
  - .agpr_count:     0
    .args:
      - .address_space:  global
        .offset:         0
        .size:           8
        .value_kind:     global_buffer
      - .address_space:  global
        .offset:         8
        .size:           8
        .value_kind:     global_buffer
      - .offset:         16
        .size:           1
        .value_kind:     by_value
    .group_segment_fixed_size: 1025
    .kernarg_segment_align: 8
    .kernarg_segment_size: 20
    .language:       OpenCL C
    .language_version:
      - 2
      - 0
    .max_flat_workgroup_size: 512
    .name:           _Z17sort_pairs_kernelIhLj512ELj2EN10test_utils4lessELj10EEvPKT_PS2_T2_
    .private_segment_fixed_size: 0
    .sgpr_count:     36
    .sgpr_spill_count: 0
    .symbol:         _Z17sort_pairs_kernelIhLj512ELj2EN10test_utils4lessELj10EEvPKT_PS2_T2_.kd
    .uniform_work_group_size: 1
    .uses_dynamic_stack: false
    .vgpr_count:     73
    .vgpr_spill_count: 0
    .wavefront_size: 64
  - .agpr_count:     0
    .args:
      - .address_space:  global
        .offset:         0
        .size:           8
        .value_kind:     global_buffer
      - .address_space:  global
        .offset:         8
        .size:           8
        .value_kind:     global_buffer
      - .offset:         16
        .size:           1
        .value_kind:     by_value
    .group_segment_fixed_size: 1537
    .kernarg_segment_align: 8
    .kernarg_segment_size: 20
    .language:       OpenCL C
    .language_version:
      - 2
      - 0
    .max_flat_workgroup_size: 512
    .name:           _Z16sort_keys_kernelIhLj512ELj3EN10test_utils4lessELj10EEvPKT_PS2_T2_
    .private_segment_fixed_size: 0
    .sgpr_count:     42
    .sgpr_spill_count: 0
    .symbol:         _Z16sort_keys_kernelIhLj512ELj3EN10test_utils4lessELj10EEvPKT_PS2_T2_.kd
    .uniform_work_group_size: 1
    .uses_dynamic_stack: false
    .vgpr_count:     72
    .vgpr_spill_count: 0
    .wavefront_size: 64
  - .agpr_count:     0
    .args:
      - .address_space:  global
        .offset:         0
        .size:           8
        .value_kind:     global_buffer
      - .address_space:  global
        .offset:         8
        .size:           8
        .value_kind:     global_buffer
      - .offset:         16
        .size:           1
        .value_kind:     by_value
    .group_segment_fixed_size: 1537
    .kernarg_segment_align: 8
    .kernarg_segment_size: 20
    .language:       OpenCL C
    .language_version:
      - 2
      - 0
    .max_flat_workgroup_size: 512
    .name:           _Z17sort_pairs_kernelIhLj512ELj3EN10test_utils4lessELj10EEvPKT_PS2_T2_
    .private_segment_fixed_size: 0
    .sgpr_count:     48
    .sgpr_spill_count: 0
    .symbol:         _Z17sort_pairs_kernelIhLj512ELj3EN10test_utils4lessELj10EEvPKT_PS2_T2_.kd
    .uniform_work_group_size: 1
    .uses_dynamic_stack: false
    .vgpr_count:     79
    .vgpr_spill_count: 0
    .wavefront_size: 64
  - .agpr_count:     0
    .args:
      - .address_space:  global
        .offset:         0
        .size:           8
        .value_kind:     global_buffer
      - .address_space:  global
        .offset:         8
        .size:           8
        .value_kind:     global_buffer
      - .offset:         16
        .size:           1
        .value_kind:     by_value
    .group_segment_fixed_size: 2049
    .kernarg_segment_align: 8
    .kernarg_segment_size: 20
    .language:       OpenCL C
    .language_version:
      - 2
      - 0
    .max_flat_workgroup_size: 512
    .name:           _Z16sort_keys_kernelIhLj512ELj4EN10test_utils4lessELj10EEvPKT_PS2_T2_
    .private_segment_fixed_size: 0
    .sgpr_count:     44
    .sgpr_spill_count: 0
    .symbol:         _Z16sort_keys_kernelIhLj512ELj4EN10test_utils4lessELj10EEvPKT_PS2_T2_.kd
    .uniform_work_group_size: 1
    .uses_dynamic_stack: false
    .vgpr_count:     74
    .vgpr_spill_count: 0
    .wavefront_size: 64
  - .agpr_count:     0
    .args:
      - .address_space:  global
        .offset:         0
        .size:           8
        .value_kind:     global_buffer
      - .address_space:  global
        .offset:         8
        .size:           8
        .value_kind:     global_buffer
      - .offset:         16
        .size:           1
        .value_kind:     by_value
    .group_segment_fixed_size: 2049
    .kernarg_segment_align: 8
    .kernarg_segment_size: 20
    .language:       OpenCL C
    .language_version:
      - 2
      - 0
    .max_flat_workgroup_size: 512
    .name:           _Z17sort_pairs_kernelIhLj512ELj4EN10test_utils4lessELj10EEvPKT_PS2_T2_
    .private_segment_fixed_size: 0
    .sgpr_count:     56
    .sgpr_spill_count: 0
    .symbol:         _Z17sort_pairs_kernelIhLj512ELj4EN10test_utils4lessELj10EEvPKT_PS2_T2_.kd
    .uniform_work_group_size: 1
    .uses_dynamic_stack: false
    .vgpr_count:     83
    .vgpr_spill_count: 0
    .wavefront_size: 64
  - .agpr_count:     0
    .args:
      - .address_space:  global
        .offset:         0
        .size:           8
        .value_kind:     global_buffer
      - .address_space:  global
        .offset:         8
        .size:           8
        .value_kind:     global_buffer
      - .offset:         16
        .size:           1
        .value_kind:     by_value
    .group_segment_fixed_size: 4097
    .kernarg_segment_align: 8
    .kernarg_segment_size: 20
    .language:       OpenCL C
    .language_version:
      - 2
      - 0
    .max_flat_workgroup_size: 512
    .name:           _Z16sort_keys_kernelIhLj512ELj8EN10test_utils4lessELj10EEvPKT_PS2_T2_
    .private_segment_fixed_size: 0
    .sgpr_count:     54
    .sgpr_spill_count: 0
    .symbol:         _Z16sort_keys_kernelIhLj512ELj8EN10test_utils4lessELj10EEvPKT_PS2_T2_.kd
    .uniform_work_group_size: 1
    .uses_dynamic_stack: false
    .vgpr_count:     82
    .vgpr_spill_count: 0
    .wavefront_size: 64
  - .agpr_count:     0
    .args:
      - .address_space:  global
        .offset:         0
        .size:           8
        .value_kind:     global_buffer
      - .address_space:  global
        .offset:         8
        .size:           8
        .value_kind:     global_buffer
      - .offset:         16
        .size:           1
        .value_kind:     by_value
    .group_segment_fixed_size: 4097
    .kernarg_segment_align: 8
    .kernarg_segment_size: 20
    .language:       OpenCL C
    .language_version:
      - 2
      - 0
    .max_flat_workgroup_size: 512
    .name:           _Z17sort_pairs_kernelIhLj512ELj8EN10test_utils4lessELj10EEvPKT_PS2_T2_
    .private_segment_fixed_size: 0
    .sgpr_count:     106
    .sgpr_spill_count: 6
    .symbol:         _Z17sort_pairs_kernelIhLj512ELj8EN10test_utils4lessELj10EEvPKT_PS2_T2_.kd
    .uniform_work_group_size: 1
    .uses_dynamic_stack: false
    .vgpr_count:     104
    .vgpr_spill_count: 0
    .wavefront_size: 64
  - .agpr_count:     0
    .args:
      - .address_space:  global
        .offset:         0
        .size:           8
        .value_kind:     global_buffer
      - .address_space:  global
        .offset:         8
        .size:           8
        .value_kind:     global_buffer
      - .offset:         16
        .size:           1
        .value_kind:     by_value
    .group_segment_fixed_size: 520
    .kernarg_segment_align: 8
    .kernarg_segment_size: 20
    .language:       OpenCL C
    .language_version:
      - 2
      - 0
    .max_flat_workgroup_size: 64
    .name:           _Z16sort_keys_kernelIxLj64ELj1EN10test_utils4lessELj10EEvPKT_PS2_T2_
    .private_segment_fixed_size: 0
    .sgpr_count:     30
    .sgpr_spill_count: 0
    .symbol:         _Z16sort_keys_kernelIxLj64ELj1EN10test_utils4lessELj10EEvPKT_PS2_T2_.kd
    .uniform_work_group_size: 1
    .uses_dynamic_stack: false
    .vgpr_count:     54
    .vgpr_spill_count: 0
    .wavefront_size: 64
  - .agpr_count:     0
    .args:
      - .address_space:  global
        .offset:         0
        .size:           8
        .value_kind:     global_buffer
      - .address_space:  global
        .offset:         8
        .size:           8
        .value_kind:     global_buffer
      - .offset:         16
        .size:           1
        .value_kind:     by_value
    .group_segment_fixed_size: 520
    .kernarg_segment_align: 8
    .kernarg_segment_size: 20
    .language:       OpenCL C
    .language_version:
      - 2
      - 0
    .max_flat_workgroup_size: 64
    .name:           _Z17sort_pairs_kernelIxLj64ELj1EN10test_utils4lessELj10EEvPKT_PS2_T2_
    .private_segment_fixed_size: 0
    .sgpr_count:     30
    .sgpr_spill_count: 0
    .symbol:         _Z17sort_pairs_kernelIxLj64ELj1EN10test_utils4lessELj10EEvPKT_PS2_T2_.kd
    .uniform_work_group_size: 1
    .uses_dynamic_stack: false
    .vgpr_count:     60
    .vgpr_spill_count: 0
    .wavefront_size: 64
  - .agpr_count:     0
    .args:
      - .address_space:  global
        .offset:         0
        .size:           8
        .value_kind:     global_buffer
      - .address_space:  global
        .offset:         8
        .size:           8
        .value_kind:     global_buffer
      - .offset:         16
        .size:           1
        .value_kind:     by_value
    .group_segment_fixed_size: 1032
    .kernarg_segment_align: 8
    .kernarg_segment_size: 20
    .language:       OpenCL C
    .language_version:
      - 2
      - 0
    .max_flat_workgroup_size: 64
    .name:           _Z16sort_keys_kernelIxLj64ELj2EN10test_utils4lessELj10EEvPKT_PS2_T2_
    .private_segment_fixed_size: 0
    .sgpr_count:     30
    .sgpr_spill_count: 0
    .symbol:         _Z16sort_keys_kernelIxLj64ELj2EN10test_utils4lessELj10EEvPKT_PS2_T2_.kd
    .uniform_work_group_size: 1
    .uses_dynamic_stack: false
    .vgpr_count:     63
    .vgpr_spill_count: 0
    .wavefront_size: 64
  - .agpr_count:     0
    .args:
      - .address_space:  global
        .offset:         0
        .size:           8
        .value_kind:     global_buffer
      - .address_space:  global
        .offset:         8
        .size:           8
        .value_kind:     global_buffer
      - .offset:         16
        .size:           1
        .value_kind:     by_value
    .group_segment_fixed_size: 1032
    .kernarg_segment_align: 8
    .kernarg_segment_size: 20
    .language:       OpenCL C
    .language_version:
      - 2
      - 0
    .max_flat_workgroup_size: 64
    .name:           _Z17sort_pairs_kernelIxLj64ELj2EN10test_utils4lessELj10EEvPKT_PS2_T2_
    .private_segment_fixed_size: 0
    .sgpr_count:     30
    .sgpr_spill_count: 0
    .symbol:         _Z17sort_pairs_kernelIxLj64ELj2EN10test_utils4lessELj10EEvPKT_PS2_T2_.kd
    .uniform_work_group_size: 1
    .uses_dynamic_stack: false
    .vgpr_count:     68
    .vgpr_spill_count: 0
    .wavefront_size: 64
  - .agpr_count:     0
    .args:
      - .address_space:  global
        .offset:         0
        .size:           8
        .value_kind:     global_buffer
      - .address_space:  global
        .offset:         8
        .size:           8
        .value_kind:     global_buffer
      - .offset:         16
        .size:           1
        .value_kind:     by_value
    .group_segment_fixed_size: 1544
    .kernarg_segment_align: 8
    .kernarg_segment_size: 20
    .language:       OpenCL C
    .language_version:
      - 2
      - 0
    .max_flat_workgroup_size: 64
    .name:           _Z16sort_keys_kernelIxLj64ELj3EN10test_utils4lessELj10EEvPKT_PS2_T2_
    .private_segment_fixed_size: 0
    .sgpr_count:     31
    .sgpr_spill_count: 0
    .symbol:         _Z16sort_keys_kernelIxLj64ELj3EN10test_utils4lessELj10EEvPKT_PS2_T2_.kd
    .uniform_work_group_size: 1
    .uses_dynamic_stack: false
    .vgpr_count:     67
    .vgpr_spill_count: 0
    .wavefront_size: 64
  - .agpr_count:     0
    .args:
      - .address_space:  global
        .offset:         0
        .size:           8
        .value_kind:     global_buffer
      - .address_space:  global
        .offset:         8
        .size:           8
        .value_kind:     global_buffer
      - .offset:         16
        .size:           1
        .value_kind:     by_value
    .group_segment_fixed_size: 1544
    .kernarg_segment_align: 8
    .kernarg_segment_size: 20
    .language:       OpenCL C
    .language_version:
      - 2
      - 0
    .max_flat_workgroup_size: 64
    .name:           _Z17sort_pairs_kernelIxLj64ELj3EN10test_utils4lessELj10EEvPKT_PS2_T2_
    .private_segment_fixed_size: 0
    .sgpr_count:     40
    .sgpr_spill_count: 0
    .symbol:         _Z17sort_pairs_kernelIxLj64ELj3EN10test_utils4lessELj10EEvPKT_PS2_T2_.kd
    .uniform_work_group_size: 1
    .uses_dynamic_stack: false
    .vgpr_count:     76
    .vgpr_spill_count: 0
    .wavefront_size: 64
  - .agpr_count:     0
    .args:
      - .address_space:  global
        .offset:         0
        .size:           8
        .value_kind:     global_buffer
      - .address_space:  global
        .offset:         8
        .size:           8
        .value_kind:     global_buffer
      - .offset:         16
        .size:           1
        .value_kind:     by_value
    .group_segment_fixed_size: 2056
    .kernarg_segment_align: 8
    .kernarg_segment_size: 20
    .language:       OpenCL C
    .language_version:
      - 2
      - 0
    .max_flat_workgroup_size: 64
    .name:           _Z16sort_keys_kernelIxLj64ELj4EN10test_utils4lessELj10EEvPKT_PS2_T2_
    .private_segment_fixed_size: 0
    .sgpr_count:     34
    .sgpr_spill_count: 0
    .symbol:         _Z16sort_keys_kernelIxLj64ELj4EN10test_utils4lessELj10EEvPKT_PS2_T2_.kd
    .uniform_work_group_size: 1
    .uses_dynamic_stack: false
    .vgpr_count:     73
    .vgpr_spill_count: 0
    .wavefront_size: 64
  - .agpr_count:     0
    .args:
      - .address_space:  global
        .offset:         0
        .size:           8
        .value_kind:     global_buffer
      - .address_space:  global
        .offset:         8
        .size:           8
        .value_kind:     global_buffer
      - .offset:         16
        .size:           1
        .value_kind:     by_value
    .group_segment_fixed_size: 2056
    .kernarg_segment_align: 8
    .kernarg_segment_size: 20
    .language:       OpenCL C
    .language_version:
      - 2
      - 0
    .max_flat_workgroup_size: 64
    .name:           _Z17sort_pairs_kernelIxLj64ELj4EN10test_utils4lessELj10EEvPKT_PS2_T2_
    .private_segment_fixed_size: 0
    .sgpr_count:     48
    .sgpr_spill_count: 0
    .symbol:         _Z17sort_pairs_kernelIxLj64ELj4EN10test_utils4lessELj10EEvPKT_PS2_T2_.kd
    .uniform_work_group_size: 1
    .uses_dynamic_stack: false
    .vgpr_count:     84
    .vgpr_spill_count: 0
    .wavefront_size: 64
  - .agpr_count:     0
    .args:
      - .address_space:  global
        .offset:         0
        .size:           8
        .value_kind:     global_buffer
      - .address_space:  global
        .offset:         8
        .size:           8
        .value_kind:     global_buffer
      - .offset:         16
        .size:           1
        .value_kind:     by_value
    .group_segment_fixed_size: 4104
    .kernarg_segment_align: 8
    .kernarg_segment_size: 20
    .language:       OpenCL C
    .language_version:
      - 2
      - 0
    .max_flat_workgroup_size: 64
    .name:           _Z16sort_keys_kernelIxLj64ELj8EN10test_utils4lessELj10EEvPKT_PS2_T2_
    .private_segment_fixed_size: 0
    .sgpr_count:     44
    .sgpr_spill_count: 0
    .symbol:         _Z16sort_keys_kernelIxLj64ELj8EN10test_utils4lessELj10EEvPKT_PS2_T2_.kd
    .uniform_work_group_size: 1
    .uses_dynamic_stack: false
    .vgpr_count:     91
    .vgpr_spill_count: 0
    .wavefront_size: 64
  - .agpr_count:     0
    .args:
      - .address_space:  global
        .offset:         0
        .size:           8
        .value_kind:     global_buffer
      - .address_space:  global
        .offset:         8
        .size:           8
        .value_kind:     global_buffer
      - .offset:         16
        .size:           1
        .value_kind:     by_value
    .group_segment_fixed_size: 4104
    .kernarg_segment_align: 8
    .kernarg_segment_size: 20
    .language:       OpenCL C
    .language_version:
      - 2
      - 0
    .max_flat_workgroup_size: 64
    .name:           _Z17sort_pairs_kernelIxLj64ELj8EN10test_utils4lessELj10EEvPKT_PS2_T2_
    .private_segment_fixed_size: 0
    .sgpr_count:     98
    .sgpr_spill_count: 0
    .symbol:         _Z17sort_pairs_kernelIxLj64ELj8EN10test_utils4lessELj10EEvPKT_PS2_T2_.kd
    .uniform_work_group_size: 1
    .uses_dynamic_stack: false
    .vgpr_count:     118
    .vgpr_spill_count: 0
    .wavefront_size: 64
  - .agpr_count:     0
    .args:
      - .address_space:  global
        .offset:         0
        .size:           8
        .value_kind:     global_buffer
      - .address_space:  global
        .offset:         8
        .size:           8
        .value_kind:     global_buffer
      - .offset:         16
        .size:           1
        .value_kind:     by_value
    .group_segment_fixed_size: 1032
    .kernarg_segment_align: 8
    .kernarg_segment_size: 20
    .language:       OpenCL C
    .language_version:
      - 2
      - 0
    .max_flat_workgroup_size: 128
    .name:           _Z16sort_keys_kernelIxLj128ELj1EN10test_utils4lessELj10EEvPKT_PS2_T2_
    .private_segment_fixed_size: 0
    .sgpr_count:     30
    .sgpr_spill_count: 0
    .symbol:         _Z16sort_keys_kernelIxLj128ELj1EN10test_utils4lessELj10EEvPKT_PS2_T2_.kd
    .uniform_work_group_size: 1
    .uses_dynamic_stack: false
    .vgpr_count:     62
    .vgpr_spill_count: 0
    .wavefront_size: 64
  - .agpr_count:     0
    .args:
      - .address_space:  global
        .offset:         0
        .size:           8
        .value_kind:     global_buffer
      - .address_space:  global
        .offset:         8
        .size:           8
        .value_kind:     global_buffer
      - .offset:         16
        .size:           1
        .value_kind:     by_value
    .group_segment_fixed_size: 1032
    .kernarg_segment_align: 8
    .kernarg_segment_size: 20
    .language:       OpenCL C
    .language_version:
      - 2
      - 0
    .max_flat_workgroup_size: 128
    .name:           _Z17sort_pairs_kernelIxLj128ELj1EN10test_utils4lessELj10EEvPKT_PS2_T2_
    .private_segment_fixed_size: 0
    .sgpr_count:     30
    .sgpr_spill_count: 0
    .symbol:         _Z17sort_pairs_kernelIxLj128ELj1EN10test_utils4lessELj10EEvPKT_PS2_T2_.kd
    .uniform_work_group_size: 1
    .uses_dynamic_stack: false
    .vgpr_count:     69
    .vgpr_spill_count: 0
    .wavefront_size: 64
  - .agpr_count:     0
    .args:
      - .address_space:  global
        .offset:         0
        .size:           8
        .value_kind:     global_buffer
      - .address_space:  global
        .offset:         8
        .size:           8
        .value_kind:     global_buffer
      - .offset:         16
        .size:           1
        .value_kind:     by_value
    .group_segment_fixed_size: 2056
    .kernarg_segment_align: 8
    .kernarg_segment_size: 20
    .language:       OpenCL C
    .language_version:
      - 2
      - 0
    .max_flat_workgroup_size: 128
    .name:           _Z16sort_keys_kernelIxLj128ELj2EN10test_utils4lessELj10EEvPKT_PS2_T2_
    .private_segment_fixed_size: 0
    .sgpr_count:     30
    .sgpr_spill_count: 0
    .symbol:         _Z16sort_keys_kernelIxLj128ELj2EN10test_utils4lessELj10EEvPKT_PS2_T2_.kd
    .uniform_work_group_size: 1
    .uses_dynamic_stack: false
    .vgpr_count:     72
    .vgpr_spill_count: 0
    .wavefront_size: 64
  - .agpr_count:     0
    .args:
      - .address_space:  global
        .offset:         0
        .size:           8
        .value_kind:     global_buffer
      - .address_space:  global
        .offset:         8
        .size:           8
        .value_kind:     global_buffer
      - .offset:         16
        .size:           1
        .value_kind:     by_value
    .group_segment_fixed_size: 2056
    .kernarg_segment_align: 8
    .kernarg_segment_size: 20
    .language:       OpenCL C
    .language_version:
      - 2
      - 0
    .max_flat_workgroup_size: 128
    .name:           _Z17sort_pairs_kernelIxLj128ELj2EN10test_utils4lessELj10EEvPKT_PS2_T2_
    .private_segment_fixed_size: 0
    .sgpr_count:     34
    .sgpr_spill_count: 0
    .symbol:         _Z17sort_pairs_kernelIxLj128ELj2EN10test_utils4lessELj10EEvPKT_PS2_T2_.kd
    .uniform_work_group_size: 1
    .uses_dynamic_stack: false
    .vgpr_count:     77
    .vgpr_spill_count: 0
    .wavefront_size: 64
  - .agpr_count:     0
    .args:
      - .address_space:  global
        .offset:         0
        .size:           8
        .value_kind:     global_buffer
      - .address_space:  global
        .offset:         8
        .size:           8
        .value_kind:     global_buffer
      - .offset:         16
        .size:           1
        .value_kind:     by_value
    .group_segment_fixed_size: 3080
    .kernarg_segment_align: 8
    .kernarg_segment_size: 20
    .language:       OpenCL C
    .language_version:
      - 2
      - 0
    .max_flat_workgroup_size: 128
    .name:           _Z16sort_keys_kernelIxLj128ELj3EN10test_utils4lessELj10EEvPKT_PS2_T2_
    .private_segment_fixed_size: 0
    .sgpr_count:     35
    .sgpr_spill_count: 0
    .symbol:         _Z16sort_keys_kernelIxLj128ELj3EN10test_utils4lessELj10EEvPKT_PS2_T2_.kd
    .uniform_work_group_size: 1
    .uses_dynamic_stack: false
    .vgpr_count:     76
    .vgpr_spill_count: 0
    .wavefront_size: 64
  - .agpr_count:     0
    .args:
      - .address_space:  global
        .offset:         0
        .size:           8
        .value_kind:     global_buffer
      - .address_space:  global
        .offset:         8
        .size:           8
        .value_kind:     global_buffer
      - .offset:         16
        .size:           1
        .value_kind:     by_value
    .group_segment_fixed_size: 3080
    .kernarg_segment_align: 8
    .kernarg_segment_size: 20
    .language:       OpenCL C
    .language_version:
      - 2
      - 0
    .max_flat_workgroup_size: 128
    .name:           _Z17sort_pairs_kernelIxLj128ELj3EN10test_utils4lessELj10EEvPKT_PS2_T2_
    .private_segment_fixed_size: 0
    .sgpr_count:     40
    .sgpr_spill_count: 0
    .symbol:         _Z17sort_pairs_kernelIxLj128ELj3EN10test_utils4lessELj10EEvPKT_PS2_T2_.kd
    .uniform_work_group_size: 1
    .uses_dynamic_stack: false
    .vgpr_count:     86
    .vgpr_spill_count: 0
    .wavefront_size: 64
  - .agpr_count:     0
    .args:
      - .address_space:  global
        .offset:         0
        .size:           8
        .value_kind:     global_buffer
      - .address_space:  global
        .offset:         8
        .size:           8
        .value_kind:     global_buffer
      - .offset:         16
        .size:           1
        .value_kind:     by_value
    .group_segment_fixed_size: 4104
    .kernarg_segment_align: 8
    .kernarg_segment_size: 20
    .language:       OpenCL C
    .language_version:
      - 2
      - 0
    .max_flat_workgroup_size: 128
    .name:           _Z16sort_keys_kernelIxLj128ELj4EN10test_utils4lessELj10EEvPKT_PS2_T2_
    .private_segment_fixed_size: 0
    .sgpr_count:     34
    .sgpr_spill_count: 0
    .symbol:         _Z16sort_keys_kernelIxLj128ELj4EN10test_utils4lessELj10EEvPKT_PS2_T2_.kd
    .uniform_work_group_size: 1
    .uses_dynamic_stack: false
    .vgpr_count:     81
    .vgpr_spill_count: 0
    .wavefront_size: 64
  - .agpr_count:     0
    .args:
      - .address_space:  global
        .offset:         0
        .size:           8
        .value_kind:     global_buffer
      - .address_space:  global
        .offset:         8
        .size:           8
        .value_kind:     global_buffer
      - .offset:         16
        .size:           1
        .value_kind:     by_value
    .group_segment_fixed_size: 4104
    .kernarg_segment_align: 8
    .kernarg_segment_size: 20
    .language:       OpenCL C
    .language_version:
      - 2
      - 0
    .max_flat_workgroup_size: 128
    .name:           _Z17sort_pairs_kernelIxLj128ELj4EN10test_utils4lessELj10EEvPKT_PS2_T2_
    .private_segment_fixed_size: 0
    .sgpr_count:     50
    .sgpr_spill_count: 0
    .symbol:         _Z17sort_pairs_kernelIxLj128ELj4EN10test_utils4lessELj10EEvPKT_PS2_T2_.kd
    .uniform_work_group_size: 1
    .uses_dynamic_stack: false
    .vgpr_count:     93
    .vgpr_spill_count: 0
    .wavefront_size: 64
  - .agpr_count:     0
    .args:
      - .address_space:  global
        .offset:         0
        .size:           8
        .value_kind:     global_buffer
      - .address_space:  global
        .offset:         8
        .size:           8
        .value_kind:     global_buffer
      - .offset:         16
        .size:           1
        .value_kind:     by_value
    .group_segment_fixed_size: 8200
    .kernarg_segment_align: 8
    .kernarg_segment_size: 20
    .language:       OpenCL C
    .language_version:
      - 2
      - 0
    .max_flat_workgroup_size: 128
    .name:           _Z16sort_keys_kernelIxLj128ELj8EN10test_utils4lessELj10EEvPKT_PS2_T2_
    .private_segment_fixed_size: 0
    .sgpr_count:     44
    .sgpr_spill_count: 0
    .symbol:         _Z16sort_keys_kernelIxLj128ELj8EN10test_utils4lessELj10EEvPKT_PS2_T2_.kd
    .uniform_work_group_size: 1
    .uses_dynamic_stack: false
    .vgpr_count:     100
    .vgpr_spill_count: 0
    .wavefront_size: 64
  - .agpr_count:     0
    .args:
      - .address_space:  global
        .offset:         0
        .size:           8
        .value_kind:     global_buffer
      - .address_space:  global
        .offset:         8
        .size:           8
        .value_kind:     global_buffer
      - .offset:         16
        .size:           1
        .value_kind:     by_value
    .group_segment_fixed_size: 8200
    .kernarg_segment_align: 8
    .kernarg_segment_size: 20
    .language:       OpenCL C
    .language_version:
      - 2
      - 0
    .max_flat_workgroup_size: 128
    .name:           _Z17sort_pairs_kernelIxLj128ELj8EN10test_utils4lessELj10EEvPKT_PS2_T2_
    .private_segment_fixed_size: 0
    .sgpr_count:     102
    .sgpr_spill_count: 0
    .symbol:         _Z17sort_pairs_kernelIxLj128ELj8EN10test_utils4lessELj10EEvPKT_PS2_T2_.kd
    .uniform_work_group_size: 1
    .uses_dynamic_stack: false
    .vgpr_count:     126
    .vgpr_spill_count: 0
    .wavefront_size: 64
  - .agpr_count:     0
    .args:
      - .address_space:  global
        .offset:         0
        .size:           8
        .value_kind:     global_buffer
      - .address_space:  global
        .offset:         8
        .size:           8
        .value_kind:     global_buffer
      - .offset:         16
        .size:           1
        .value_kind:     by_value
    .group_segment_fixed_size: 2056
    .kernarg_segment_align: 8
    .kernarg_segment_size: 20
    .language:       OpenCL C
    .language_version:
      - 2
      - 0
    .max_flat_workgroup_size: 256
    .name:           _Z16sort_keys_kernelIxLj256ELj1EN10test_utils4lessELj10EEvPKT_PS2_T2_
    .private_segment_fixed_size: 0
    .sgpr_count:     34
    .sgpr_spill_count: 0
    .symbol:         _Z16sort_keys_kernelIxLj256ELj1EN10test_utils4lessELj10EEvPKT_PS2_T2_.kd
    .uniform_work_group_size: 1
    .uses_dynamic_stack: false
    .vgpr_count:     71
    .vgpr_spill_count: 0
    .wavefront_size: 64
  - .agpr_count:     0
    .args:
      - .address_space:  global
        .offset:         0
        .size:           8
        .value_kind:     global_buffer
      - .address_space:  global
        .offset:         8
        .size:           8
        .value_kind:     global_buffer
      - .offset:         16
        .size:           1
        .value_kind:     by_value
    .group_segment_fixed_size: 2056
    .kernarg_segment_align: 8
    .kernarg_segment_size: 20
    .language:       OpenCL C
    .language_version:
      - 2
      - 0
    .max_flat_workgroup_size: 256
    .name:           _Z17sort_pairs_kernelIxLj256ELj1EN10test_utils4lessELj10EEvPKT_PS2_T2_
    .private_segment_fixed_size: 0
    .sgpr_count:     34
    .sgpr_spill_count: 0
    .symbol:         _Z17sort_pairs_kernelIxLj256ELj1EN10test_utils4lessELj10EEvPKT_PS2_T2_.kd
    .uniform_work_group_size: 1
    .uses_dynamic_stack: false
    .vgpr_count:     79
    .vgpr_spill_count: 0
    .wavefront_size: 64
  - .agpr_count:     0
    .args:
      - .address_space:  global
        .offset:         0
        .size:           8
        .value_kind:     global_buffer
      - .address_space:  global
        .offset:         8
        .size:           8
        .value_kind:     global_buffer
      - .offset:         16
        .size:           1
        .value_kind:     by_value
    .group_segment_fixed_size: 4104
    .kernarg_segment_align: 8
    .kernarg_segment_size: 20
    .language:       OpenCL C
    .language_version:
      - 2
      - 0
    .max_flat_workgroup_size: 256
    .name:           _Z16sort_keys_kernelIxLj256ELj2EN10test_utils4lessELj10EEvPKT_PS2_T2_
    .private_segment_fixed_size: 0
    .sgpr_count:     34
    .sgpr_spill_count: 0
    .symbol:         _Z16sort_keys_kernelIxLj256ELj2EN10test_utils4lessELj10EEvPKT_PS2_T2_.kd
    .uniform_work_group_size: 1
    .uses_dynamic_stack: false
    .vgpr_count:     81
    .vgpr_spill_count: 0
    .wavefront_size: 64
  - .agpr_count:     0
    .args:
      - .address_space:  global
        .offset:         0
        .size:           8
        .value_kind:     global_buffer
      - .address_space:  global
        .offset:         8
        .size:           8
        .value_kind:     global_buffer
      - .offset:         16
        .size:           1
        .value_kind:     by_value
    .group_segment_fixed_size: 4104
    .kernarg_segment_align: 8
    .kernarg_segment_size: 20
    .language:       OpenCL C
    .language_version:
      - 2
      - 0
    .max_flat_workgroup_size: 256
    .name:           _Z17sort_pairs_kernelIxLj256ELj2EN10test_utils4lessELj10EEvPKT_PS2_T2_
    .private_segment_fixed_size: 0
    .sgpr_count:     34
    .sgpr_spill_count: 0
    .symbol:         _Z17sort_pairs_kernelIxLj256ELj2EN10test_utils4lessELj10EEvPKT_PS2_T2_.kd
    .uniform_work_group_size: 1
    .uses_dynamic_stack: false
    .vgpr_count:     87
    .vgpr_spill_count: 0
    .wavefront_size: 64
  - .agpr_count:     0
    .args:
      - .address_space:  global
        .offset:         0
        .size:           8
        .value_kind:     global_buffer
      - .address_space:  global
        .offset:         8
        .size:           8
        .value_kind:     global_buffer
      - .offset:         16
        .size:           1
        .value_kind:     by_value
    .group_segment_fixed_size: 6152
    .kernarg_segment_align: 8
    .kernarg_segment_size: 20
    .language:       OpenCL C
    .language_version:
      - 2
      - 0
    .max_flat_workgroup_size: 256
    .name:           _Z16sort_keys_kernelIxLj256ELj3EN10test_utils4lessELj10EEvPKT_PS2_T2_
    .private_segment_fixed_size: 0
    .sgpr_count:     35
    .sgpr_spill_count: 0
    .symbol:         _Z16sort_keys_kernelIxLj256ELj3EN10test_utils4lessELj10EEvPKT_PS2_T2_.kd
    .uniform_work_group_size: 1
    .uses_dynamic_stack: false
    .vgpr_count:     86
    .vgpr_spill_count: 0
    .wavefront_size: 64
  - .agpr_count:     0
    .args:
      - .address_space:  global
        .offset:         0
        .size:           8
        .value_kind:     global_buffer
      - .address_space:  global
        .offset:         8
        .size:           8
        .value_kind:     global_buffer
      - .offset:         16
        .size:           1
        .value_kind:     by_value
    .group_segment_fixed_size: 6152
    .kernarg_segment_align: 8
    .kernarg_segment_size: 20
    .language:       OpenCL C
    .language_version:
      - 2
      - 0
    .max_flat_workgroup_size: 256
    .name:           _Z17sort_pairs_kernelIxLj256ELj3EN10test_utils4lessELj10EEvPKT_PS2_T2_
    .private_segment_fixed_size: 0
    .sgpr_count:     44
    .sgpr_spill_count: 0
    .symbol:         _Z17sort_pairs_kernelIxLj256ELj3EN10test_utils4lessELj10EEvPKT_PS2_T2_.kd
    .uniform_work_group_size: 1
    .uses_dynamic_stack: false
    .vgpr_count:     96
    .vgpr_spill_count: 0
    .wavefront_size: 64
  - .agpr_count:     0
    .args:
      - .address_space:  global
        .offset:         0
        .size:           8
        .value_kind:     global_buffer
      - .address_space:  global
        .offset:         8
        .size:           8
        .value_kind:     global_buffer
      - .offset:         16
        .size:           1
        .value_kind:     by_value
    .group_segment_fixed_size: 8200
    .kernarg_segment_align: 8
    .kernarg_segment_size: 20
    .language:       OpenCL C
    .language_version:
      - 2
      - 0
    .max_flat_workgroup_size: 256
    .name:           _Z16sort_keys_kernelIxLj256ELj4EN10test_utils4lessELj10EEvPKT_PS2_T2_
    .private_segment_fixed_size: 0
    .sgpr_count:     38
    .sgpr_spill_count: 0
    .symbol:         _Z16sort_keys_kernelIxLj256ELj4EN10test_utils4lessELj10EEvPKT_PS2_T2_.kd
    .uniform_work_group_size: 1
    .uses_dynamic_stack: false
    .vgpr_count:     91
    .vgpr_spill_count: 0
    .wavefront_size: 64
  - .agpr_count:     0
    .args:
      - .address_space:  global
        .offset:         0
        .size:           8
        .value_kind:     global_buffer
      - .address_space:  global
        .offset:         8
        .size:           8
        .value_kind:     global_buffer
      - .offset:         16
        .size:           1
        .value_kind:     by_value
    .group_segment_fixed_size: 8200
    .kernarg_segment_align: 8
    .kernarg_segment_size: 20
    .language:       OpenCL C
    .language_version:
      - 2
      - 0
    .max_flat_workgroup_size: 256
    .name:           _Z17sort_pairs_kernelIxLj256ELj4EN10test_utils4lessELj10EEvPKT_PS2_T2_
    .private_segment_fixed_size: 0
    .sgpr_count:     50
    .sgpr_spill_count: 0
    .symbol:         _Z17sort_pairs_kernelIxLj256ELj4EN10test_utils4lessELj10EEvPKT_PS2_T2_.kd
    .uniform_work_group_size: 1
    .uses_dynamic_stack: false
    .vgpr_count:     103
    .vgpr_spill_count: 0
    .wavefront_size: 64
  - .agpr_count:     0
    .args:
      - .address_space:  global
        .offset:         0
        .size:           8
        .value_kind:     global_buffer
      - .address_space:  global
        .offset:         8
        .size:           8
        .value_kind:     global_buffer
      - .offset:         16
        .size:           1
        .value_kind:     by_value
    .group_segment_fixed_size: 16392
    .kernarg_segment_align: 8
    .kernarg_segment_size: 20
    .language:       OpenCL C
    .language_version:
      - 2
      - 0
    .max_flat_workgroup_size: 256
    .name:           _Z16sort_keys_kernelIxLj256ELj8EN10test_utils4lessELj10EEvPKT_PS2_T2_
    .private_segment_fixed_size: 0
    .sgpr_count:     48
    .sgpr_spill_count: 0
    .symbol:         _Z16sort_keys_kernelIxLj256ELj8EN10test_utils4lessELj10EEvPKT_PS2_T2_.kd
    .uniform_work_group_size: 1
    .uses_dynamic_stack: false
    .vgpr_count:     109
    .vgpr_spill_count: 0
    .wavefront_size: 64
  - .agpr_count:     0
    .args:
      - .address_space:  global
        .offset:         0
        .size:           8
        .value_kind:     global_buffer
      - .address_space:  global
        .offset:         8
        .size:           8
        .value_kind:     global_buffer
      - .offset:         16
        .size:           1
        .value_kind:     by_value
    .group_segment_fixed_size: 16392
    .kernarg_segment_align: 8
    .kernarg_segment_size: 20
    .language:       OpenCL C
    .language_version:
      - 2
      - 0
    .max_flat_workgroup_size: 256
    .name:           _Z17sort_pairs_kernelIxLj256ELj8EN10test_utils4lessELj10EEvPKT_PS2_T2_
    .private_segment_fixed_size: 0
    .sgpr_count:     102
    .sgpr_spill_count: 0
    .symbol:         _Z17sort_pairs_kernelIxLj256ELj8EN10test_utils4lessELj10EEvPKT_PS2_T2_.kd
    .uniform_work_group_size: 1
    .uses_dynamic_stack: false
    .vgpr_count:     136
    .vgpr_spill_count: 0
    .wavefront_size: 64
  - .agpr_count:     0
    .args:
      - .address_space:  global
        .offset:         0
        .size:           8
        .value_kind:     global_buffer
      - .address_space:  global
        .offset:         8
        .size:           8
        .value_kind:     global_buffer
      - .offset:         16
        .size:           1
        .value_kind:     by_value
    .group_segment_fixed_size: 4104
    .kernarg_segment_align: 8
    .kernarg_segment_size: 20
    .language:       OpenCL C
    .language_version:
      - 2
      - 0
    .max_flat_workgroup_size: 512
    .name:           _Z16sort_keys_kernelIxLj512ELj1EN10test_utils4lessELj10EEvPKT_PS2_T2_
    .private_segment_fixed_size: 0
    .sgpr_count:     34
    .sgpr_spill_count: 0
    .symbol:         _Z16sort_keys_kernelIxLj512ELj1EN10test_utils4lessELj10EEvPKT_PS2_T2_.kd
    .uniform_work_group_size: 1
    .uses_dynamic_stack: false
    .vgpr_count:     79
    .vgpr_spill_count: 0
    .wavefront_size: 64
  - .agpr_count:     0
    .args:
      - .address_space:  global
        .offset:         0
        .size:           8
        .value_kind:     global_buffer
      - .address_space:  global
        .offset:         8
        .size:           8
        .value_kind:     global_buffer
      - .offset:         16
        .size:           1
        .value_kind:     by_value
    .group_segment_fixed_size: 4104
    .kernarg_segment_align: 8
    .kernarg_segment_size: 20
    .language:       OpenCL C
    .language_version:
      - 2
      - 0
    .max_flat_workgroup_size: 512
    .name:           _Z17sort_pairs_kernelIxLj512ELj1EN10test_utils4lessELj10EEvPKT_PS2_T2_
    .private_segment_fixed_size: 0
    .sgpr_count:     34
    .sgpr_spill_count: 0
    .symbol:         _Z17sort_pairs_kernelIxLj512ELj1EN10test_utils4lessELj10EEvPKT_PS2_T2_.kd
    .uniform_work_group_size: 1
    .uses_dynamic_stack: false
    .vgpr_count:     88
    .vgpr_spill_count: 0
    .wavefront_size: 64
  - .agpr_count:     0
    .args:
      - .address_space:  global
        .offset:         0
        .size:           8
        .value_kind:     global_buffer
      - .address_space:  global
        .offset:         8
        .size:           8
        .value_kind:     global_buffer
      - .offset:         16
        .size:           1
        .value_kind:     by_value
    .group_segment_fixed_size: 8200
    .kernarg_segment_align: 8
    .kernarg_segment_size: 20
    .language:       OpenCL C
    .language_version:
      - 2
      - 0
    .max_flat_workgroup_size: 512
    .name:           _Z16sort_keys_kernelIxLj512ELj2EN10test_utils4lessELj10EEvPKT_PS2_T2_
    .private_segment_fixed_size: 0
    .sgpr_count:     34
    .sgpr_spill_count: 0
    .symbol:         _Z16sort_keys_kernelIxLj512ELj2EN10test_utils4lessELj10EEvPKT_PS2_T2_.kd
    .uniform_work_group_size: 1
    .uses_dynamic_stack: false
    .vgpr_count:     91
    .vgpr_spill_count: 0
    .wavefront_size: 64
  - .agpr_count:     0
    .args:
      - .address_space:  global
        .offset:         0
        .size:           8
        .value_kind:     global_buffer
      - .address_space:  global
        .offset:         8
        .size:           8
        .value_kind:     global_buffer
      - .offset:         16
        .size:           1
        .value_kind:     by_value
    .group_segment_fixed_size: 8200
    .kernarg_segment_align: 8
    .kernarg_segment_size: 20
    .language:       OpenCL C
    .language_version:
      - 2
      - 0
    .max_flat_workgroup_size: 512
    .name:           _Z17sort_pairs_kernelIxLj512ELj2EN10test_utils4lessELj10EEvPKT_PS2_T2_
    .private_segment_fixed_size: 0
    .sgpr_count:     38
    .sgpr_spill_count: 0
    .symbol:         _Z17sort_pairs_kernelIxLj512ELj2EN10test_utils4lessELj10EEvPKT_PS2_T2_.kd
    .uniform_work_group_size: 1
    .uses_dynamic_stack: false
    .vgpr_count:     96
    .vgpr_spill_count: 0
    .wavefront_size: 64
  - .agpr_count:     0
    .args:
      - .address_space:  global
        .offset:         0
        .size:           8
        .value_kind:     global_buffer
      - .address_space:  global
        .offset:         8
        .size:           8
        .value_kind:     global_buffer
      - .offset:         16
        .size:           1
        .value_kind:     by_value
    .group_segment_fixed_size: 12296
    .kernarg_segment_align: 8
    .kernarg_segment_size: 20
    .language:       OpenCL C
    .language_version:
      - 2
      - 0
    .max_flat_workgroup_size: 512
    .name:           _Z16sort_keys_kernelIxLj512ELj3EN10test_utils4lessELj10EEvPKT_PS2_T2_
    .private_segment_fixed_size: 0
    .sgpr_count:     38
    .sgpr_spill_count: 0
    .symbol:         _Z16sort_keys_kernelIxLj512ELj3EN10test_utils4lessELj10EEvPKT_PS2_T2_.kd
    .uniform_work_group_size: 1
    .uses_dynamic_stack: false
    .vgpr_count:     95
    .vgpr_spill_count: 0
    .wavefront_size: 64
  - .agpr_count:     0
    .args:
      - .address_space:  global
        .offset:         0
        .size:           8
        .value_kind:     global_buffer
      - .address_space:  global
        .offset:         8
        .size:           8
        .value_kind:     global_buffer
      - .offset:         16
        .size:           1
        .value_kind:     by_value
    .group_segment_fixed_size: 12296
    .kernarg_segment_align: 8
    .kernarg_segment_size: 20
    .language:       OpenCL C
    .language_version:
      - 2
      - 0
    .max_flat_workgroup_size: 512
    .name:           _Z17sort_pairs_kernelIxLj512ELj3EN10test_utils4lessELj10EEvPKT_PS2_T2_
    .private_segment_fixed_size: 0
    .sgpr_count:     44
    .sgpr_spill_count: 0
    .symbol:         _Z17sort_pairs_kernelIxLj512ELj3EN10test_utils4lessELj10EEvPKT_PS2_T2_.kd
    .uniform_work_group_size: 1
    .uses_dynamic_stack: false
    .vgpr_count:     103
    .vgpr_spill_count: 0
    .wavefront_size: 64
  - .agpr_count:     0
    .args:
      - .address_space:  global
        .offset:         0
        .size:           8
        .value_kind:     global_buffer
      - .address_space:  global
        .offset:         8
        .size:           8
        .value_kind:     global_buffer
      - .offset:         16
        .size:           1
        .value_kind:     by_value
    .group_segment_fixed_size: 16392
    .kernarg_segment_align: 8
    .kernarg_segment_size: 20
    .language:       OpenCL C
    .language_version:
      - 2
      - 0
    .max_flat_workgroup_size: 512
    .name:           _Z16sort_keys_kernelIxLj512ELj4EN10test_utils4lessELj10EEvPKT_PS2_T2_
    .private_segment_fixed_size: 0
    .sgpr_count:     38
    .sgpr_spill_count: 0
    .symbol:         _Z16sort_keys_kernelIxLj512ELj4EN10test_utils4lessELj10EEvPKT_PS2_T2_.kd
    .uniform_work_group_size: 1
    .uses_dynamic_stack: false
    .vgpr_count:     100
    .vgpr_spill_count: 0
    .wavefront_size: 64
  - .agpr_count:     0
    .args:
      - .address_space:  global
        .offset:         0
        .size:           8
        .value_kind:     global_buffer
      - .address_space:  global
        .offset:         8
        .size:           8
        .value_kind:     global_buffer
      - .offset:         16
        .size:           1
        .value_kind:     by_value
    .group_segment_fixed_size: 16392
    .kernarg_segment_align: 8
    .kernarg_segment_size: 20
    .language:       OpenCL C
    .language_version:
      - 2
      - 0
    .max_flat_workgroup_size: 512
    .name:           _Z17sort_pairs_kernelIxLj512ELj4EN10test_utils4lessELj10EEvPKT_PS2_T2_
    .private_segment_fixed_size: 0
    .sgpr_count:     54
    .sgpr_spill_count: 0
    .symbol:         _Z17sort_pairs_kernelIxLj512ELj4EN10test_utils4lessELj10EEvPKT_PS2_T2_.kd
    .uniform_work_group_size: 1
    .uses_dynamic_stack: false
    .vgpr_count:     112
    .vgpr_spill_count: 0
    .wavefront_size: 64
  - .agpr_count:     0
    .args:
      - .address_space:  global
        .offset:         0
        .size:           8
        .value_kind:     global_buffer
      - .address_space:  global
        .offset:         8
        .size:           8
        .value_kind:     global_buffer
      - .offset:         16
        .size:           1
        .value_kind:     by_value
    .group_segment_fixed_size: 32776
    .kernarg_segment_align: 8
    .kernarg_segment_size: 20
    .language:       OpenCL C
    .language_version:
      - 2
      - 0
    .max_flat_workgroup_size: 512
    .name:           _Z16sort_keys_kernelIxLj512ELj8EN10test_utils4lessELj10EEvPKT_PS2_T2_
    .private_segment_fixed_size: 0
    .sgpr_count:     50
    .sgpr_spill_count: 0
    .symbol:         _Z16sort_keys_kernelIxLj512ELj8EN10test_utils4lessELj10EEvPKT_PS2_T2_.kd
    .uniform_work_group_size: 1
    .uses_dynamic_stack: false
    .vgpr_count:     118
    .vgpr_spill_count: 0
    .wavefront_size: 64
  - .agpr_count:     0
    .args:
      - .address_space:  global
        .offset:         0
        .size:           8
        .value_kind:     global_buffer
      - .address_space:  global
        .offset:         8
        .size:           8
        .value_kind:     global_buffer
      - .offset:         16
        .size:           1
        .value_kind:     by_value
    .group_segment_fixed_size: 32776
    .kernarg_segment_align: 8
    .kernarg_segment_size: 20
    .language:       OpenCL C
    .language_version:
      - 2
      - 0
    .max_flat_workgroup_size: 512
    .name:           _Z17sort_pairs_kernelIxLj512ELj8EN10test_utils4lessELj10EEvPKT_PS2_T2_
    .private_segment_fixed_size: 0
    .sgpr_count:     106
    .sgpr_spill_count: 0
    .symbol:         _Z17sort_pairs_kernelIxLj512ELj8EN10test_utils4lessELj10EEvPKT_PS2_T2_.kd
    .uniform_work_group_size: 1
    .uses_dynamic_stack: false
    .vgpr_count:     144
    .vgpr_spill_count: 0
    .wavefront_size: 64
amdhsa.target:   amdgcn-amd-amdhsa--gfx942
amdhsa.version:
  - 1
  - 2
...

	.end_amdgpu_metadata
